;; amdgpu-corpus repo=pytorch/pytorch kind=compiled arch=gfx1100 opt=O3
	.text
	.amdgcn_target "amdgcn-amd-amdhsa--gfx1100"
	.amdhsa_code_object_version 6
	.p2align	2                               ; -- Begin function _ZN12_GLOBAL__N_130_igam_helper_asymptotic_seriesIdEET_S1_S1_b
	.type	_ZN12_GLOBAL__N_130_igam_helper_asymptotic_seriesIdEET_S1_S1_b,@function
_ZN12_GLOBAL__N_130_igam_helper_asymptotic_seriesIdEET_S1_S1_b: ; @_ZN12_GLOBAL__N_130_igam_helper_asymptotic_seriesIdEET_S1_S1_b
; %bb.0:
	s_waitcnt vmcnt(0) expcnt(0) lgkmcnt(0)
	v_add_f64 v[8:9], v[2:3], -v[0:1]
	v_div_scale_f64 v[5:6], null, v[0:1], v[0:1], v[2:3]
	v_div_scale_f64 v[20:21], vcc_lo, v[2:3], v[0:1], v[2:3]
	s_delay_alu instid0(VALU_DEP_3) | instskip(NEXT) | instid1(VALU_DEP_3)
	v_div_scale_f64 v[10:11], null, v[0:1], v[0:1], v[8:9]
	v_rcp_f64_e32 v[12:13], v[5:6]
	s_delay_alu instid0(VALU_DEP_1) | instskip(SKIP_3) | instid1(VALU_DEP_2)
	v_rcp_f64_e32 v[14:15], v[10:11]
	s_waitcnt_depctr 0xfff
	v_fma_f64 v[16:17], -v[5:6], v[12:13], 1.0
	v_fma_f64 v[18:19], -v[10:11], v[14:15], 1.0
	v_fma_f64 v[12:13], v[12:13], v[16:17], v[12:13]
	s_delay_alu instid0(VALU_DEP_2) | instskip(NEXT) | instid1(VALU_DEP_2)
	v_fma_f64 v[14:15], v[14:15], v[18:19], v[14:15]
	v_fma_f64 v[16:17], -v[5:6], v[12:13], 1.0
	s_delay_alu instid0(VALU_DEP_2) | instskip(NEXT) | instid1(VALU_DEP_2)
	v_fma_f64 v[18:19], -v[10:11], v[14:15], 1.0
	v_fma_f64 v[12:13], v[12:13], v[16:17], v[12:13]
	v_div_scale_f64 v[16:17], s0, v[8:9], v[0:1], v[8:9]
	s_delay_alu instid0(VALU_DEP_3) | instskip(NEXT) | instid1(VALU_DEP_3)
	v_fma_f64 v[14:15], v[14:15], v[18:19], v[14:15]
	v_mul_f64 v[18:19], v[20:21], v[12:13]
	s_delay_alu instid0(VALU_DEP_2) | instskip(NEXT) | instid1(VALU_DEP_2)
	v_mul_f64 v[22:23], v[16:17], v[14:15]
	v_fma_f64 v[5:6], -v[5:6], v[18:19], v[20:21]
	s_delay_alu instid0(VALU_DEP_2) | instskip(NEXT) | instid1(VALU_DEP_2)
	v_fma_f64 v[10:11], -v[10:11], v[22:23], v[16:17]
	v_div_fmas_f64 v[5:6], v[5:6], v[12:13], v[18:19]
	s_mov_b32 vcc_lo, s0
	s_mov_b32 s0, 0
	s_delay_alu instid0(SALU_CYCLE_1) | instskip(SKIP_3) | instid1(VALU_DEP_3)
	s_mov_b32 s3, s0
	s_mov_b32 s1, s0
	;; [unrolled: 1-line block ×3, first 2 shown]
	v_mov_b32_e32 v12, 0
	v_div_fmas_f64 v[10:11], v[10:11], v[14:15], v[22:23]
	s_delay_alu instid0(VALU_DEP_3) | instskip(NEXT) | instid1(VALU_DEP_2)
	v_div_fixup_f64 v[6:7], v[5:6], v[0:1], v[2:3]
	v_div_fixup_f64 v[2:3], v[10:11], v[0:1], v[8:9]
	v_mov_b32_e32 v11, s3
	s_delay_alu instid0(VALU_DEP_3) | instskip(SKIP_3) | instid1(VALU_DEP_3)
	v_cmp_nlt_f64_e32 vcc_lo, 1.0, v[6:7]
	v_dual_mov_b32 v13, v12 :: v_dual_and_b32 v4, 1, v4
	v_dual_mov_b32 v10, s2 :: v_dual_mov_b32 v9, s1
	v_mov_b32_e32 v8, s0
	v_cmp_eq_u32_e64 s0, 1, v4
	s_clause 0x7
	scratch_store_b64 off, v[12:13], s32 offset:192
	scratch_store_b128 off, v[8:11], s32 offset:176
	scratch_store_b128 off, v[8:11], s32 offset:160
	scratch_store_b128 off, v[8:11], s32 offset:144
	scratch_store_b128 off, v[8:11], s32 offset:128
	scratch_store_b128 off, v[8:11], s32 offset:112
	scratch_store_b128 off, v[8:11], s32 offset:96
	scratch_store_b128 off, v[8:11], s32 offset:80
	v_mov_b32_e32 v13, 0x3ff00000
	s_clause 0x5
	scratch_store_b128 off, v[8:11], s32 offset:64
	scratch_store_b128 off, v[8:11], s32 offset:48
	scratch_store_b128 off, v[8:11], s32
	scratch_store_b128 off, v[8:11], s32 offset:16
	scratch_store_b128 off, v[8:11], s32 offset:32
	scratch_store_b64 off, v[12:13], s32
                                        ; implicit-def: $vgpr4_vgpr5
	s_and_saveexec_b32 s1, vcc_lo
	s_delay_alu instid0(SALU_CYCLE_1)
	s_xor_b32 s1, exec_lo, s1
	s_cbranch_execz .LBB0_4
; %bb.1:
	v_mov_b32_e32 v4, 0
	v_mov_b32_e32 v5, 0
	s_mov_b32 s4, exec_lo
	v_cmpx_gt_f64_e32 1.0, v[6:7]
	s_cbranch_execz .LBB0_3
; %bb.2:
	v_add_f64 v[4:5], v[2:3], 1.0
	s_mov_b32 s3, 0x3fe55555
	s_mov_b32 s2, 0x55555555
	;; [unrolled: 1-line block ×6, first 2 shown]
	s_delay_alu instid0(VALU_DEP_1) | instskip(SKIP_2) | instid1(VALU_DEP_3)
	v_frexp_mant_f64_e32 v[6:7], v[4:5]
	v_frexp_exp_i32_f64_e32 v10, v[4:5]
	v_add_f64 v[8:9], v[4:5], -1.0
	v_cmp_gt_f64_e32 vcc_lo, s[2:3], v[6:7]
	s_mov_b32 s2, 0x55555780
	s_delay_alu instid0(VALU_DEP_2) | instskip(SKIP_2) | instid1(VALU_DEP_3)
	v_add_f64 v[6:7], v[8:9], -v[4:5]
	v_add_f64 v[8:9], v[2:3], -v[8:9]
	v_subrev_co_ci_u32_e32 v26, vcc_lo, 0, v10, vcc_lo
	v_add_f64 v[6:7], v[6:7], 1.0
	v_cmp_eq_f64_e32 vcc_lo, 0x7ff00000, v[2:3]
	s_delay_alu instid0(VALU_DEP_3) | instskip(NEXT) | instid1(VALU_DEP_1)
	v_sub_nc_u32_e32 v12, 0, v26
	v_ldexp_f64 v[4:5], v[4:5], v12
	s_delay_alu instid0(VALU_DEP_4) | instskip(NEXT) | instid1(VALU_DEP_2)
	v_add_f64 v[6:7], v[8:9], v[6:7]
	v_add_f64 v[10:11], v[4:5], 1.0
	v_add_f64 v[16:17], v[4:5], -1.0
	s_delay_alu instid0(VALU_DEP_3) | instskip(NEXT) | instid1(VALU_DEP_3)
	v_ldexp_f64 v[6:7], v[6:7], v12
	v_add_f64 v[8:9], v[10:11], -1.0
	s_delay_alu instid0(VALU_DEP_3) | instskip(NEXT) | instid1(VALU_DEP_2)
	v_add_f64 v[18:19], v[16:17], 1.0
	v_add_f64 v[8:9], v[4:5], -v[8:9]
	s_delay_alu instid0(VALU_DEP_2) | instskip(NEXT) | instid1(VALU_DEP_2)
	v_add_f64 v[4:5], v[4:5], -v[18:19]
	v_add_f64 v[8:9], v[6:7], v[8:9]
	s_delay_alu instid0(VALU_DEP_2) | instskip(NEXT) | instid1(VALU_DEP_2)
	v_add_f64 v[4:5], v[6:7], v[4:5]
	v_add_f64 v[12:13], v[10:11], v[8:9]
	s_delay_alu instid0(VALU_DEP_2) | instskip(NEXT) | instid1(VALU_DEP_2)
	v_add_f64 v[18:19], v[16:17], v[4:5]
	v_rcp_f64_e32 v[14:15], v[12:13]
	v_add_f64 v[10:11], v[12:13], -v[10:11]
	s_delay_alu instid0(VALU_DEP_2) | instskip(NEXT) | instid1(VALU_DEP_2)
	v_add_f64 v[16:17], v[18:19], -v[16:17]
	v_add_f64 v[8:9], v[8:9], -v[10:11]
	s_waitcnt_depctr 0xfff
	v_fma_f64 v[20:21], -v[12:13], v[14:15], 1.0
	v_add_f64 v[4:5], v[4:5], -v[16:17]
	s_delay_alu instid0(VALU_DEP_2) | instskip(NEXT) | instid1(VALU_DEP_1)
	v_fma_f64 v[14:15], v[20:21], v[14:15], v[14:15]
	v_fma_f64 v[6:7], -v[12:13], v[14:15], 1.0
	s_delay_alu instid0(VALU_DEP_1) | instskip(NEXT) | instid1(VALU_DEP_1)
	v_fma_f64 v[6:7], v[6:7], v[14:15], v[14:15]
	v_mul_f64 v[14:15], v[18:19], v[6:7]
	s_delay_alu instid0(VALU_DEP_1) | instskip(NEXT) | instid1(VALU_DEP_1)
	v_mul_f64 v[20:21], v[12:13], v[14:15]
	v_fma_f64 v[10:11], v[14:15], v[12:13], -v[20:21]
	s_delay_alu instid0(VALU_DEP_1) | instskip(NEXT) | instid1(VALU_DEP_1)
	v_fma_f64 v[10:11], v[14:15], v[8:9], v[10:11]
	v_add_f64 v[22:23], v[20:21], v[10:11]
	s_delay_alu instid0(VALU_DEP_1) | instskip(SKIP_1) | instid1(VALU_DEP_2)
	v_add_f64 v[24:25], v[18:19], -v[22:23]
	v_add_f64 v[16:17], v[22:23], -v[20:21]
	;; [unrolled: 1-line block ×3, first 2 shown]
	s_delay_alu instid0(VALU_DEP_2) | instskip(NEXT) | instid1(VALU_DEP_2)
	v_add_f64 v[10:11], v[16:17], -v[10:11]
	v_add_f64 v[18:19], v[18:19], -v[22:23]
	s_delay_alu instid0(VALU_DEP_1) | instskip(NEXT) | instid1(VALU_DEP_1)
	v_add_f64 v[4:5], v[4:5], v[18:19]
	v_add_f64 v[4:5], v[10:11], v[4:5]
	s_delay_alu instid0(VALU_DEP_1) | instskip(NEXT) | instid1(VALU_DEP_1)
	v_add_f64 v[10:11], v[24:25], v[4:5]
	v_mul_f64 v[16:17], v[6:7], v[10:11]
	v_add_f64 v[22:23], v[24:25], -v[10:11]
	s_delay_alu instid0(VALU_DEP_2) | instskip(NEXT) | instid1(VALU_DEP_2)
	v_mul_f64 v[18:19], v[12:13], v[16:17]
	v_add_f64 v[4:5], v[4:5], v[22:23]
	s_delay_alu instid0(VALU_DEP_2) | instskip(NEXT) | instid1(VALU_DEP_1)
	v_fma_f64 v[12:13], v[16:17], v[12:13], -v[18:19]
	v_fma_f64 v[8:9], v[16:17], v[8:9], v[12:13]
	s_delay_alu instid0(VALU_DEP_1) | instskip(NEXT) | instid1(VALU_DEP_1)
	v_add_f64 v[12:13], v[18:19], v[8:9]
	v_add_f64 v[20:21], v[10:11], -v[12:13]
	v_add_f64 v[18:19], v[12:13], -v[18:19]
	s_delay_alu instid0(VALU_DEP_2) | instskip(NEXT) | instid1(VALU_DEP_2)
	v_add_f64 v[10:11], v[10:11], -v[20:21]
	v_add_f64 v[8:9], v[18:19], -v[8:9]
	s_delay_alu instid0(VALU_DEP_2) | instskip(NEXT) | instid1(VALU_DEP_1)
	v_add_f64 v[10:11], v[10:11], -v[12:13]
	v_add_f64 v[4:5], v[4:5], v[10:11]
	v_add_f64 v[10:11], v[14:15], v[16:17]
	s_delay_alu instid0(VALU_DEP_2) | instskip(NEXT) | instid1(VALU_DEP_2)
	v_add_f64 v[4:5], v[8:9], v[4:5]
	v_add_f64 v[8:9], v[10:11], -v[14:15]
	s_delay_alu instid0(VALU_DEP_2) | instskip(NEXT) | instid1(VALU_DEP_2)
	v_add_f64 v[4:5], v[20:21], v[4:5]
	v_add_f64 v[8:9], v[16:17], -v[8:9]
	s_delay_alu instid0(VALU_DEP_2) | instskip(NEXT) | instid1(VALU_DEP_1)
	v_mul_f64 v[4:5], v[6:7], v[4:5]
	v_add_f64 v[4:5], v[8:9], v[4:5]
	s_delay_alu instid0(VALU_DEP_1) | instskip(NEXT) | instid1(VALU_DEP_1)
	v_add_f64 v[6:7], v[10:11], v[4:5]
	v_mul_f64 v[8:9], v[6:7], v[6:7]
	s_delay_alu instid0(VALU_DEP_1) | instskip(SKIP_3) | instid1(VALU_DEP_2)
	v_fma_f64 v[12:13], v[8:9], s[8:9], s[6:7]
	s_mov_b32 s6, 0xd7f4df2e
	s_mov_b32 s7, 0x3fc7474d
	v_mul_f64 v[14:15], v[6:7], v[8:9]
	v_fma_f64 v[12:13], v[8:9], v[12:13], s[6:7]
	s_mov_b32 s6, 0x16291751
	s_mov_b32 s7, 0x3fcc71c0
	s_delay_alu instid0(VALU_DEP_1) | instid1(SALU_CYCLE_1)
	v_fma_f64 v[12:13], v[8:9], v[12:13], s[6:7]
	s_mov_b32 s6, 0x9b27acf1
	s_mov_b32 s7, 0x3fd24924
	s_delay_alu instid0(VALU_DEP_1) | instid1(SALU_CYCLE_1)
	;; [unrolled: 4-line block ×3, first 2 shown]
	v_fma_f64 v[12:13], v[8:9], v[12:13], s[6:7]
	s_delay_alu instid0(VALU_DEP_1) | instskip(SKIP_4) | instid1(VALU_DEP_3)
	v_fma_f64 v[8:9], v[8:9], v[12:13], s[2:3]
	v_ldexp_f64 v[12:13], v[6:7], 1
	v_add_f64 v[6:7], v[6:7], -v[10:11]
	s_mov_b32 s2, 0xfefa39ef
	s_mov_b32 s3, 0x3fe62e42
	v_mul_f64 v[8:9], v[14:15], v[8:9]
	v_cvt_f64_i32_e32 v[14:15], v26
	s_delay_alu instid0(VALU_DEP_3) | instskip(NEXT) | instid1(VALU_DEP_3)
	v_add_f64 v[4:5], v[4:5], -v[6:7]
	v_add_f64 v[10:11], v[12:13], v[8:9]
	s_delay_alu instid0(VALU_DEP_3) | instskip(NEXT) | instid1(VALU_DEP_3)
	v_mul_f64 v[16:17], v[14:15], s[2:3]
	v_ldexp_f64 v[4:5], v[4:5], 1
	s_delay_alu instid0(VALU_DEP_3) | instskip(NEXT) | instid1(VALU_DEP_3)
	v_add_f64 v[6:7], v[10:11], -v[12:13]
	v_fma_f64 v[12:13], v[14:15], s[2:3], -v[16:17]
	s_mov_b32 s2, 0x3b39803f
	s_mov_b32 s3, 0x3c7abc9e
	s_delay_alu instid0(VALU_DEP_2) | instskip(NEXT) | instid1(VALU_DEP_2)
	v_add_f64 v[6:7], v[8:9], -v[6:7]
	v_fma_f64 v[8:9], v[14:15], s[2:3], v[12:13]
	s_delay_alu instid0(VALU_DEP_2) | instskip(NEXT) | instid1(VALU_DEP_2)
	v_add_f64 v[4:5], v[4:5], v[6:7]
	v_add_f64 v[6:7], v[16:17], v[8:9]
	s_delay_alu instid0(VALU_DEP_2) | instskip(NEXT) | instid1(VALU_DEP_2)
	v_add_f64 v[12:13], v[10:11], v[4:5]
	v_add_f64 v[16:17], v[6:7], -v[16:17]
	s_delay_alu instid0(VALU_DEP_2) | instskip(SKIP_1) | instid1(VALU_DEP_3)
	v_add_f64 v[14:15], v[6:7], v[12:13]
	v_add_f64 v[10:11], v[12:13], -v[10:11]
	v_add_f64 v[8:9], v[8:9], -v[16:17]
	s_delay_alu instid0(VALU_DEP_3) | instskip(NEXT) | instid1(VALU_DEP_3)
	v_add_f64 v[18:19], v[14:15], -v[6:7]
	v_add_f64 v[4:5], v[4:5], -v[10:11]
	s_delay_alu instid0(VALU_DEP_2) | instskip(SKIP_1) | instid1(VALU_DEP_3)
	v_add_f64 v[20:21], v[14:15], -v[18:19]
	v_add_f64 v[10:11], v[12:13], -v[18:19]
	v_add_f64 v[12:13], v[8:9], v[4:5]
	s_delay_alu instid0(VALU_DEP_3) | instskip(NEXT) | instid1(VALU_DEP_1)
	v_add_f64 v[6:7], v[6:7], -v[20:21]
	v_add_f64 v[6:7], v[10:11], v[6:7]
	s_delay_alu instid0(VALU_DEP_3) | instskip(NEXT) | instid1(VALU_DEP_2)
	v_add_f64 v[10:11], v[12:13], -v[8:9]
	v_add_f64 v[6:7], v[12:13], v[6:7]
	s_delay_alu instid0(VALU_DEP_2) | instskip(SKIP_1) | instid1(VALU_DEP_3)
	v_add_f64 v[12:13], v[12:13], -v[10:11]
	v_add_f64 v[4:5], v[4:5], -v[10:11]
	v_add_f64 v[16:17], v[14:15], v[6:7]
	s_delay_alu instid0(VALU_DEP_3) | instskip(NEXT) | instid1(VALU_DEP_2)
	v_add_f64 v[8:9], v[8:9], -v[12:13]
	v_add_f64 v[10:11], v[16:17], -v[14:15]
	s_delay_alu instid0(VALU_DEP_2) | instskip(NEXT) | instid1(VALU_DEP_2)
	v_add_f64 v[4:5], v[4:5], v[8:9]
	v_add_f64 v[6:7], v[6:7], -v[10:11]
	s_delay_alu instid0(VALU_DEP_1) | instskip(NEXT) | instid1(VALU_DEP_1)
	v_add_f64 v[4:5], v[4:5], v[6:7]
	v_add_f64 v[4:5], v[16:17], v[4:5]
	s_delay_alu instid0(VALU_DEP_1) | instskip(SKIP_1) | instid1(VALU_DEP_2)
	v_dual_cndmask_b32 v4, v4, v2 :: v_dual_cndmask_b32 v5, v5, v3
	v_cmp_ngt_f64_e32 vcc_lo, -1.0, v[2:3]
	v_cndmask_b32_e32 v5, 0x7ff80000, v5, vcc_lo
	v_cmp_nge_f64_e32 vcc_lo, -1.0, v[2:3]
	s_delay_alu instid0(VALU_DEP_4) | instskip(SKIP_1) | instid1(VALU_DEP_4)
	v_cndmask_b32_e32 v4, 0, v4, vcc_lo
	v_cmp_neq_f64_e32 vcc_lo, -1.0, v[2:3]
	v_cndmask_b32_e32 v5, 0xfff00000, v5, vcc_lo
	s_delay_alu instid0(VALU_DEP_1) | instskip(NEXT) | instid1(VALU_DEP_1)
	v_add_f64 v[2:3], v[4:5], -v[2:3]
	v_mul_f64 v[2:3], v[2:3], -2.0
	s_delay_alu instid0(VALU_DEP_1) | instskip(SKIP_1) | instid1(VALU_DEP_1)
	v_cmp_gt_f64_e32 vcc_lo, 0x10000000, v[2:3]
	v_cndmask_b32_e64 v4, 0, 1, vcc_lo
	v_lshlrev_b32_e32 v4, 8, v4
	s_delay_alu instid0(VALU_DEP_1) | instskip(NEXT) | instid1(VALU_DEP_1)
	v_ldexp_f64 v[2:3], v[2:3], v4
	v_rsq_f64_e32 v[4:5], v[2:3]
	s_waitcnt_depctr 0xfff
	v_mul_f64 v[6:7], v[2:3], v[4:5]
	v_mul_f64 v[4:5], v[4:5], 0.5
	s_delay_alu instid0(VALU_DEP_1) | instskip(NEXT) | instid1(VALU_DEP_1)
	v_fma_f64 v[8:9], -v[4:5], v[6:7], 0.5
	v_fma_f64 v[6:7], v[6:7], v[8:9], v[6:7]
	v_fma_f64 v[4:5], v[4:5], v[8:9], v[4:5]
	s_delay_alu instid0(VALU_DEP_2) | instskip(NEXT) | instid1(VALU_DEP_1)
	v_fma_f64 v[8:9], -v[6:7], v[6:7], v[2:3]
	v_fma_f64 v[6:7], v[8:9], v[4:5], v[6:7]
	s_delay_alu instid0(VALU_DEP_1) | instskip(NEXT) | instid1(VALU_DEP_1)
	v_fma_f64 v[8:9], -v[6:7], v[6:7], v[2:3]
	v_fma_f64 v[4:5], v[8:9], v[4:5], v[6:7]
	v_cndmask_b32_e64 v6, 0, 0xffffff80, vcc_lo
	v_cmp_class_f64_e64 vcc_lo, v[2:3], 0x260
	s_delay_alu instid0(VALU_DEP_2) | instskip(NEXT) | instid1(VALU_DEP_1)
	v_ldexp_f64 v[4:5], v[4:5], v6
	v_cndmask_b32_e32 v4, v4, v2, vcc_lo
	s_delay_alu instid0(VALU_DEP_2)
	v_cndmask_b32_e64 v5, -v5, -v3, vcc_lo
.LBB0_3:
	s_or_b32 exec_lo, exec_lo, s4
                                        ; implicit-def: $vgpr2_vgpr3
.LBB0_4:
	s_and_not1_saveexec_b32 s1, s1
	s_cbranch_execz .LBB0_6
; %bb.5:
	v_add_f64 v[4:5], v[2:3], 1.0
	s_mov_b32 s3, 0x3fe55555
	s_mov_b32 s2, 0x55555555
	;; [unrolled: 1-line block ×6, first 2 shown]
	s_delay_alu instid0(VALU_DEP_1) | instskip(SKIP_2) | instid1(VALU_DEP_3)
	v_frexp_mant_f64_e32 v[6:7], v[4:5]
	v_frexp_exp_i32_f64_e32 v10, v[4:5]
	v_add_f64 v[8:9], v[4:5], -1.0
	v_cmp_gt_f64_e32 vcc_lo, s[2:3], v[6:7]
	s_mov_b32 s2, 0x55555780
	s_delay_alu instid0(VALU_DEP_2) | instskip(SKIP_2) | instid1(VALU_DEP_3)
	v_add_f64 v[6:7], v[8:9], -v[4:5]
	v_add_f64 v[8:9], v[2:3], -v[8:9]
	v_subrev_co_ci_u32_e32 v26, vcc_lo, 0, v10, vcc_lo
	v_add_f64 v[6:7], v[6:7], 1.0
	v_cmp_eq_f64_e32 vcc_lo, 0x7ff00000, v[2:3]
	s_delay_alu instid0(VALU_DEP_3) | instskip(NEXT) | instid1(VALU_DEP_1)
	v_sub_nc_u32_e32 v12, 0, v26
	v_ldexp_f64 v[4:5], v[4:5], v12
	s_delay_alu instid0(VALU_DEP_4) | instskip(NEXT) | instid1(VALU_DEP_2)
	v_add_f64 v[6:7], v[8:9], v[6:7]
	v_add_f64 v[10:11], v[4:5], 1.0
	v_add_f64 v[16:17], v[4:5], -1.0
	s_delay_alu instid0(VALU_DEP_3) | instskip(NEXT) | instid1(VALU_DEP_3)
	v_ldexp_f64 v[6:7], v[6:7], v12
	v_add_f64 v[8:9], v[10:11], -1.0
	s_delay_alu instid0(VALU_DEP_3) | instskip(NEXT) | instid1(VALU_DEP_2)
	v_add_f64 v[18:19], v[16:17], 1.0
	v_add_f64 v[8:9], v[4:5], -v[8:9]
	s_delay_alu instid0(VALU_DEP_2) | instskip(NEXT) | instid1(VALU_DEP_2)
	v_add_f64 v[4:5], v[4:5], -v[18:19]
	v_add_f64 v[8:9], v[6:7], v[8:9]
	s_delay_alu instid0(VALU_DEP_2) | instskip(NEXT) | instid1(VALU_DEP_2)
	v_add_f64 v[4:5], v[6:7], v[4:5]
	v_add_f64 v[12:13], v[10:11], v[8:9]
	s_delay_alu instid0(VALU_DEP_2) | instskip(NEXT) | instid1(VALU_DEP_2)
	v_add_f64 v[18:19], v[16:17], v[4:5]
	v_rcp_f64_e32 v[14:15], v[12:13]
	v_add_f64 v[10:11], v[12:13], -v[10:11]
	s_delay_alu instid0(VALU_DEP_2) | instskip(NEXT) | instid1(VALU_DEP_2)
	v_add_f64 v[16:17], v[18:19], -v[16:17]
	v_add_f64 v[8:9], v[8:9], -v[10:11]
	s_waitcnt_depctr 0xfff
	v_fma_f64 v[20:21], -v[12:13], v[14:15], 1.0
	v_add_f64 v[4:5], v[4:5], -v[16:17]
	s_delay_alu instid0(VALU_DEP_2) | instskip(NEXT) | instid1(VALU_DEP_1)
	v_fma_f64 v[14:15], v[20:21], v[14:15], v[14:15]
	v_fma_f64 v[6:7], -v[12:13], v[14:15], 1.0
	s_delay_alu instid0(VALU_DEP_1) | instskip(NEXT) | instid1(VALU_DEP_1)
	v_fma_f64 v[6:7], v[6:7], v[14:15], v[14:15]
	v_mul_f64 v[14:15], v[18:19], v[6:7]
	s_delay_alu instid0(VALU_DEP_1) | instskip(NEXT) | instid1(VALU_DEP_1)
	v_mul_f64 v[20:21], v[12:13], v[14:15]
	v_fma_f64 v[10:11], v[14:15], v[12:13], -v[20:21]
	s_delay_alu instid0(VALU_DEP_1) | instskip(NEXT) | instid1(VALU_DEP_1)
	v_fma_f64 v[10:11], v[14:15], v[8:9], v[10:11]
	v_add_f64 v[22:23], v[20:21], v[10:11]
	s_delay_alu instid0(VALU_DEP_1) | instskip(SKIP_1) | instid1(VALU_DEP_2)
	v_add_f64 v[24:25], v[18:19], -v[22:23]
	v_add_f64 v[16:17], v[22:23], -v[20:21]
	;; [unrolled: 1-line block ×3, first 2 shown]
	s_delay_alu instid0(VALU_DEP_2) | instskip(NEXT) | instid1(VALU_DEP_2)
	v_add_f64 v[10:11], v[16:17], -v[10:11]
	v_add_f64 v[18:19], v[18:19], -v[22:23]
	s_delay_alu instid0(VALU_DEP_1) | instskip(NEXT) | instid1(VALU_DEP_1)
	v_add_f64 v[4:5], v[4:5], v[18:19]
	v_add_f64 v[4:5], v[10:11], v[4:5]
	s_delay_alu instid0(VALU_DEP_1) | instskip(NEXT) | instid1(VALU_DEP_1)
	v_add_f64 v[10:11], v[24:25], v[4:5]
	v_mul_f64 v[16:17], v[6:7], v[10:11]
	v_add_f64 v[22:23], v[24:25], -v[10:11]
	s_delay_alu instid0(VALU_DEP_2) | instskip(NEXT) | instid1(VALU_DEP_2)
	v_mul_f64 v[18:19], v[12:13], v[16:17]
	v_add_f64 v[4:5], v[4:5], v[22:23]
	s_delay_alu instid0(VALU_DEP_2) | instskip(NEXT) | instid1(VALU_DEP_1)
	v_fma_f64 v[12:13], v[16:17], v[12:13], -v[18:19]
	v_fma_f64 v[8:9], v[16:17], v[8:9], v[12:13]
	s_delay_alu instid0(VALU_DEP_1) | instskip(NEXT) | instid1(VALU_DEP_1)
	v_add_f64 v[12:13], v[18:19], v[8:9]
	v_add_f64 v[20:21], v[10:11], -v[12:13]
	v_add_f64 v[18:19], v[12:13], -v[18:19]
	s_delay_alu instid0(VALU_DEP_2) | instskip(NEXT) | instid1(VALU_DEP_2)
	v_add_f64 v[10:11], v[10:11], -v[20:21]
	v_add_f64 v[8:9], v[18:19], -v[8:9]
	s_delay_alu instid0(VALU_DEP_2) | instskip(NEXT) | instid1(VALU_DEP_1)
	v_add_f64 v[10:11], v[10:11], -v[12:13]
	v_add_f64 v[4:5], v[4:5], v[10:11]
	v_add_f64 v[10:11], v[14:15], v[16:17]
	s_delay_alu instid0(VALU_DEP_2) | instskip(NEXT) | instid1(VALU_DEP_2)
	v_add_f64 v[4:5], v[8:9], v[4:5]
	v_add_f64 v[8:9], v[10:11], -v[14:15]
	s_delay_alu instid0(VALU_DEP_2) | instskip(NEXT) | instid1(VALU_DEP_2)
	v_add_f64 v[4:5], v[20:21], v[4:5]
	v_add_f64 v[8:9], v[16:17], -v[8:9]
	s_delay_alu instid0(VALU_DEP_2) | instskip(NEXT) | instid1(VALU_DEP_1)
	v_mul_f64 v[4:5], v[6:7], v[4:5]
	v_add_f64 v[4:5], v[8:9], v[4:5]
	s_delay_alu instid0(VALU_DEP_1) | instskip(NEXT) | instid1(VALU_DEP_1)
	v_add_f64 v[6:7], v[10:11], v[4:5]
	v_mul_f64 v[8:9], v[6:7], v[6:7]
	s_delay_alu instid0(VALU_DEP_1) | instskip(SKIP_3) | instid1(VALU_DEP_2)
	v_fma_f64 v[12:13], v[8:9], s[6:7], s[4:5]
	s_mov_b32 s4, 0xd7f4df2e
	s_mov_b32 s5, 0x3fc7474d
	v_mul_f64 v[14:15], v[6:7], v[8:9]
	v_fma_f64 v[12:13], v[8:9], v[12:13], s[4:5]
	s_mov_b32 s4, 0x16291751
	s_mov_b32 s5, 0x3fcc71c0
	s_delay_alu instid0(VALU_DEP_1) | instid1(SALU_CYCLE_1)
	v_fma_f64 v[12:13], v[8:9], v[12:13], s[4:5]
	s_mov_b32 s4, 0x9b27acf1
	s_mov_b32 s5, 0x3fd24924
	s_delay_alu instid0(VALU_DEP_1) | instid1(SALU_CYCLE_1)
	;; [unrolled: 4-line block ×3, first 2 shown]
	v_fma_f64 v[12:13], v[8:9], v[12:13], s[4:5]
	s_delay_alu instid0(VALU_DEP_1) | instskip(SKIP_4) | instid1(VALU_DEP_3)
	v_fma_f64 v[8:9], v[8:9], v[12:13], s[2:3]
	v_ldexp_f64 v[12:13], v[6:7], 1
	v_add_f64 v[6:7], v[6:7], -v[10:11]
	s_mov_b32 s2, 0xfefa39ef
	s_mov_b32 s3, 0x3fe62e42
	v_mul_f64 v[8:9], v[14:15], v[8:9]
	v_cvt_f64_i32_e32 v[14:15], v26
	s_delay_alu instid0(VALU_DEP_3) | instskip(NEXT) | instid1(VALU_DEP_3)
	v_add_f64 v[4:5], v[4:5], -v[6:7]
	v_add_f64 v[10:11], v[12:13], v[8:9]
	s_delay_alu instid0(VALU_DEP_3) | instskip(NEXT) | instid1(VALU_DEP_3)
	v_mul_f64 v[16:17], v[14:15], s[2:3]
	v_ldexp_f64 v[4:5], v[4:5], 1
	s_delay_alu instid0(VALU_DEP_3) | instskip(NEXT) | instid1(VALU_DEP_3)
	v_add_f64 v[6:7], v[10:11], -v[12:13]
	v_fma_f64 v[12:13], v[14:15], s[2:3], -v[16:17]
	s_mov_b32 s2, 0x3b39803f
	s_mov_b32 s3, 0x3c7abc9e
	s_delay_alu instid0(VALU_DEP_2) | instskip(NEXT) | instid1(VALU_DEP_2)
	v_add_f64 v[6:7], v[8:9], -v[6:7]
	v_fma_f64 v[8:9], v[14:15], s[2:3], v[12:13]
	s_delay_alu instid0(VALU_DEP_2) | instskip(NEXT) | instid1(VALU_DEP_2)
	v_add_f64 v[4:5], v[4:5], v[6:7]
	v_add_f64 v[6:7], v[16:17], v[8:9]
	s_delay_alu instid0(VALU_DEP_2) | instskip(NEXT) | instid1(VALU_DEP_2)
	v_add_f64 v[12:13], v[10:11], v[4:5]
	v_add_f64 v[16:17], v[6:7], -v[16:17]
	s_delay_alu instid0(VALU_DEP_2) | instskip(SKIP_1) | instid1(VALU_DEP_3)
	v_add_f64 v[14:15], v[6:7], v[12:13]
	v_add_f64 v[10:11], v[12:13], -v[10:11]
	v_add_f64 v[8:9], v[8:9], -v[16:17]
	s_delay_alu instid0(VALU_DEP_3) | instskip(NEXT) | instid1(VALU_DEP_3)
	v_add_f64 v[18:19], v[14:15], -v[6:7]
	v_add_f64 v[4:5], v[4:5], -v[10:11]
	s_delay_alu instid0(VALU_DEP_2) | instskip(SKIP_1) | instid1(VALU_DEP_3)
	v_add_f64 v[20:21], v[14:15], -v[18:19]
	v_add_f64 v[10:11], v[12:13], -v[18:19]
	v_add_f64 v[12:13], v[8:9], v[4:5]
	s_delay_alu instid0(VALU_DEP_3) | instskip(NEXT) | instid1(VALU_DEP_1)
	v_add_f64 v[6:7], v[6:7], -v[20:21]
	v_add_f64 v[6:7], v[10:11], v[6:7]
	s_delay_alu instid0(VALU_DEP_3) | instskip(NEXT) | instid1(VALU_DEP_2)
	v_add_f64 v[10:11], v[12:13], -v[8:9]
	v_add_f64 v[6:7], v[12:13], v[6:7]
	s_delay_alu instid0(VALU_DEP_2) | instskip(SKIP_1) | instid1(VALU_DEP_3)
	v_add_f64 v[12:13], v[12:13], -v[10:11]
	v_add_f64 v[4:5], v[4:5], -v[10:11]
	v_add_f64 v[16:17], v[14:15], v[6:7]
	s_delay_alu instid0(VALU_DEP_3) | instskip(NEXT) | instid1(VALU_DEP_2)
	v_add_f64 v[8:9], v[8:9], -v[12:13]
	v_add_f64 v[10:11], v[16:17], -v[14:15]
	s_delay_alu instid0(VALU_DEP_2) | instskip(NEXT) | instid1(VALU_DEP_2)
	v_add_f64 v[4:5], v[4:5], v[8:9]
	v_add_f64 v[6:7], v[6:7], -v[10:11]
	s_delay_alu instid0(VALU_DEP_1) | instskip(NEXT) | instid1(VALU_DEP_1)
	v_add_f64 v[4:5], v[4:5], v[6:7]
	v_add_f64 v[4:5], v[16:17], v[4:5]
	s_delay_alu instid0(VALU_DEP_1) | instskip(SKIP_1) | instid1(VALU_DEP_2)
	v_dual_cndmask_b32 v4, v4, v2 :: v_dual_cndmask_b32 v5, v5, v3
	v_cmp_ngt_f64_e32 vcc_lo, -1.0, v[2:3]
	v_cndmask_b32_e32 v5, 0x7ff80000, v5, vcc_lo
	v_cmp_nge_f64_e32 vcc_lo, -1.0, v[2:3]
	s_delay_alu instid0(VALU_DEP_4) | instskip(SKIP_1) | instid1(VALU_DEP_4)
	v_cndmask_b32_e32 v4, 0, v4, vcc_lo
	v_cmp_neq_f64_e32 vcc_lo, -1.0, v[2:3]
	v_cndmask_b32_e32 v5, 0xfff00000, v5, vcc_lo
	s_delay_alu instid0(VALU_DEP_1) | instskip(NEXT) | instid1(VALU_DEP_1)
	v_add_f64 v[2:3], v[4:5], -v[2:3]
	v_mul_f64 v[2:3], v[2:3], -2.0
	s_delay_alu instid0(VALU_DEP_1) | instskip(SKIP_1) | instid1(VALU_DEP_1)
	v_cmp_gt_f64_e32 vcc_lo, 0x10000000, v[2:3]
	v_cndmask_b32_e64 v4, 0, 1, vcc_lo
	v_lshlrev_b32_e32 v4, 8, v4
	s_delay_alu instid0(VALU_DEP_1) | instskip(NEXT) | instid1(VALU_DEP_1)
	v_ldexp_f64 v[2:3], v[2:3], v4
	v_rsq_f64_e32 v[4:5], v[2:3]
	s_waitcnt_depctr 0xfff
	v_mul_f64 v[6:7], v[2:3], v[4:5]
	v_mul_f64 v[4:5], v[4:5], 0.5
	s_delay_alu instid0(VALU_DEP_1) | instskip(NEXT) | instid1(VALU_DEP_1)
	v_fma_f64 v[8:9], -v[4:5], v[6:7], 0.5
	v_fma_f64 v[6:7], v[6:7], v[8:9], v[6:7]
	v_fma_f64 v[4:5], v[4:5], v[8:9], v[4:5]
	s_delay_alu instid0(VALU_DEP_2) | instskip(NEXT) | instid1(VALU_DEP_1)
	v_fma_f64 v[8:9], -v[6:7], v[6:7], v[2:3]
	v_fma_f64 v[6:7], v[8:9], v[4:5], v[6:7]
	s_delay_alu instid0(VALU_DEP_1) | instskip(NEXT) | instid1(VALU_DEP_1)
	v_fma_f64 v[8:9], -v[6:7], v[6:7], v[2:3]
	v_fma_f64 v[4:5], v[8:9], v[4:5], v[6:7]
	v_cndmask_b32_e64 v6, 0, 0xffffff80, vcc_lo
	v_cmp_class_f64_e64 vcc_lo, v[2:3], 0x260
	s_delay_alu instid0(VALU_DEP_2) | instskip(NEXT) | instid1(VALU_DEP_1)
	v_ldexp_f64 v[4:5], v[4:5], v6
	v_dual_cndmask_b32 v5, v5, v3 :: v_dual_cndmask_b32 v4, v4, v2
.LBB0_6:
	s_or_b32 exec_lo, exec_lo, s1
	v_mov_b32_e32 v6, 0
	v_dual_mov_b32 v7, 0x3ff00000 :: v_dual_mov_b32 v2, 0
	v_dual_mov_b32 v8, 0 :: v_dual_mov_b32 v15, 0
	v_or_b32_e64 v14, 8, s32
	v_mov_b32_e32 v3, 0
	v_mov_b32_e32 v9, 0x7ff00000
	s_mov_b32 s1, 0
	s_mov_b32 s6, 0
	s_getpc_b64 s[2:3]
	s_add_u32 s2, s2, __const._ZN12_GLOBAL__N_130_igam_helper_asymptotic_seriesIdEET_S1_S1_b.d@rel32@lo+12
	s_addc_u32 s3, s3, __const._ZN12_GLOBAL__N_130_igam_helper_asymptotic_seriesIdEET_S1_S1_b.d@rel32@hi+20
	s_branch .LBB0_9
.LBB0_7:                                ;   in Loop: Header=BB0_9 Depth=1
	s_or_b32 exec_lo, exec_lo, s5
	s_delay_alu instid0(SALU_CYCLE_1)
	s_or_not1_b32 s5, s7, exec_lo
.LBB0_8:                                ;   in Loop: Header=BB0_9 Depth=1
	s_or_b32 exec_lo, exec_lo, s4
	s_delay_alu instid0(SALU_CYCLE_1) | instskip(NEXT) | instid1(SALU_CYCLE_1)
	s_and_b32 s4, exec_lo, s5
	s_or_b32 s1, s4, s1
	s_delay_alu instid0(SALU_CYCLE_1)
	s_and_not1_b32 exec_lo, exec_lo, s1
	s_cbranch_execz .LBB0_18
.LBB0_9:                                ; =>This Loop Header: Depth=1
                                        ;     Child Loop BB0_11 Depth 2
	s_mul_i32 s7, s6, 0xc8
	s_getpc_b64 s[4:5]
	s_add_u32 s4, s4, __const._ZN12_GLOBAL__N_130_igam_helper_asymptotic_seriesIdEET_S1_S1_b.d@rel32@lo+4
	s_addc_u32 s5, s5, __const._ZN12_GLOBAL__N_130_igam_helper_asymptotic_seriesIdEET_S1_S1_b.d@rel32@hi+12
	s_mul_hi_u32 s8, s6, 0xc8
	s_add_u32 s4, s7, s4
	s_addc_u32 s5, s8, s5
	v_mov_b32_e32 v16, v14
	s_load_b64 s[4:5], s[4:5], 0x0
	s_mov_b32 s7, 0
	s_mov_b32 s8, 1
	s_waitcnt lgkmcnt(0)
	v_dual_mov_b32 v11, s5 :: v_dual_mov_b32 v10, s4
	s_mov_b64 s[4:5], s[2:3]
	s_set_inst_prefetch_distance 0x1
	s_branch .LBB0_11
	.p2align	6
.LBB0_10:                               ;   in Loop: Header=BB0_11 Depth=2
	s_or_b32 exec_lo, exec_lo, s9
	s_load_b64 s[10:11], s[4:5], 0x0
	v_add_nc_u32_e32 v16, 8, v16
	s_waitcnt vmcnt(0) lgkmcnt(0)
	v_fma_f64 v[10:11], s[10:11], v[12:13], v[10:11]
	v_mul_f64 v[12:13], s[10:11], v[12:13]
	s_add_i32 s10, s8, 1
	s_cmp_gt_u32 s8, 23
	s_cselect_b32 s8, -1, 0
	s_delay_alu instid0(VALU_DEP_2) | instskip(NEXT) | instid1(VALU_DEP_1)
	v_ldexp_f64 v[17:18], |v[10:11]|, 0xffffffcb
	v_cmp_lt_f64_e64 s9, |v[12:13]|, v[17:18]
	s_delay_alu instid0(VALU_DEP_1) | instskip(SKIP_3) | instid1(SALU_CYCLE_1)
	s_or_b32 s8, s9, s8
	s_add_u32 s4, s4, 8
	s_addc_u32 s5, s5, 0
	s_and_b32 s8, exec_lo, s8
	s_or_b32 s7, s8, s7
	s_mov_b32 s8, s10
	s_and_not1_b32 exec_lo, exec_lo, s7
	s_cbranch_execz .LBB0_15
.LBB0_11:                               ;   Parent Loop BB0_9 Depth=1
                                        ; =>  This Inner Loop Header: Depth=2
	s_mov_b32 s9, exec_lo
                                        ; implicit-def: $vgpr12_vgpr13
	v_cmpx_le_i32_e64 s8, v15
	s_xor_b32 s9, exec_lo, s9
	s_cbranch_execz .LBB0_13
; %bb.12:                               ;   in Loop: Header=BB0_11 Depth=2
	scratch_load_b64 v[12:13], v16, off
.LBB0_13:                               ;   in Loop: Header=BB0_11 Depth=2
	s_and_not1_saveexec_b32 s9, s9
	s_cbranch_execz .LBB0_10
; %bb.14:                               ;   in Loop: Header=BB0_11 Depth=2
	scratch_load_b64 v[12:13], v16, off offset:-8
	v_add_nc_u32_e32 v15, 1, v15
	s_waitcnt vmcnt(0)
	v_mul_f64 v[12:13], v[4:5], v[12:13]
	scratch_store_b64 v16, v[12:13], off
	s_branch .LBB0_10
.LBB0_15:                               ;   in Loop: Header=BB0_9 Depth=1
	s_set_inst_prefetch_distance 0x2
	s_or_b32 exec_lo, exec_lo, s7
	v_mul_f64 v[10:11], v[6:7], v[10:11]
	s_mov_b32 s5, -1
	s_delay_alu instid0(VALU_DEP_1) | instskip(NEXT) | instid1(VALU_DEP_1)
	v_cmp_ngt_f64_e64 s7, |v[10:11]|, v[8:9]
                                        ; implicit-def: $vgpr8_vgpr9
	s_and_saveexec_b32 s4, s7
	s_cbranch_execz .LBB0_8
; %bb.16:                               ;   in Loop: Header=BB0_9 Depth=1
	v_add_f64 v[2:3], v[2:3], v[10:11]
	s_mov_b32 s7, -1
	s_delay_alu instid0(VALU_DEP_1) | instskip(NEXT) | instid1(VALU_DEP_1)
	v_ldexp_f64 v[8:9], |v[2:3]|, 0xffffffcb
	v_cmp_nlt_f64_e64 s8, |v[10:11]|, v[8:9]
                                        ; implicit-def: $vgpr8_vgpr9
	s_delay_alu instid0(VALU_DEP_1)
	s_and_saveexec_b32 s5, s8
	s_cbranch_execz .LBB0_7
; %bb.17:                               ;   in Loop: Header=BB0_9 Depth=1
	v_div_scale_f64 v[8:9], null, v[0:1], v[0:1], v[6:7]
	v_and_b32_e32 v11, 0x7fffffff, v11
	s_add_i32 s6, s6, 1
	s_add_u32 s2, s2, 0xc8
	s_addc_u32 s3, s3, 0
	s_cmp_eq_u32 s6, 25
	s_cselect_b32 s7, -1, 0
	s_delay_alu instid0(SALU_CYCLE_1) | instskip(NEXT) | instid1(VALU_DEP_2)
	s_or_not1_b32 s7, s7, exec_lo
	v_rcp_f64_e32 v[12:13], v[8:9]
	s_waitcnt_depctr 0xfff
	v_fma_f64 v[16:17], -v[8:9], v[12:13], 1.0
	s_delay_alu instid0(VALU_DEP_1) | instskip(NEXT) | instid1(VALU_DEP_1)
	v_fma_f64 v[12:13], v[12:13], v[16:17], v[12:13]
	v_fma_f64 v[16:17], -v[8:9], v[12:13], 1.0
	s_delay_alu instid0(VALU_DEP_1) | instskip(SKIP_1) | instid1(VALU_DEP_1)
	v_fma_f64 v[12:13], v[12:13], v[16:17], v[12:13]
	v_div_scale_f64 v[16:17], vcc_lo, v[6:7], v[0:1], v[6:7]
	v_mul_f64 v[18:19], v[16:17], v[12:13]
	s_delay_alu instid0(VALU_DEP_1) | instskip(NEXT) | instid1(VALU_DEP_1)
	v_fma_f64 v[8:9], -v[8:9], v[18:19], v[16:17]
	v_div_fmas_f64 v[8:9], v[8:9], v[12:13], v[18:19]
	s_delay_alu instid0(VALU_DEP_1)
	v_div_fixup_f64 v[6:7], v[8:9], v[0:1], v[6:7]
	v_dual_mov_b32 v8, v10 :: v_dual_mov_b32 v9, v11
	s_branch .LBB0_7
.LBB0_18:
	s_or_b32 exec_lo, exec_lo, s1
	v_mul_f64 v[6:7], v[0:1], 0.5
	s_mov_b32 s2, 0x37cfa789
	s_mov_b32 s4, 0x54df3c0e
	s_mov_b32 s3, 0xbe411663
	s_mov_b32 s5, 0xbe41f39d
	s_mov_b32 s6, 0x8a03dcdb
	s_mov_b32 s7, 0x3e6d9048
	s_mov_b32 s8, 0x6a5dcb37
	s_mov_b32 s10, 0x2eba62d8
	s_mov_b32 s9, 0x3e5ade15
	s_mov_b32 s11, 0xbeab87b0
	s_mov_b32 s12, 0xa56e15f1
	s_mov_b32 s13, 0x3e95104b
	s_mov_b32 s16, 0x54411744
	s_mov_b32 s17, 0x401921fb
	s_mov_b32 s14, 0x71c907de
	s_mov_b32 s15, 0x3ed7f29f
	s_mov_b32 s18, 0x11122322
	s_mov_b32 s19, 0x3f811111
	s_mov_b32 s20, 0x555502a1
	s_mov_b32 s21, 0x3fa55555
	s_delay_alu instid0(VALU_DEP_1) | instskip(SKIP_1) | instid1(VALU_DEP_1)
	v_cmp_gt_f64_e32 vcc_lo, 0x10000000, v[6:7]
	v_cndmask_b32_e64 v8, 0, 1, vcc_lo
	v_lshlrev_b32_e32 v8, 8, v8
	s_delay_alu instid0(VALU_DEP_1) | instskip(NEXT) | instid1(VALU_DEP_1)
	v_ldexp_f64 v[6:7], v[6:7], v8
	v_rsq_f64_e32 v[8:9], v[6:7]
	s_waitcnt_depctr 0xfff
	v_mul_f64 v[10:11], v[6:7], v[8:9]
	v_mul_f64 v[8:9], v[8:9], 0.5
	s_delay_alu instid0(VALU_DEP_1) | instskip(NEXT) | instid1(VALU_DEP_1)
	v_fma_f64 v[12:13], -v[8:9], v[10:11], 0.5
	v_fma_f64 v[10:11], v[10:11], v[12:13], v[10:11]
	v_fma_f64 v[8:9], v[8:9], v[12:13], v[8:9]
	s_delay_alu instid0(VALU_DEP_2) | instskip(NEXT) | instid1(VALU_DEP_1)
	v_fma_f64 v[12:13], -v[10:11], v[10:11], v[6:7]
	v_fma_f64 v[10:11], v[12:13], v[8:9], v[10:11]
	s_delay_alu instid0(VALU_DEP_1) | instskip(NEXT) | instid1(VALU_DEP_1)
	v_fma_f64 v[12:13], -v[10:11], v[10:11], v[6:7]
	v_fma_f64 v[8:9], v[12:13], v[8:9], v[10:11]
	v_mov_b32_e32 v11, 0xbff00000
	v_cndmask_b32_e64 v12, 0, 0xffffff80, vcc_lo
	v_cmp_class_f64_e64 vcc_lo, v[6:7], 0x260
	s_delay_alu instid0(VALU_DEP_3) | instskip(SKIP_3) | instid1(VALU_DEP_1)
	v_cndmask_b32_e64 v11, 0x3ff00000, v11, s0
	s_mov_b32 s0, 0x652b82fe
	s_mov_b32 s1, 0x3ff71547
	v_ldexp_f64 v[8:9], v[8:9], v12
	v_dual_mov_b32 v10, 0 :: v_dual_cndmask_b32 v7, v9, v7
	s_delay_alu instid0(VALU_DEP_1) | instskip(NEXT) | instid1(VALU_DEP_3)
	v_mul_f64 v[12:13], v[10:11], v[4:5]
	v_cndmask_b32_e32 v6, v8, v6, vcc_lo
	s_delay_alu instid0(VALU_DEP_1) | instskip(NEXT) | instid1(VALU_DEP_1)
	v_mul_f64 v[6:7], v[6:7], v[12:13]
	v_add_f64 v[8:9], |v[6:7]|, 4.0
	v_mul_f64 v[20:21], v[6:7], -v[6:7]
	s_delay_alu instid0(VALU_DEP_2) | instskip(NEXT) | instid1(VALU_DEP_1)
	v_rcp_f64_e32 v[12:13], v[8:9]
	v_mul_f64 v[22:23], v[20:21], s[0:1]
	s_delay_alu instid0(VALU_DEP_1) | instskip(SKIP_2) | instid1(VALU_DEP_1)
	v_rndne_f64_e32 v[22:23], v[22:23]
	s_waitcnt_depctr 0xfff
	v_fma_f64 v[14:15], -v[8:9], v[12:13], 1.0
	v_fma_f64 v[12:13], v[14:15], v[12:13], v[12:13]
	v_add_f64 v[14:15], |v[6:7]|, -4.0
	s_delay_alu instid0(VALU_DEP_2) | instskip(NEXT) | instid1(VALU_DEP_1)
	v_fma_f64 v[8:9], -v[8:9], v[12:13], 1.0
	v_fma_f64 v[8:9], v[8:9], v[12:13], v[12:13]
	s_delay_alu instid0(VALU_DEP_1) | instskip(SKIP_4) | instid1(VALU_DEP_3)
	v_mul_f64 v[12:13], v[14:15], v[8:9]
	v_mul_f64 v[14:15], v[0:1], -0.5
	v_mul_f64 v[0:1], v[0:1], s[16:17]
	s_mov_b32 s16, 0x2cd770fb
	s_mov_b32 s17, 0xbee78f5c
	v_add_f64 v[16:17], v[12:13], 1.0
	s_delay_alu instid0(VALU_DEP_3) | instskip(NEXT) | instid1(VALU_DEP_3)
	v_mul_f64 v[14:15], v[14:15], v[4:5]
	v_cmp_gt_f64_e32 vcc_lo, 0x10000000, v[0:1]
	s_delay_alu instid0(VALU_DEP_3) | instskip(NEXT) | instid1(VALU_DEP_3)
	v_fma_f64 v[16:17], v[16:17], -4.0, |v[6:7]|
	v_mul_f64 v[4:5], v[4:5], v[14:15]
	v_cndmask_b32_e64 v24, 0, 1, vcc_lo
	s_delay_alu instid0(VALU_DEP_1) | instskip(NEXT) | instid1(VALU_DEP_1)
	v_lshlrev_b32_e32 v24, 8, v24
	v_ldexp_f64 v[0:1], v[0:1], v24
	v_fma_f64 v[14:15], -v[12:13], |v[6:7]|, v[16:17]
	v_mul_f64 v[16:17], v[4:5], s[0:1]
	s_mov_b32 s0, 0x76d0a51a
	s_mov_b32 s1, 0xbef995fb
	s_delay_alu instid0(VALU_DEP_3) | instskip(NEXT) | instid1(VALU_DEP_2)
	v_rsq_f64_e32 v[24:25], v[0:1]
	v_fma_f64 v[8:9], v[8:9], v[14:15], v[12:13]
	s_delay_alu instid0(VALU_DEP_2)
	v_rndne_f64_e32 v[12:13], v[16:17]
	s_waitcnt_depctr 0xfff
	v_mul_f64 v[28:29], v[0:1], v[24:25]
	v_mul_f64 v[24:25], v[24:25], 0.5
	v_fma_f64 v[14:15], v[8:9], s[4:5], s[2:3]
	s_mov_b32 s2, 0xfefa39ef
	s_mov_b32 s4, 0xd9802b82
	;; [unrolled: 1-line block ×4, first 2 shown]
	v_fma_f64 v[16:17], v[12:13], s[2:3], v[4:5]
	v_fma_f64 v[26:27], v[22:23], s[2:3], v[20:21]
	s_mov_b32 s2, 0x55555511
	s_mov_b32 s3, 0x3fc55555
	v_cvt_i32_f64_e32 v34, v[12:13]
	v_fma_f64 v[30:31], -v[24:25], v[28:29], 0.5
	v_fma_f64 v[14:15], v[8:9], v[14:15], s[4:5]
	s_mov_b32 s4, 0x3b39803f
	s_mov_b32 s5, 0xbc7abc9e
	s_delay_alu instid0(SALU_CYCLE_1)
	v_fma_f64 v[16:17], v[12:13], s[4:5], v[16:17]
	v_fma_f64 v[26:27], v[22:23], s[4:5], v[26:27]
	s_mov_b32 s4, 11
	s_mov_b32 s5, 0x3fe00000
	v_cvt_i32_f64_e32 v22, v[22:23]
	v_fma_f64 v[28:29], v[28:29], v[30:31], v[28:29]
	v_fma_f64 v[24:25], v[24:25], v[30:31], v[24:25]
	;; [unrolled: 1-line block ×3, first 2 shown]
	s_mov_b32 s6, 0xfca7ab0c
	s_mov_b32 s7, 0x3e928af3
	s_delay_alu instid0(SALU_CYCLE_1) | instskip(SKIP_4) | instid1(VALU_DEP_4)
	v_fma_f64 v[18:19], v[16:17], s[8:9], s[6:7]
	v_fma_f64 v[32:33], v[26:27], s[8:9], s[6:7]
	s_mov_b32 s6, 0x4de8f32
	s_mov_b32 s7, 0x3fb7fee0
	v_fma_f64 v[30:31], -v[28:29], v[28:29], v[0:1]
	v_fma_f64 v[14:15], v[8:9], v[14:15], s[10:11]
	s_mov_b32 s10, 0x623fde64
	s_mov_b32 s11, 0x3ec71dee
	s_delay_alu instid0(VALU_DEP_4) | instid1(SALU_CYCLE_1)
	v_fma_f64 v[18:19], v[16:17], v[18:19], s[10:11]
	s_delay_alu instid0(VALU_DEP_4) | instskip(NEXT) | instid1(VALU_DEP_3)
	v_fma_f64 v[32:33], v[26:27], v[32:33], s[10:11]
	v_fma_f64 v[14:15], v[8:9], v[14:15], s[12:13]
	s_mov_b32 s12, 0x7c89e6b0
	s_mov_b32 s13, 0x3efa0199
	s_delay_alu instid0(VALU_DEP_3) | instid1(SALU_CYCLE_1)
	v_fma_f64 v[18:19], v[16:17], v[18:19], s[12:13]
	s_delay_alu instid0(VALU_DEP_2)
	v_fma_f64 v[14:15], v[8:9], v[14:15], s[14:15]
	s_mov_b32 s14, 0x14761f6e
	s_mov_b32 s15, 0x3f2a01a0
	s_delay_alu instid0(VALU_DEP_2) | instid1(SALU_CYCLE_1)
	v_fma_f64 v[18:19], v[16:17], v[18:19], s[14:15]
	s_delay_alu instid0(VALU_DEP_2)
	v_fma_f64 v[14:15], v[8:9], v[14:15], s[16:17]
	s_mov_b32 s16, 0x1852b7b0
	s_mov_b32 s17, 0x3f56c16c
	s_delay_alu instid0(VALU_DEP_2) | instid1(SALU_CYCLE_1)
	v_fma_f64 v[18:19], v[16:17], v[18:19], s[16:17]
	s_delay_alu instid0(VALU_DEP_2) | instskip(SKIP_2) | instid1(VALU_DEP_2)
	v_fma_f64 v[14:15], v[8:9], v[14:15], s[0:1]
	s_mov_b32 s0, 0xc022d0ed
	s_mov_b32 s1, 0x3f23be2e
	v_fma_f64 v[18:19], v[16:17], v[18:19], s[18:19]
	s_delay_alu instid0(VALU_DEP_2) | instskip(SKIP_2) | instid1(VALU_DEP_2)
	v_fma_f64 v[14:15], v[8:9], v[14:15], s[0:1]
	s_mov_b32 s0, 0x2fdbf62e
	s_mov_b32 s1, 0xbf2a1deb
	;; [unrolled: 5-line block ×5, first 2 shown]
	v_fma_f64 v[18:19], v[16:17], v[18:19], 1.0
	s_delay_alu instid0(VALU_DEP_2) | instskip(SKIP_2) | instid1(VALU_DEP_2)
	v_fma_f64 v[14:15], v[8:9], v[14:15], s[0:1]
	s_mov_b32 s0, 0xdfadea8f
	s_mov_b32 s1, 0x3fa3079e
	v_fma_f64 v[12:13], v[16:17], v[18:19], 1.0
	v_fma_f64 v[16:17], v[26:27], v[32:33], s[12:13]
	v_fma_f64 v[18:19], v[30:31], v[24:25], v[28:29]
	v_add_f64 v[28:29], |v[6:7]|, |v[6:7]|
	v_fma_f64 v[14:15], v[8:9], v[14:15], s[0:1]
	s_mov_b32 s0, 0xdff65910
	s_mov_b32 s1, 0xbfb0fb06
	v_ldexp_f64 v[12:13], v[12:13], v34
	v_fma_f64 v[16:17], v[26:27], v[16:17], s[14:15]
	v_fma_f64 v[30:31], -v[18:19], v[18:19], v[0:1]
	s_delay_alu instid0(VALU_DEP_4)
	v_fma_f64 v[14:15], v[8:9], v[14:15], s[0:1]
	v_cmp_nlt_f64_e64 s0, 0x40900000, v[4:5]
	v_cmp_ngt_f64_e64 s1, 0xc090cc00, v[4:5]
	v_fma_f64 v[4:5], v[26:27], v[16:17], s[16:17]
	v_add_f64 v[16:17], v[28:29], 1.0
	v_fma_f64 v[18:19], v[30:31], v[24:25], v[18:19]
	v_cndmask_b32_e64 v32, 0x7ff00000, v13, s0
	v_fma_f64 v[13:14], v[8:9], v[14:15], s[6:7]
	s_and_b32 s0, s1, s0
	v_cndmask_b32_e64 v15, 0, 0xffffff80, vcc_lo
	v_cndmask_b32_e64 v24, 0, v12, s0
	v_cndmask_b32_e64 v25, 0, v32, s1
	s_mov_b32 s0, 0x3c3dbeb3
	s_mov_b32 s1, 0xbfb9ddb2
	v_fma_f64 v[4:5], v[26:27], v[4:5], s[18:19]
	v_cmp_class_f64_e64 vcc_lo, v[0:1], 0x260
	v_mul_f64 v[10:11], v[10:11], v[24:25]
	v_rcp_f64_e32 v[24:25], v[16:17]
	v_fma_f64 v[12:13], v[8:9], v[13:14], s[0:1]
	v_ldexp_f64 v[14:15], v[18:19], v15
	s_mov_b32 s0, 0xfcfa6930
	s_mov_b32 s1, 0x3fb16ece
	v_fma_f64 v[4:5], v[26:27], v[4:5], s[20:21]
	s_delay_alu instid0(VALU_DEP_4)
	v_mul_f64 v[2:3], v[10:11], v[2:3]
	s_waitcnt_depctr 0xfff
	v_fma_f64 v[10:11], -v[16:17], v[24:25], 1.0
	v_fma_f64 v[12:13], v[8:9], v[12:13], s[0:1]
	v_dual_cndmask_b32 v1, v15, v1 :: v_dual_cndmask_b32 v0, v14, v0
	s_mov_b32 s0, 0xf66fb8a3
	s_mov_b32 s1, 0x3f8f7f5d
	v_fma_f64 v[4:5], v[26:27], v[4:5], s[2:3]
	s_delay_alu instid0(VALU_DEP_2) | instskip(SKIP_4) | instid1(VALU_DEP_4)
	v_div_scale_f64 v[14:15], null, v[0:1], v[0:1], v[2:3]
	v_fma_f64 v[10:11], v[10:11], v[24:25], v[24:25]
	v_fma_f64 v[12:13], v[8:9], v[12:13], s[0:1]
	s_mov_b32 s0, 0xd154a2a8
	s_mov_b32 s1, 0xbfc1df1a
	v_fma_f64 v[4:5], v[26:27], v[4:5], s[4:5]
	s_delay_alu instid0(VALU_DEP_4) | instskip(NEXT) | instid1(VALU_DEP_3)
	v_rcp_f64_e32 v[18:19], v[14:15]
	v_fma_f64 v[16:17], -v[16:17], v[10:11], 1.0
	s_delay_alu instid0(VALU_DEP_3) | instskip(SKIP_2) | instid1(VALU_DEP_3)
	v_fma_f64 v[12:13], v[8:9], v[12:13], s[0:1]
	s_mov_b32 s0, 0xb74febf8
	s_mov_b32 s1, 0x3fcdd2c8
	v_fma_f64 v[4:5], v[26:27], v[4:5], 1.0
	s_waitcnt_depctr 0xfff
	v_fma_f64 v[24:25], -v[14:15], v[18:19], 1.0
	v_fma_f64 v[10:11], v[16:17], v[10:11], v[10:11]
	v_fma_f64 v[8:9], v[8:9], v[12:13], s[0:1]
	v_cmp_nlt_f64_e64 s0, 0x40900000, v[20:21]
	v_cmp_ngt_f64_e64 s1, 0xc090cc00, v[20:21]
	v_fma_f64 v[4:5], v[26:27], v[4:5], 1.0
	v_fma_f64 v[12:13], v[18:19], v[24:25], v[18:19]
	v_div_scale_f64 v[24:25], vcc_lo, v[2:3], v[0:1], v[2:3]
	v_fma_f64 v[16:17], v[8:9], v[10:11], v[10:11]
	s_delay_alu instid0(VALU_DEP_4) | instskip(NEXT) | instid1(VALU_DEP_4)
	v_ldexp_f64 v[4:5], v[4:5], v22
	v_fma_f64 v[18:19], -v[14:15], v[12:13], 1.0
	s_delay_alu instid0(VALU_DEP_3) | instskip(SKIP_1) | instid1(VALU_DEP_4)
	v_fma_f64 v[22:23], -v[16:17], v[28:29], 1.0
	v_add_f64 v[8:9], v[8:9], -v[16:17]
	v_cndmask_b32_e64 v5, 0x7ff00000, v5, s0
	s_and_b32 s0, s1, s0
	s_delay_alu instid0(SALU_CYCLE_1)
	v_cndmask_b32_e64 v4, 0, v4, s0
	v_fma_f64 v[12:13], v[12:13], v[18:19], v[12:13]
	v_fma_f64 v[18:19], -v[6:7], v[6:7], -v[20:21]
	v_cndmask_b32_e64 v5, 0, v5, s1
	s_mov_b32 s0, 0x41e48bfc
	s_mov_b32 s1, 0x403b39dc
	s_delay_alu instid0(SALU_CYCLE_1) | instskip(SKIP_3) | instid1(VALU_DEP_3)
	v_cmp_ngt_f64_e64 s0, |v[6:7]|, s[0:1]
	v_add_f64 v[8:9], v[22:23], v[8:9]
	v_mul_f64 v[20:21], v[24:25], v[12:13]
	v_fma_f64 v[4:5], v[4:5], v[18:19], v[4:5]
	v_fma_f64 v[8:9], v[10:11], v[8:9], v[16:17]
	s_delay_alu instid0(VALU_DEP_3) | instskip(NEXT) | instid1(VALU_DEP_2)
	v_fma_f64 v[10:11], -v[14:15], v[20:21], v[24:25]
	v_mul_f64 v[4:5], v[4:5], v[8:9]
	s_delay_alu instid0(VALU_DEP_2) | instskip(SKIP_1) | instid1(VALU_DEP_3)
	v_div_fmas_f64 v[8:9], v[10:11], v[12:13], v[20:21]
	v_cmp_gt_f64_e32 vcc_lo, 0, v[6:7]
	v_cndmask_b32_e64 v5, 0, v5, s0
	s_delay_alu instid0(VALU_DEP_4) | instskip(NEXT) | instid1(VALU_DEP_1)
	v_cndmask_b32_e64 v4, 0, v4, s0
	v_add_f64 v[10:11], -v[4:5], 2.0
	v_div_fixup_f64 v[0:1], v[8:9], v[0:1], v[2:3]
	s_delay_alu instid0(VALU_DEP_2) | instskip(NEXT) | instid1(VALU_DEP_1)
	v_dual_cndmask_b32 v3, v5, v11 :: v_dual_cndmask_b32 v2, v4, v10
	v_fma_f64 v[0:1], v[2:3], 0.5, v[0:1]
	s_setpc_b64 s[30:31]
.Lfunc_end0:
	.size	_ZN12_GLOBAL__N_130_igam_helper_asymptotic_seriesIdEET_S1_S1_b, .Lfunc_end0-_ZN12_GLOBAL__N_130_igam_helper_asymptotic_seriesIdEET_S1_S1_b
                                        ; -- End function
	.section	.AMDGPU.csdata,"",@progbits
; Function info:
; codeLenInByte = 6072
; NumSgprs: 35
; NumVgprs: 35
; ScratchSize: 208
; MemoryBound: 0
	.text
	.p2align	2                               ; -- Begin function _ZN12_GLOBAL__N_116_igam_helper_facIdEET_S1_S1_
	.type	_ZN12_GLOBAL__N_116_igam_helper_facIdEET_S1_S1_,@function
_ZN12_GLOBAL__N_116_igam_helper_facIdEET_S1_S1_: ; @_ZN12_GLOBAL__N_116_igam_helper_facIdEET_S1_S1_
; %bb.0:
	s_waitcnt vmcnt(0) expcnt(0) lgkmcnt(0)
	s_mov_b32 s0, 0x9999999a
	s_mov_b32 s1, 0x3fd99999
	v_add_f64 v[36:37], v[0:1], -v[2:3]
	v_mul_f64 v[4:5], |v[0:1]|, s[0:1]
	v_dual_mov_b32 v9, v1 :: v_dual_mov_b32 v8, v0
	v_dual_mov_b32 v6, v0 :: v_dual_and_b32 v7, 0x7fffffff, v1
	s_delay_alu instid0(VALU_DEP_3) | instskip(NEXT) | instid1(VALU_DEP_1)
	v_cmp_ngt_f64_e64 s0, |v[36:37]|, v[4:5]
                                        ; implicit-def: $vgpr4_vgpr5
	s_and_saveexec_b32 s1, s0
	s_delay_alu instid0(SALU_CYCLE_1)
	s_xor_b32 s5, exec_lo, s1
	s_cbranch_execnz .LBB1_3
; %bb.1:
	s_and_not1_saveexec_b32 s6, s5
	s_cbranch_execnz .LBB1_12
.LBB1_2:
	s_or_b32 exec_lo, exec_lo, s6
	s_delay_alu instid0(VALU_DEP_1)
	v_dual_mov_b32 v0, v4 :: v_dual_mov_b32 v1, v5
	s_setpc_b64 s[30:31]
.LBB1_3:
	v_cmp_gt_f64_e64 s0, |v[0:1]|, 1.0
	s_getpc_b64 s[2:3]
	s_add_u32 s2, s2, __const._ZN12_GLOBAL__N_123lanczos_sum_expg_scaledIdEET_S1_.lanczos_sum_expg_scaled_denom@rel32@lo+4
	s_addc_u32 s3, s3, __const._ZN12_GLOBAL__N_123lanczos_sum_expg_scaledIdEET_S1_.lanczos_sum_expg_scaled_denom@rel32@hi+12
	s_getpc_b64 s[6:7]
	s_add_u32 s6, s6, __const._ZN12_GLOBAL__N_123lanczos_sum_expg_scaledIdEET_S1_.lanczos_sum_expg_scaled_num@rel32@lo+4
	s_addc_u32 s7, s7, __const._ZN12_GLOBAL__N_123lanczos_sum_expg_scaledIdEET_S1_.lanczos_sum_expg_scaled_num@rel32@hi+12
	s_delay_alu instid0(SALU_CYCLE_1) | instskip(SKIP_2) | instid1(VALU_DEP_4)
	v_dual_mov_b32 v12, 1 :: v_dual_mov_b32 v11, s7
	v_dual_mov_b32 v5, s3 :: v_dual_mov_b32 v4, s2
	;; [unrolled: 1-line block ×3, first 2 shown]
	s_and_saveexec_b32 s1, s0
	s_cbranch_execz .LBB1_5
; %bb.4:
	v_div_scale_f64 v[4:5], null, v[0:1], v[0:1], 1.0
	s_getpc_b64 s[2:3]
	s_add_u32 s2, s2, __const._ZN12_GLOBAL__N_123lanczos_sum_expg_scaledIdEET_S1_.lanczos_sum_expg_scaled_denom@rel32@lo+100
	s_addc_u32 s3, s3, __const._ZN12_GLOBAL__N_123lanczos_sum_expg_scaledIdEET_S1_.lanczos_sum_expg_scaled_denom@rel32@hi+108
	s_getpc_b64 s[6:7]
	s_add_u32 s6, s6, __const._ZN12_GLOBAL__N_123lanczos_sum_expg_scaledIdEET_S1_.lanczos_sum_expg_scaled_num@rel32@lo+100
	s_addc_u32 s7, s7, __const._ZN12_GLOBAL__N_123lanczos_sum_expg_scaledIdEET_S1_.lanczos_sum_expg_scaled_num@rel32@hi+108
	s_delay_alu instid0(VALU_DEP_1) | instskip(SKIP_2) | instid1(VALU_DEP_1)
	v_rcp_f64_e32 v[8:9], v[4:5]
	s_waitcnt_depctr 0xfff
	v_fma_f64 v[10:11], -v[4:5], v[8:9], 1.0
	v_fma_f64 v[8:9], v[8:9], v[10:11], v[8:9]
	s_delay_alu instid0(VALU_DEP_1) | instskip(NEXT) | instid1(VALU_DEP_1)
	v_fma_f64 v[10:11], -v[4:5], v[8:9], 1.0
	v_fma_f64 v[8:9], v[8:9], v[10:11], v[8:9]
	v_div_scale_f64 v[10:11], vcc_lo, 1.0, v[0:1], 1.0
	s_delay_alu instid0(VALU_DEP_1) | instskip(NEXT) | instid1(VALU_DEP_1)
	v_mul_f64 v[12:13], v[10:11], v[8:9]
	v_fma_f64 v[4:5], -v[4:5], v[12:13], v[10:11]
	v_dual_mov_b32 v11, s7 :: v_dual_mov_b32 v10, s6
	s_delay_alu instid0(VALU_DEP_2) | instskip(SKIP_2) | instid1(VALU_DEP_3)
	v_div_fmas_f64 v[4:5], v[4:5], v[8:9], v[12:13]
	v_mov_b32_e32 v12, -1
	v_mov_b32_e32 v13, -1
	v_div_fixup_f64 v[8:9], v[4:5], v[0:1], 1.0
	v_dual_mov_b32 v5, s3 :: v_dual_mov_b32 v4, s2
.LBB1_5:
	s_or_b32 exec_lo, exec_lo, s1
	s_delay_alu instid0(VALU_DEP_1) | instskip(NEXT) | instid1(VALU_DEP_1)
	v_lshlrev_b64 v[12:13], 3, v[12:13]
	v_add_co_u32 v14, vcc_lo, v10, v12
	s_delay_alu instid0(VALU_DEP_2)
	v_add_co_ci_u32_e32 v15, vcc_lo, v11, v13, vcc_lo
	s_clause 0x1
	global_load_b64 v[10:11], v[10:11], off
	global_load_b64 v[16:17], v[14:15], off
	v_add_co_u32 v14, vcc_lo, v14, v12
	v_add_co_ci_u32_e32 v15, vcc_lo, v15, v13, vcc_lo
	global_load_b64 v[18:19], v[14:15], off
	v_add_co_u32 v14, vcc_lo, v14, v12
	v_add_co_ci_u32_e32 v15, vcc_lo, v15, v13, vcc_lo
	;; [unrolled: 3-line block ×10, first 2 shown]
	global_load_b64 v[66:67], v[14:15], off
	s_waitcnt vmcnt(10)
	v_fma_f64 v[10:11], v[8:9], v[10:11], v[16:17]
	v_add_co_u32 v16, vcc_lo, v4, v12
	v_add_co_ci_u32_e32 v17, vcc_lo, v5, v13, vcc_lo
	s_waitcnt vmcnt(9)
	s_delay_alu instid0(VALU_DEP_3) | instskip(NEXT) | instid1(VALU_DEP_3)
	v_fma_f64 v[10:11], v[8:9], v[10:11], v[18:19]
	v_add_co_u32 v18, vcc_lo, v16, v12
	s_delay_alu instid0(VALU_DEP_3) | instskip(SKIP_1) | instid1(VALU_DEP_3)
	v_add_co_ci_u32_e32 v19, vcc_lo, v17, v13, vcc_lo
	s_waitcnt vmcnt(8)
	v_fma_f64 v[10:11], v[8:9], v[10:11], v[20:21]
	s_delay_alu instid0(VALU_DEP_3) | instskip(NEXT) | instid1(VALU_DEP_3)
	v_add_co_u32 v20, vcc_lo, v18, v12
	v_add_co_ci_u32_e32 v21, vcc_lo, v19, v13, vcc_lo
	s_delay_alu instid0(VALU_DEP_2) | instskip(NEXT) | instid1(VALU_DEP_2)
	v_add_co_u32 v26, vcc_lo, v20, v12
	v_add_co_ci_u32_e32 v27, vcc_lo, v21, v13, vcc_lo
	s_delay_alu instid0(VALU_DEP_2) | instskip(NEXT) | instid1(VALU_DEP_2)
	v_add_co_u32 v28, vcc_lo, v26, v12
	v_add_co_ci_u32_e32 v29, vcc_lo, v27, v13, vcc_lo
	v_add_co_u32 v14, vcc_lo, v14, v12
	v_add_co_ci_u32_e32 v15, vcc_lo, v15, v13, vcc_lo
	s_delay_alu instid0(VALU_DEP_4) | instskip(NEXT) | instid1(VALU_DEP_4)
	v_add_co_u32 v30, vcc_lo, v28, v12
	v_add_co_ci_u32_e32 v31, vcc_lo, v29, v13, vcc_lo
	global_load_b64 v[68:69], v[14:15], off
	v_add_co_u32 v70, vcc_lo, v30, v12
	v_add_co_ci_u32_e32 v71, vcc_lo, v31, v13, vcc_lo
	global_load_b64 v[14:15], v[4:5], off
	v_add_co_u32 v80, vcc_lo, v70, v12
	v_add_co_ci_u32_e32 v81, vcc_lo, v71, v13, vcc_lo
	s_clause 0x3
	global_load_b64 v[32:33], v[16:17], off
	global_load_b64 v[34:35], v[18:19], off
	;; [unrolled: 1-line block ×4, first 2 shown]
	v_add_co_u32 v4, vcc_lo, v80, v12
	v_add_co_ci_u32_e32 v5, vcc_lo, v81, v13, vcc_lo
	s_waitcnt vmcnt(13)
	v_fma_f64 v[82:83], v[8:9], v[10:11], v[22:23]
	s_delay_alu instid0(VALU_DEP_3) | instskip(NEXT) | instid1(VALU_DEP_3)
	v_add_co_u32 v10, vcc_lo, v4, v12
	v_add_co_ci_u32_e32 v11, vcc_lo, v5, v13, vcc_lo
	s_clause 0x1
	global_load_b64 v[26:27], v[28:29], off
	global_load_b64 v[20:21], v[30:31], off
	v_add_co_u32 v84, vcc_lo, v10, v12
	v_add_co_ci_u32_e32 v85, vcc_lo, v11, v13, vcc_lo
	global_load_b64 v[28:29], v[70:71], off
	v_add_co_u32 v70, vcc_lo, v84, v12
	v_add_co_ci_u32_e32 v71, vcc_lo, v85, v13, vcc_lo
	global_load_b64 v[30:31], v[80:81], off
	global_load_b64 v[22:23], v[4:5], off
	;; [unrolled: 1-line block ×5, first 2 shown]
	s_waitcnt vmcnt(20)
	v_fma_f64 v[4:5], v[8:9], v[82:83], v[38:39]
	s_waitcnt vmcnt(19)
	s_delay_alu instid0(VALU_DEP_1) | instskip(SKIP_1) | instid1(VALU_DEP_1)
	v_fma_f64 v[4:5], v[8:9], v[4:5], v[48:49]
	s_waitcnt vmcnt(18)
	v_fma_f64 v[4:5], v[8:9], v[4:5], v[50:51]
	s_waitcnt vmcnt(17)
	s_delay_alu instid0(VALU_DEP_1) | instskip(SKIP_1) | instid1(VALU_DEP_1)
	v_fma_f64 v[4:5], v[8:9], v[4:5], v[52:53]
	;; [unrolled: 5-line block ×3, first 2 shown]
	s_waitcnt vmcnt(14)
	v_fma_f64 v[4:5], v[8:9], v[4:5], v[66:67]
	s_waitcnt vmcnt(13)
	s_delay_alu instid0(VALU_DEP_1)
	v_fma_f64 v[4:5], v[8:9], v[4:5], v[68:69]
	s_and_saveexec_b32 s4, s0
	s_cbranch_execz .LBB1_7
; %bb.6:
	v_cmp_eq_f64_e32 vcc_lo, 1.0, v[0:1]
	v_mov_b32_e32 v38, 0
	s_mov_b32 s3, 0x3fe55555
	s_mov_b32 s2, 0x55555555
	;; [unrolled: 1-line block ×4, first 2 shown]
	v_mov_b32_e32 v52, v38
	s_mov_b32 s7, 0x3fba6564
	s_mov_b32 s9, 0x3fbdee67
	v_cndmask_b32_e64 v39, 0, 0x3ff00000, vcc_lo
	s_delay_alu instid0(VALU_DEP_1) | instskip(SKIP_3) | instid1(VALU_DEP_2)
	v_cmp_eq_f64_e32 vcc_lo, 0, v[38:39]
	v_cndmask_b32_e64 v7, v7, 0x3ff00000, vcc_lo
	v_cndmask_b32_e64 v6, v6, 0, vcc_lo
	;; [unrolled: 1-line block ×3, first 2 shown]
	v_frexp_mant_f64_e32 v[50:51], v[6:7]
	v_frexp_exp_i32_f64_e32 v48, v[6:7]
	s_delay_alu instid0(VALU_DEP_2) | instskip(NEXT) | instid1(VALU_DEP_1)
	v_cmp_gt_f64_e64 s0, s[2:3], v[50:51]
	v_cndmask_b32_e64 v53, 0x3ff00000, 2.0, s0
	s_delay_alu instid0(VALU_DEP_3) | instskip(NEXT) | instid1(VALU_DEP_2)
	v_subrev_co_ci_u32_e64 v48, s0, 0, v48, s0
	v_mul_f64 v[50:51], v[50:51], v[52:53]
	s_delay_alu instid0(VALU_DEP_1) | instskip(SKIP_1) | instid1(VALU_DEP_2)
	v_add_f64 v[52:53], v[50:51], 1.0
	v_add_f64 v[66:67], v[50:51], -1.0
	v_rcp_f64_e32 v[54:55], v[52:53]
	v_add_f64 v[68:69], v[52:53], -1.0
	s_delay_alu instid0(VALU_DEP_1) | instskip(SKIP_2) | instid1(VALU_DEP_1)
	v_add_f64 v[50:51], v[50:51], -v[68:69]
	s_waitcnt_depctr 0xfff
	v_fma_f64 v[64:65], -v[52:53], v[54:55], 1.0
	v_fma_f64 v[54:55], v[64:65], v[54:55], v[54:55]
	s_delay_alu instid0(VALU_DEP_1) | instskip(NEXT) | instid1(VALU_DEP_1)
	v_fma_f64 v[64:65], -v[52:53], v[54:55], 1.0
	v_fma_f64 v[54:55], v[64:65], v[54:55], v[54:55]
	s_delay_alu instid0(VALU_DEP_1) | instskip(NEXT) | instid1(VALU_DEP_1)
	v_mul_f64 v[64:65], v[66:67], v[54:55]
	v_mul_f64 v[70:71], v[52:53], v[64:65]
	s_delay_alu instid0(VALU_DEP_1) | instskip(NEXT) | instid1(VALU_DEP_1)
	v_fma_f64 v[52:53], v[64:65], v[52:53], -v[70:71]
	v_fma_f64 v[50:51], v[64:65], v[50:51], v[52:53]
	s_delay_alu instid0(VALU_DEP_1) | instskip(NEXT) | instid1(VALU_DEP_1)
	v_add_f64 v[52:53], v[70:71], v[50:51]
	v_add_f64 v[68:69], v[66:67], -v[52:53]
	v_add_f64 v[70:71], v[52:53], -v[70:71]
	s_delay_alu instid0(VALU_DEP_2) | instskip(NEXT) | instid1(VALU_DEP_2)
	v_add_f64 v[66:67], v[66:67], -v[68:69]
	v_add_f64 v[50:51], v[70:71], -v[50:51]
	s_delay_alu instid0(VALU_DEP_2) | instskip(NEXT) | instid1(VALU_DEP_1)
	v_add_f64 v[52:53], v[66:67], -v[52:53]
	v_add_f64 v[50:51], v[50:51], v[52:53]
	s_delay_alu instid0(VALU_DEP_1) | instskip(NEXT) | instid1(VALU_DEP_1)
	v_add_f64 v[50:51], v[68:69], v[50:51]
	v_mul_f64 v[50:51], v[54:55], v[50:51]
	s_delay_alu instid0(VALU_DEP_1) | instskip(NEXT) | instid1(VALU_DEP_1)
	v_add_f64 v[52:53], v[64:65], v[50:51]
	v_add_f64 v[54:55], v[52:53], -v[64:65]
	v_mul_f64 v[64:65], v[52:53], v[52:53]
	s_delay_alu instid0(VALU_DEP_2) | instskip(NEXT) | instid1(VALU_DEP_2)
	v_add_f64 v[50:51], v[50:51], -v[54:55]
	v_fma_f64 v[54:55], v[52:53], v[52:53], -v[64:65]
	s_delay_alu instid0(VALU_DEP_2) | instskip(NEXT) | instid1(VALU_DEP_1)
	v_add_f64 v[66:67], v[50:51], v[50:51]
	v_fma_f64 v[54:55], v[52:53], v[66:67], v[54:55]
	s_delay_alu instid0(VALU_DEP_1) | instskip(NEXT) | instid1(VALU_DEP_1)
	v_add_f64 v[66:67], v[64:65], v[54:55]
	v_fma_f64 v[68:69], v[66:67], s[8:9], s[6:7]
	s_mov_b32 s6, 0x3abe935a
	s_mov_b32 s7, 0x3fbe25e4
	v_add_f64 v[64:65], v[66:67], -v[64:65]
	v_mul_f64 v[82:83], v[52:53], v[66:67]
	s_delay_alu instid0(VALU_DEP_3) | instskip(SKIP_2) | instid1(VALU_DEP_3)
	v_fma_f64 v[68:69], v[66:67], v[68:69], s[6:7]
	s_mov_b32 s6, 0x47e6c9c2
	s_mov_b32 s7, 0x3fc110ef
	v_add_f64 v[54:55], v[54:55], -v[64:65]
	s_delay_alu instid0(VALU_DEP_2)
	v_fma_f64 v[68:69], v[66:67], v[68:69], s[6:7]
	s_mov_b32 s6, 0xcfa74449
	s_mov_b32 s7, 0x3fc3b13b
	s_delay_alu instid0(VALU_DEP_1) | instid1(SALU_CYCLE_1)
	v_fma_f64 v[68:69], v[66:67], v[68:69], s[6:7]
	s_mov_b32 s6, 0x71bf3c30
	s_mov_b32 s7, 0x3fc745d1
	s_delay_alu instid0(VALU_DEP_1) | instid1(SALU_CYCLE_1)
	;; [unrolled: 4-line block ×5, first 2 shown]
	v_fma_f64 v[68:69], v[66:67], v[68:69], s[6:7]
	s_mov_b32 s7, 0x3c7abc9e
	s_mov_b32 s6, 0x3b39803f
	s_delay_alu instid0(VALU_DEP_1) | instskip(NEXT) | instid1(VALU_DEP_1)
	v_mul_f64 v[70:71], v[66:67], v[68:69]
	v_fma_f64 v[64:65], v[66:67], v[68:69], -v[70:71]
	s_delay_alu instid0(VALU_DEP_1) | instskip(NEXT) | instid1(VALU_DEP_1)
	v_fma_f64 v[64:65], v[54:55], v[68:69], v[64:65]
	v_add_f64 v[68:69], v[70:71], v[64:65]
	s_delay_alu instid0(VALU_DEP_1)
	v_add_f64 v[80:81], v[68:69], s[2:3]
	v_add_f64 v[70:71], v[68:69], -v[70:71]
	s_mov_b32 s3, 0xbfe55555
	s_delay_alu instid0(VALU_DEP_2) | instid1(SALU_CYCLE_1)
	v_add_f64 v[84:85], v[80:81], s[2:3]
	s_delay_alu instid0(VALU_DEP_2) | instskip(SKIP_3) | instid1(VALU_DEP_3)
	v_add_f64 v[64:65], v[64:65], -v[70:71]
	v_fma_f64 v[70:71], v[66:67], v[52:53], -v[82:83]
	s_mov_b32 s2, 0xd5df274d
	s_mov_b32 s3, 0x3c8543b0
	v_add_f64 v[68:69], v[68:69], -v[84:85]
	s_delay_alu instid0(VALU_DEP_3) | instskip(NEXT) | instid1(VALU_DEP_3)
	v_add_f64 v[64:65], v[64:65], s[2:3]
	v_fma_f64 v[66:67], v[66:67], v[50:51], v[70:71]
	s_mov_b32 s3, 0x3fe62e42
	s_mov_b32 s2, 0xfefa39ef
	v_ldexp_f64 v[50:51], v[50:51], 1
	s_delay_alu instid0(VALU_DEP_3) | instskip(NEXT) | instid1(VALU_DEP_3)
	v_add_f64 v[64:65], v[64:65], v[68:69]
	v_fma_f64 v[54:55], v[54:55], v[52:53], v[66:67]
	v_ldexp_f64 v[52:53], v[52:53], 1
	s_delay_alu instid0(VALU_DEP_3) | instskip(NEXT) | instid1(VALU_DEP_3)
	v_add_f64 v[66:67], v[80:81], v[64:65]
	v_add_f64 v[68:69], v[82:83], v[54:55]
	s_delay_alu instid0(VALU_DEP_2) | instskip(NEXT) | instid1(VALU_DEP_2)
	v_add_f64 v[70:71], v[80:81], -v[66:67]
	v_mul_f64 v[80:81], v[68:69], v[66:67]
	v_add_f64 v[82:83], v[68:69], -v[82:83]
	s_delay_alu instid0(VALU_DEP_3) | instskip(NEXT) | instid1(VALU_DEP_3)
	v_add_f64 v[64:65], v[64:65], v[70:71]
	v_fma_f64 v[70:71], v[68:69], v[66:67], -v[80:81]
	s_delay_alu instid0(VALU_DEP_3) | instskip(NEXT) | instid1(VALU_DEP_2)
	v_add_f64 v[54:55], v[54:55], -v[82:83]
	v_fma_f64 v[64:65], v[68:69], v[64:65], v[70:71]
	s_delay_alu instid0(VALU_DEP_1) | instskip(SKIP_1) | instid1(VALU_DEP_2)
	v_fma_f64 v[54:55], v[54:55], v[66:67], v[64:65]
	v_cvt_f64_i32_e32 v[66:67], v48
	v_add_f64 v[64:65], v[80:81], v[54:55]
	s_delay_alu instid0(VALU_DEP_1) | instskip(SKIP_1) | instid1(VALU_DEP_4)
	v_add_f64 v[68:69], v[52:53], v[64:65]
	v_add_f64 v[70:71], v[64:65], -v[80:81]
	v_mul_f64 v[80:81], v[66:67], s[2:3]
	s_delay_alu instid0(VALU_DEP_3) | instskip(NEXT) | instid1(VALU_DEP_3)
	v_add_f64 v[52:53], v[68:69], -v[52:53]
	v_add_f64 v[54:55], v[54:55], -v[70:71]
	s_delay_alu instid0(VALU_DEP_3) | instskip(SKIP_1) | instid1(VALU_DEP_3)
	v_fma_f64 v[70:71], v[66:67], s[2:3], -v[80:81]
	s_mov_b32 s3, 0xbfe62e42
	v_add_f64 v[52:53], v[64:65], -v[52:53]
	s_delay_alu instid0(VALU_DEP_3) | instskip(NEXT) | instid1(VALU_DEP_3)
	v_add_f64 v[50:51], v[50:51], v[54:55]
	v_fma_f64 v[54:55], v[66:67], s[6:7], v[70:71]
	s_mov_b32 s7, 0xbc7abc9e
	s_delay_alu instid0(VALU_DEP_2) | instskip(NEXT) | instid1(VALU_DEP_2)
	v_add_f64 v[50:51], v[50:51], v[52:53]
	v_add_f64 v[52:53], v[80:81], v[54:55]
	s_delay_alu instid0(VALU_DEP_2) | instskip(NEXT) | instid1(VALU_DEP_2)
	v_add_f64 v[64:65], v[68:69], v[50:51]
	v_add_f64 v[80:81], v[52:53], -v[80:81]
	s_delay_alu instid0(VALU_DEP_2) | instskip(SKIP_1) | instid1(VALU_DEP_3)
	v_add_f64 v[66:67], v[52:53], v[64:65]
	v_add_f64 v[68:69], v[64:65], -v[68:69]
	v_add_f64 v[54:55], v[54:55], -v[80:81]
	s_delay_alu instid0(VALU_DEP_3) | instskip(NEXT) | instid1(VALU_DEP_3)
	v_add_f64 v[70:71], v[66:67], -v[52:53]
	v_add_f64 v[50:51], v[50:51], -v[68:69]
	s_delay_alu instid0(VALU_DEP_2) | instskip(SKIP_1) | instid1(VALU_DEP_3)
	v_add_f64 v[82:83], v[66:67], -v[70:71]
	v_add_f64 v[64:65], v[64:65], -v[70:71]
	v_add_f64 v[68:69], v[54:55], v[50:51]
	s_delay_alu instid0(VALU_DEP_3) | instskip(NEXT) | instid1(VALU_DEP_1)
	v_add_f64 v[52:53], v[52:53], -v[82:83]
	v_add_f64 v[52:53], v[64:65], v[52:53]
	s_delay_alu instid0(VALU_DEP_3) | instskip(NEXT) | instid1(VALU_DEP_2)
	v_add_f64 v[64:65], v[68:69], -v[54:55]
	v_add_f64 v[52:53], v[68:69], v[52:53]
	s_delay_alu instid0(VALU_DEP_2) | instskip(SKIP_1) | instid1(VALU_DEP_3)
	v_add_f64 v[68:69], v[68:69], -v[64:65]
	v_add_f64 v[50:51], v[50:51], -v[64:65]
	v_add_f64 v[70:71], v[66:67], v[52:53]
	s_delay_alu instid0(VALU_DEP_3) | instskip(NEXT) | instid1(VALU_DEP_2)
	v_add_f64 v[54:55], v[54:55], -v[68:69]
	v_add_f64 v[64:65], v[70:71], -v[66:67]
	s_delay_alu instid0(VALU_DEP_2) | instskip(NEXT) | instid1(VALU_DEP_2)
	v_add_f64 v[50:51], v[50:51], v[54:55]
	v_add_f64 v[52:53], v[52:53], -v[64:65]
	s_delay_alu instid0(VALU_DEP_1) | instskip(NEXT) | instid1(VALU_DEP_1)
	v_add_f64 v[50:51], v[50:51], v[52:53]
	v_add_f64 v[52:53], v[70:71], v[50:51]
	s_delay_alu instid0(VALU_DEP_1) | instskip(SKIP_1) | instid1(VALU_DEP_2)
	v_add_f64 v[54:55], v[52:53], -v[70:71]
	v_mul_f64 v[64:65], v[38:39], v[52:53]
	v_add_f64 v[50:51], v[50:51], -v[54:55]
	s_delay_alu instid0(VALU_DEP_2) | instskip(SKIP_1) | instid1(VALU_DEP_2)
	v_fma_f64 v[52:53], v[38:39], v[52:53], -v[64:65]
	v_cmp_class_f64_e64 s0, v[64:65], 0x204
	v_fma_f64 v[50:51], v[38:39], v[50:51], v[52:53]
	s_delay_alu instid0(VALU_DEP_1) | instskip(NEXT) | instid1(VALU_DEP_1)
	v_add_f64 v[52:53], v[64:65], v[50:51]
	v_cndmask_b32_e64 v55, v53, v65, s0
	s_delay_alu instid0(VALU_DEP_2) | instskip(SKIP_3) | instid1(VALU_DEP_2)
	v_cndmask_b32_e64 v54, v52, v64, s0
	s_mov_b32 s0, 0x652b82fe
	s_mov_b32 s1, 0x3ff71547
	v_add_f64 v[52:53], v[52:53], -v[64:65]
	v_mul_f64 v[66:67], v[54:55], s[0:1]
	s_mov_b32 s0, 0xfca7ab0c
	s_mov_b32 s1, 0x3e928af3
	s_delay_alu instid0(VALU_DEP_2) | instskip(NEXT) | instid1(VALU_DEP_2)
	v_add_f64 v[50:51], v[50:51], -v[52:53]
	v_rndne_f64_e32 v[66:67], v[66:67]
	s_delay_alu instid0(VALU_DEP_1) | instskip(SKIP_3) | instid1(VALU_DEP_2)
	v_fma_f64 v[68:69], v[66:67], s[2:3], v[54:55]
	s_mov_b32 s2, 0x6a5dcb37
	s_mov_b32 s3, 0x3e5ade15
	v_cvt_i32_f64_e32 v48, v[66:67]
	v_fma_f64 v[68:69], v[66:67], s[6:7], v[68:69]
	s_delay_alu instid0(VALU_DEP_1) | instskip(SKIP_3) | instid1(VALU_DEP_2)
	v_fma_f64 v[70:71], v[68:69], s[2:3], s[0:1]
	s_mov_b32 s0, 0x623fde64
	s_mov_b32 s1, 0x3ec71dee
	v_cmp_ngt_f64_e64 s2, 0xc090cc00, v[54:55]
	v_fma_f64 v[70:71], v[68:69], v[70:71], s[0:1]
	s_mov_b32 s0, 0x7c89e6b0
	s_mov_b32 s1, 0x3efa0199
	s_delay_alu instid0(VALU_DEP_1) | instid1(SALU_CYCLE_1)
	v_fma_f64 v[70:71], v[68:69], v[70:71], s[0:1]
	s_mov_b32 s0, 0x14761f6e
	s_mov_b32 s1, 0x3f2a01a0
	s_delay_alu instid0(VALU_DEP_1) | instid1(SALU_CYCLE_1)
	;; [unrolled: 4-line block ×7, first 2 shown]
	v_fma_f64 v[70:71], v[68:69], v[70:71], s[0:1]
	v_cmp_lt_f64_e64 s0, 0x40900000, v[54:55]
	v_cmp_neq_f64_e64 s1, 0x7ff00000, |v[54:55]|
	s_delay_alu instid0(VALU_DEP_3) | instskip(NEXT) | instid1(VALU_DEP_2)
	v_fma_f64 v[70:71], v[68:69], v[70:71], 1.0
	v_cndmask_b32_e64 v51, 0, v51, s1
	v_cndmask_b32_e64 v50, 0, v50, s1
	s_delay_alu instid0(VALU_DEP_3) | instskip(NEXT) | instid1(VALU_DEP_1)
	v_fma_f64 v[66:67], v[68:69], v[70:71], 1.0
	v_ldexp_f64 v[64:65], v[66:67], v48
	s_delay_alu instid0(VALU_DEP_1) | instskip(SKIP_2) | instid1(VALU_DEP_4)
	v_cndmask_b32_e64 v66, v65, 0x7ff00000, s0
	v_and_b32_e32 v65, 0x7fffffff, v65
	v_mul_f64 v[52:53], v[38:39], 0.5
	v_cndmask_b32_e64 v48, v64, 0, s0
	s_delay_alu instid0(VALU_DEP_4) | instskip(NEXT) | instid1(VALU_DEP_4)
	v_cndmask_b32_e64 v55, 0, v66, s2
	v_cmp_eq_f64_e64 s1, 0x7ff00000, v[64:65]
	v_trunc_f64_e32 v[66:67], v[38:39]
	s_delay_alu instid0(VALU_DEP_4) | instskip(NEXT) | instid1(VALU_DEP_1)
	v_cndmask_b32_e64 v54, 0, v48, s2
	v_fma_f64 v[50:51], v[54:55], v[50:51], v[54:55]
	v_trunc_f64_e32 v[64:65], v[52:53]
	s_or_b32 s1, s0, s1
	s_delay_alu instid0(SALU_CYCLE_1) | instskip(NEXT) | instid1(VALU_DEP_4)
	s_and_b32 s1, s2, s1
	v_cmp_eq_f64_e64 s2, v[66:67], v[38:39]
	s_delay_alu instid0(VALU_DEP_3) | instskip(NEXT) | instid1(VALU_DEP_4)
	v_cndmask_b32_e64 v38, v51, v55, s1
	v_cndmask_b32_e64 v50, v50, v54, s1
	s_delay_alu instid0(VALU_DEP_4) | instskip(NEXT) | instid1(VALU_DEP_2)
	v_cmp_neq_f64_e64 s0, v[64:65], v[52:53]
	v_cndmask_b32_e64 v39, 0, v50, s2
	s_delay_alu instid0(VALU_DEP_2) | instskip(NEXT) | instid1(SALU_CYCLE_1)
	s_and_b32 s0, s2, s0
	v_cndmask_b32_e64 v48, 0x3ff00000, v49, s0
	s_delay_alu instid0(VALU_DEP_1) | instskip(SKIP_1) | instid1(VALU_DEP_2)
	v_bfi_b32 v38, 0x7fffffff, v38, v48
	v_cndmask_b32_e64 v48, v0, 0, vcc_lo
	v_cndmask_b32_e64 v51, 0x7ff80000, v38, s2
	s_delay_alu instid0(VALU_DEP_2) | instskip(NEXT) | instid1(VALU_DEP_2)
	v_cmp_gt_f64_e32 vcc_lo, 0, v[48:49]
	v_cndmask_b32_e32 v38, v38, v51, vcc_lo
	v_cndmask_b32_e32 v39, v50, v39, vcc_lo
	v_cmp_eq_f64_e32 vcc_lo, 0x7ff00000, v[6:7]
	v_cndmask_b32_e64 v6, 0, v49, s0
	s_brev_b32 s0, 1
	s_delay_alu instid0(VALU_DEP_1) | instid1(SALU_CYCLE_1)
	v_and_or_b32 v7, v6, s0, 0x7ff00000
	v_cndmask_b32_e64 v6, v39, 0, vcc_lo
	s_delay_alu instid0(VALU_DEP_2) | instskip(NEXT) | instid1(VALU_DEP_1)
	v_cndmask_b32_e32 v7, v38, v7, vcc_lo
	v_mul_f64 v[4:5], v[6:7], v[4:5]
.LBB1_7:
	s_or_b32 exec_lo, exec_lo, s4
	s_mov_b32 s3, 0x40181945
	s_mov_b32 s2, 0xb9800000
	v_cmp_ngt_f64_e32 vcc_lo, 0x40690000, v[0:1]
	v_add_f64 v[6:7], v[0:1], s[2:3]
	v_cmp_ngt_f64_e64 s0, 0x40690000, v[2:3]
                                        ; implicit-def: $vgpr38_vgpr39
	s_delay_alu instid0(VALU_DEP_2) | instskip(NEXT) | instid1(VALU_DEP_2)
	v_add_f64 v[6:7], v[6:7], -0.5
	s_or_b32 s0, vcc_lo, s0
	s_delay_alu instid0(SALU_CYCLE_1) | instskip(NEXT) | instid1(SALU_CYCLE_1)
	s_and_saveexec_b32 s1, s0
	s_xor_b32 s4, exec_lo, s1
	s_cbranch_execz .LBB1_9
; %bb.8:
	v_add_f64 v[36:37], v[2:3], -v[0:1]
	s_mov_b32 s3, 0xc0181945
	s_mov_b32 s1, 0x3fe55555
	;; [unrolled: 1-line block ×7, first 2 shown]
	s_delay_alu instid0(VALU_DEP_1) | instskip(SKIP_1) | instid1(SALU_CYCLE_1)
	v_add_f64 v[36:37], v[36:37], s[2:3]
	s_mov_b32 s3, 0xc0161945
	v_mul_f64 v[2:3], v[2:3], s[2:3]
	s_mov_b32 s2, 0x6a5dcb37
	s_mov_b32 s3, 0x3e5ade15
	s_delay_alu instid0(VALU_DEP_2) | instskip(NEXT) | instid1(VALU_DEP_1)
	v_add_f64 v[36:37], v[36:37], 0.5
	v_div_scale_f64 v[38:39], null, v[6:7], v[6:7], v[36:37]
	v_div_scale_f64 v[52:53], vcc_lo, v[36:37], v[6:7], v[36:37]
	s_delay_alu instid0(VALU_DEP_2) | instskip(SKIP_2) | instid1(VALU_DEP_1)
	v_rcp_f64_e32 v[48:49], v[38:39]
	s_waitcnt_depctr 0xfff
	v_fma_f64 v[50:51], -v[38:39], v[48:49], 1.0
	v_fma_f64 v[48:49], v[48:49], v[50:51], v[48:49]
	s_delay_alu instid0(VALU_DEP_1) | instskip(NEXT) | instid1(VALU_DEP_1)
	v_fma_f64 v[50:51], -v[38:39], v[48:49], 1.0
	v_fma_f64 v[48:49], v[48:49], v[50:51], v[48:49]
	s_delay_alu instid0(VALU_DEP_1) | instskip(NEXT) | instid1(VALU_DEP_1)
	v_mul_f64 v[50:51], v[52:53], v[48:49]
	v_fma_f64 v[38:39], -v[38:39], v[50:51], v[52:53]
	s_delay_alu instid0(VALU_DEP_1) | instskip(NEXT) | instid1(VALU_DEP_1)
	v_div_fmas_f64 v[38:39], v[38:39], v[48:49], v[50:51]
	v_div_fixup_f64 v[36:37], v[38:39], v[6:7], v[36:37]
	s_delay_alu instid0(VALU_DEP_1) | instskip(NEXT) | instid1(VALU_DEP_1)
	v_add_f64 v[38:39], v[36:37], 1.0
	v_frexp_mant_f64_e32 v[48:49], v[38:39]
	v_frexp_exp_i32_f64_e32 v52, v[38:39]
	v_add_f64 v[50:51], v[38:39], -1.0
	s_delay_alu instid0(VALU_DEP_3) | instskip(SKIP_1) | instid1(VALU_DEP_2)
	v_cmp_gt_f64_e32 vcc_lo, s[0:1], v[48:49]
	s_mov_b32 s0, 0x55555780
	v_add_f64 v[48:49], v[50:51], -v[38:39]
	v_add_f64 v[50:51], v[36:37], -v[50:51]
	v_subrev_co_ci_u32_e32 v84, vcc_lo, 0, v52, vcc_lo
	s_delay_alu instid0(VALU_DEP_3) | instskip(NEXT) | instid1(VALU_DEP_2)
	v_add_f64 v[48:49], v[48:49], 1.0
	v_sub_nc_u32_e32 v54, 0, v84
	s_delay_alu instid0(VALU_DEP_1) | instskip(NEXT) | instid1(VALU_DEP_3)
	v_ldexp_f64 v[38:39], v[38:39], v54
	v_add_f64 v[48:49], v[50:51], v[48:49]
	s_delay_alu instid0(VALU_DEP_2) | instskip(SKIP_1) | instid1(VALU_DEP_3)
	v_add_f64 v[52:53], v[38:39], 1.0
	v_add_f64 v[66:67], v[38:39], -1.0
	v_ldexp_f64 v[48:49], v[48:49], v54
	s_delay_alu instid0(VALU_DEP_3) | instskip(NEXT) | instid1(VALU_DEP_3)
	v_add_f64 v[50:51], v[52:53], -1.0
	v_add_f64 v[68:69], v[66:67], 1.0
	s_delay_alu instid0(VALU_DEP_2) | instskip(NEXT) | instid1(VALU_DEP_2)
	v_add_f64 v[50:51], v[38:39], -v[50:51]
	v_add_f64 v[38:39], v[38:39], -v[68:69]
	s_delay_alu instid0(VALU_DEP_2) | instskip(NEXT) | instid1(VALU_DEP_2)
	v_add_f64 v[50:51], v[48:49], v[50:51]
	v_add_f64 v[38:39], v[48:49], v[38:39]
	s_delay_alu instid0(VALU_DEP_2) | instskip(NEXT) | instid1(VALU_DEP_2)
	v_add_f64 v[54:55], v[52:53], v[50:51]
	v_add_f64 v[68:69], v[66:67], v[38:39]
	s_delay_alu instid0(VALU_DEP_2) | instskip(SKIP_1) | instid1(VALU_DEP_2)
	v_rcp_f64_e32 v[64:65], v[54:55]
	v_add_f64 v[52:53], v[54:55], -v[52:53]
	v_add_f64 v[66:67], v[68:69], -v[66:67]
	s_delay_alu instid0(VALU_DEP_2) | instskip(SKIP_3) | instid1(VALU_DEP_2)
	v_add_f64 v[50:51], v[50:51], -v[52:53]
	s_waitcnt_depctr 0xfff
	v_fma_f64 v[70:71], -v[54:55], v[64:65], 1.0
	v_add_f64 v[38:39], v[38:39], -v[66:67]
	v_fma_f64 v[64:65], v[70:71], v[64:65], v[64:65]
	s_delay_alu instid0(VALU_DEP_1) | instskip(NEXT) | instid1(VALU_DEP_1)
	v_fma_f64 v[48:49], -v[54:55], v[64:65], 1.0
	v_fma_f64 v[48:49], v[48:49], v[64:65], v[64:65]
	s_delay_alu instid0(VALU_DEP_1) | instskip(NEXT) | instid1(VALU_DEP_1)
	v_mul_f64 v[64:65], v[68:69], v[48:49]
	v_mul_f64 v[70:71], v[54:55], v[64:65]
	s_delay_alu instid0(VALU_DEP_1) | instskip(NEXT) | instid1(VALU_DEP_1)
	v_fma_f64 v[52:53], v[64:65], v[54:55], -v[70:71]
	v_fma_f64 v[52:53], v[64:65], v[50:51], v[52:53]
	s_delay_alu instid0(VALU_DEP_1) | instskip(NEXT) | instid1(VALU_DEP_1)
	v_add_f64 v[80:81], v[70:71], v[52:53]
	v_add_f64 v[82:83], v[68:69], -v[80:81]
	v_add_f64 v[66:67], v[80:81], -v[70:71]
	s_delay_alu instid0(VALU_DEP_2) | instskip(NEXT) | instid1(VALU_DEP_2)
	v_add_f64 v[68:69], v[68:69], -v[82:83]
	v_add_f64 v[52:53], v[66:67], -v[52:53]
	s_delay_alu instid0(VALU_DEP_2) | instskip(NEXT) | instid1(VALU_DEP_1)
	v_add_f64 v[68:69], v[68:69], -v[80:81]
	v_add_f64 v[38:39], v[38:39], v[68:69]
	s_delay_alu instid0(VALU_DEP_1) | instskip(NEXT) | instid1(VALU_DEP_1)
	v_add_f64 v[38:39], v[52:53], v[38:39]
	v_add_f64 v[52:53], v[82:83], v[38:39]
	s_delay_alu instid0(VALU_DEP_1) | instskip(SKIP_1) | instid1(VALU_DEP_2)
	v_mul_f64 v[66:67], v[48:49], v[52:53]
	v_add_f64 v[80:81], v[82:83], -v[52:53]
	v_mul_f64 v[68:69], v[54:55], v[66:67]
	s_delay_alu instid0(VALU_DEP_2) | instskip(SKIP_1) | instid1(VALU_DEP_3)
	v_add_f64 v[38:39], v[38:39], v[80:81]
	v_div_scale_f64 v[80:81], null, v[6:7], v[6:7], v[2:3]
	v_fma_f64 v[54:55], v[66:67], v[54:55], -v[68:69]
	s_delay_alu instid0(VALU_DEP_1) | instskip(NEXT) | instid1(VALU_DEP_1)
	v_fma_f64 v[50:51], v[66:67], v[50:51], v[54:55]
	v_add_f64 v[54:55], v[68:69], v[50:51]
	s_delay_alu instid0(VALU_DEP_1) | instskip(SKIP_1) | instid1(VALU_DEP_2)
	v_add_f64 v[70:71], v[52:53], -v[54:55]
	v_add_f64 v[68:69], v[54:55], -v[68:69]
	;; [unrolled: 1-line block ×3, first 2 shown]
	s_delay_alu instid0(VALU_DEP_2) | instskip(NEXT) | instid1(VALU_DEP_2)
	v_add_f64 v[50:51], v[68:69], -v[50:51]
	v_add_f64 v[52:53], v[52:53], -v[54:55]
	s_delay_alu instid0(VALU_DEP_1) | instskip(SKIP_1) | instid1(VALU_DEP_2)
	v_add_f64 v[38:39], v[38:39], v[52:53]
	v_add_f64 v[52:53], v[64:65], v[66:67]
	;; [unrolled: 1-line block ×3, first 2 shown]
	s_delay_alu instid0(VALU_DEP_2) | instskip(NEXT) | instid1(VALU_DEP_2)
	v_add_f64 v[50:51], v[52:53], -v[64:65]
	v_add_f64 v[38:39], v[70:71], v[38:39]
	s_delay_alu instid0(VALU_DEP_2) | instskip(NEXT) | instid1(VALU_DEP_2)
	v_add_f64 v[50:51], v[66:67], -v[50:51]
	v_mul_f64 v[38:39], v[48:49], v[38:39]
	s_delay_alu instid0(VALU_DEP_1) | instskip(NEXT) | instid1(VALU_DEP_1)
	v_add_f64 v[38:39], v[50:51], v[38:39]
	v_add_f64 v[48:49], v[52:53], v[38:39]
	s_delay_alu instid0(VALU_DEP_1) | instskip(NEXT) | instid1(VALU_DEP_1)
	v_mul_f64 v[50:51], v[48:49], v[48:49]
	v_fma_f64 v[54:55], v[50:51], s[8:9], s[6:7]
	s_mov_b32 s6, 0xd7f4df2e
	s_mov_b32 s7, 0x3fc7474d
	v_mul_f64 v[64:65], v[48:49], v[50:51]
	s_mov_b32 s9, 0x3c7abc9e
	s_mov_b32 s8, 0x3b39803f
	s_delay_alu instid0(VALU_DEP_2)
	v_fma_f64 v[54:55], v[50:51], v[54:55], s[6:7]
	s_mov_b32 s6, 0x16291751
	s_mov_b32 s7, 0x3fcc71c0
	s_delay_alu instid0(VALU_DEP_1) | instid1(SALU_CYCLE_1)
	v_fma_f64 v[54:55], v[50:51], v[54:55], s[6:7]
	s_mov_b32 s6, 0x9b27acf1
	s_mov_b32 s7, 0x3fd24924
	s_delay_alu instid0(VALU_DEP_1) | instid1(SALU_CYCLE_1)
	;; [unrolled: 4-line block ×3, first 2 shown]
	v_fma_f64 v[54:55], v[50:51], v[54:55], s[6:7]
	s_mov_b32 s7, 0x3fe62e42
	s_mov_b32 s6, 0xfefa39ef
	s_delay_alu instid0(VALU_DEP_1) | instskip(SKIP_3) | instid1(VALU_DEP_4)
	v_fma_f64 v[50:51], v[50:51], v[54:55], s[0:1]
	v_ldexp_f64 v[54:55], v[48:49], 1
	v_add_f64 v[48:49], v[48:49], -v[52:53]
	v_cmp_eq_f64_e64 s0, 0x7ff00000, v[36:37]
	v_mul_f64 v[50:51], v[64:65], v[50:51]
	v_cvt_f64_i32_e32 v[64:65], v84
	s_delay_alu instid0(VALU_DEP_4) | instskip(NEXT) | instid1(VALU_DEP_3)
	v_add_f64 v[38:39], v[38:39], -v[48:49]
	v_add_f64 v[52:53], v[54:55], v[50:51]
	s_delay_alu instid0(VALU_DEP_3) | instskip(NEXT) | instid1(VALU_DEP_3)
	v_mul_f64 v[66:67], v[64:65], s[6:7]
	v_ldexp_f64 v[38:39], v[38:39], 1
	s_delay_alu instid0(VALU_DEP_3) | instskip(NEXT) | instid1(VALU_DEP_3)
	v_add_f64 v[48:49], v[52:53], -v[54:55]
	v_fma_f64 v[54:55], v[64:65], s[6:7], -v[66:67]
	s_mov_b32 s7, 0xbfe62e42
	s_delay_alu instid0(VALU_DEP_2) | instskip(NEXT) | instid1(VALU_DEP_2)
	v_add_f64 v[48:49], v[50:51], -v[48:49]
	v_fma_f64 v[50:51], v[64:65], s[8:9], v[54:55]
	s_mov_b32 s9, 0xbc7abc9e
	s_delay_alu instid0(VALU_DEP_2) | instskip(NEXT) | instid1(VALU_DEP_2)
	v_add_f64 v[38:39], v[38:39], v[48:49]
	v_add_f64 v[48:49], v[66:67], v[50:51]
	s_delay_alu instid0(VALU_DEP_2) | instskip(NEXT) | instid1(VALU_DEP_2)
	v_add_f64 v[54:55], v[52:53], v[38:39]
	v_add_f64 v[66:67], v[48:49], -v[66:67]
	s_delay_alu instid0(VALU_DEP_2) | instskip(SKIP_1) | instid1(VALU_DEP_3)
	v_add_f64 v[64:65], v[48:49], v[54:55]
	v_add_f64 v[52:53], v[54:55], -v[52:53]
	v_add_f64 v[50:51], v[50:51], -v[66:67]
	s_delay_alu instid0(VALU_DEP_3) | instskip(NEXT) | instid1(VALU_DEP_3)
	v_add_f64 v[68:69], v[64:65], -v[48:49]
	v_add_f64 v[38:39], v[38:39], -v[52:53]
	s_delay_alu instid0(VALU_DEP_2) | instskip(SKIP_2) | instid1(VALU_DEP_3)
	v_add_f64 v[70:71], v[64:65], -v[68:69]
	v_add_f64 v[52:53], v[54:55], -v[68:69]
	v_rcp_f64_e32 v[54:55], v[80:81]
	v_add_f64 v[66:67], v[50:51], v[38:39]
	s_delay_alu instid0(VALU_DEP_3) | instskip(NEXT) | instid1(VALU_DEP_2)
	v_add_f64 v[48:49], v[48:49], -v[70:71]
	v_add_f64 v[68:69], v[66:67], -v[50:51]
	s_delay_alu instid0(VALU_DEP_2) | instskip(SKIP_4) | instid1(VALU_DEP_3)
	v_add_f64 v[48:49], v[52:53], v[48:49]
	s_waitcnt_depctr 0xfff
	v_fma_f64 v[52:53], -v[80:81], v[54:55], 1.0
	v_add_f64 v[38:39], v[38:39], -v[68:69]
	v_add_f64 v[48:49], v[66:67], v[48:49]
	v_fma_f64 v[52:53], v[54:55], v[52:53], v[54:55]
	v_add_f64 v[54:55], v[66:67], -v[68:69]
	s_delay_alu instid0(VALU_DEP_3) | instskip(NEXT) | instid1(VALU_DEP_3)
	v_add_f64 v[66:67], v[64:65], v[48:49]
	v_fma_f64 v[70:71], -v[80:81], v[52:53], 1.0
	s_delay_alu instid0(VALU_DEP_3) | instskip(NEXT) | instid1(VALU_DEP_3)
	v_add_f64 v[50:51], v[50:51], -v[54:55]
	v_add_f64 v[54:55], v[66:67], -v[64:65]
	v_div_scale_f64 v[64:65], vcc_lo, v[2:3], v[6:7], v[2:3]
	s_delay_alu instid0(VALU_DEP_4) | instskip(NEXT) | instid1(VALU_DEP_4)
	v_fma_f64 v[52:53], v[52:53], v[70:71], v[52:53]
	v_add_f64 v[38:39], v[38:39], v[50:51]
	s_delay_alu instid0(VALU_DEP_4) | instskip(NEXT) | instid1(VALU_DEP_3)
	v_add_f64 v[48:49], v[48:49], -v[54:55]
	v_mul_f64 v[50:51], v[64:65], v[52:53]
	s_delay_alu instid0(VALU_DEP_2) | instskip(NEXT) | instid1(VALU_DEP_2)
	v_add_f64 v[38:39], v[38:39], v[48:49]
	v_fma_f64 v[48:49], -v[80:81], v[50:51], v[64:65]
	s_delay_alu instid0(VALU_DEP_2) | instskip(NEXT) | instid1(VALU_DEP_2)
	v_add_f64 v[38:39], v[66:67], v[38:39]
	v_div_fmas_f64 v[48:49], v[48:49], v[52:53], v[50:51]
	v_cmp_ngt_f64_e32 vcc_lo, -1.0, v[36:37]
	s_delay_alu instid0(VALU_DEP_3) | instskip(NEXT) | instid1(VALU_DEP_4)
	v_cndmask_b32_e64 v39, v39, v37, s0
	v_cndmask_b32_e64 v38, v38, v36, s0
	s_mov_b32 s0, 0x652b82fe
	s_delay_alu instid0(VALU_DEP_4)
	v_div_fixup_f64 v[2:3], v[48:49], v[6:7], v[2:3]
	s_mov_b32 s1, 0x3ff71547
	v_cndmask_b32_e32 v39, 0x7ff80000, v39, vcc_lo
	v_cmp_nge_f64_e32 vcc_lo, -1.0, v[36:37]
	v_cndmask_b32_e32 v38, 0, v38, vcc_lo
	v_cmp_neq_f64_e32 vcc_lo, -1.0, v[36:37]
	s_delay_alu instid0(VALU_DEP_4) | instskip(NEXT) | instid1(VALU_DEP_1)
	v_cndmask_b32_e32 v39, 0xfff00000, v39, vcc_lo
	v_add_f64 v[36:37], v[38:39], -v[36:37]
	s_delay_alu instid0(VALU_DEP_1) | instskip(NEXT) | instid1(VALU_DEP_1)
	v_fma_f64 v[0:1], v[36:37], v[0:1], v[2:3]
	v_mul_f64 v[2:3], v[0:1], s[0:1]
	s_mov_b32 s0, 0xfca7ab0c
	s_mov_b32 s1, 0x3e928af3
	v_cmp_nlt_f64_e32 vcc_lo, 0x40900000, v[0:1]
	s_delay_alu instid0(VALU_DEP_2) | instskip(NEXT) | instid1(VALU_DEP_1)
	v_rndne_f64_e32 v[2:3], v[2:3]
	v_fma_f64 v[36:37], v[2:3], s[6:7], v[0:1]
	v_cvt_i32_f64_e32 v48, v[2:3]
	s_delay_alu instid0(VALU_DEP_2) | instskip(NEXT) | instid1(VALU_DEP_1)
	v_fma_f64 v[36:37], v[2:3], s[8:9], v[36:37]
	v_fma_f64 v[38:39], v[36:37], s[2:3], s[0:1]
	s_mov_b32 s0, 0x623fde64
	s_mov_b32 s1, 0x3ec71dee
	s_delay_alu instid0(VALU_DEP_1) | instid1(SALU_CYCLE_1)
	v_fma_f64 v[38:39], v[36:37], v[38:39], s[0:1]
	s_mov_b32 s0, 0x7c89e6b0
	s_mov_b32 s1, 0x3efa0199
	s_delay_alu instid0(VALU_DEP_1) | instid1(SALU_CYCLE_1)
	v_fma_f64 v[38:39], v[36:37], v[38:39], s[0:1]
	s_mov_b32 s0, 0x14761f6e
	s_mov_b32 s1, 0x3f2a01a0
	s_delay_alu instid0(VALU_DEP_1) | instid1(SALU_CYCLE_1)
	v_fma_f64 v[38:39], v[36:37], v[38:39], s[0:1]
	s_mov_b32 s0, 0x1852b7b0
	s_mov_b32 s1, 0x3f56c16c
	s_delay_alu instid0(VALU_DEP_1) | instid1(SALU_CYCLE_1)
	v_fma_f64 v[38:39], v[36:37], v[38:39], s[0:1]
	s_mov_b32 s0, 0x11122322
	s_mov_b32 s1, 0x3f811111
	s_delay_alu instid0(VALU_DEP_1) | instid1(SALU_CYCLE_1)
	v_fma_f64 v[38:39], v[36:37], v[38:39], s[0:1]
	s_mov_b32 s0, 0x555502a1
	s_mov_b32 s1, 0x3fa55555
	s_delay_alu instid0(VALU_DEP_1) | instid1(SALU_CYCLE_1)
	v_fma_f64 v[38:39], v[36:37], v[38:39], s[0:1]
	s_mov_b32 s0, 0x55555511
	s_mov_b32 s1, 0x3fc55555
	s_delay_alu instid0(VALU_DEP_1) | instid1(SALU_CYCLE_1)
	v_fma_f64 v[38:39], v[36:37], v[38:39], s[0:1]
	s_mov_b32 s0, 11
	s_mov_b32 s1, 0x3fe00000
	s_delay_alu instid0(VALU_DEP_1) | instid1(SALU_CYCLE_1)
	v_fma_f64 v[38:39], v[36:37], v[38:39], s[0:1]
	v_cmp_ngt_f64_e64 s0, 0xc090cc00, v[0:1]
                                        ; implicit-def: $vgpr0_vgpr1
	s_delay_alu instid0(VALU_DEP_2) | instskip(NEXT) | instid1(VALU_DEP_1)
	v_fma_f64 v[38:39], v[36:37], v[38:39], 1.0
	v_fma_f64 v[2:3], v[36:37], v[38:39], 1.0
                                        ; implicit-def: $vgpr36_vgpr37
	s_delay_alu instid0(VALU_DEP_1) | instskip(NEXT) | instid1(VALU_DEP_1)
	v_ldexp_f64 v[2:3], v[2:3], v48
	v_cndmask_b32_e32 v3, 0x7ff00000, v3, vcc_lo
	s_and_b32 vcc_lo, s0, vcc_lo
	s_delay_alu instid0(VALU_DEP_2) | instskip(NEXT) | instid1(VALU_DEP_2)
	v_cndmask_b32_e32 v38, 0, v2, vcc_lo
	v_cndmask_b32_e64 v39, 0, v3, s0
                                        ; implicit-def: $vgpr2_vgpr3
.LBB1_9:
	s_and_not1_saveexec_b32 s6, s4
	s_cbranch_execz .LBB1_11
; %bb.10:
	s_delay_alu instid0(VALU_DEP_1)
	v_div_scale_f64 v[38:39], null, v[6:7], v[6:7], v[2:3]
	v_div_scale_f64 v[52:53], vcc_lo, v[2:3], v[6:7], v[2:3]
	s_mov_b32 s3, 0x3fe55555
	s_mov_b32 s2, 0x55555555
	;; [unrolled: 1-line block ×14, first 2 shown]
	s_delay_alu instid0(VALU_DEP_2) | instskip(SKIP_2) | instid1(VALU_DEP_1)
	v_rcp_f64_e32 v[48:49], v[38:39]
	s_waitcnt_depctr 0xfff
	v_fma_f64 v[50:51], -v[38:39], v[48:49], 1.0
	v_fma_f64 v[48:49], v[48:49], v[50:51], v[48:49]
	s_delay_alu instid0(VALU_DEP_1) | instskip(NEXT) | instid1(VALU_DEP_1)
	v_fma_f64 v[50:51], -v[38:39], v[48:49], 1.0
	v_fma_f64 v[48:49], v[48:49], v[50:51], v[48:49]
	s_delay_alu instid0(VALU_DEP_1) | instskip(NEXT) | instid1(VALU_DEP_1)
	v_mul_f64 v[50:51], v[52:53], v[48:49]
	v_fma_f64 v[38:39], -v[38:39], v[50:51], v[52:53]
	v_mov_b32_e32 v52, 0
	s_delay_alu instid0(VALU_DEP_2) | instskip(NEXT) | instid1(VALU_DEP_1)
	v_div_fmas_f64 v[38:39], v[38:39], v[48:49], v[50:51]
	v_div_fixup_f64 v[2:3], v[38:39], v[6:7], v[2:3]
	s_delay_alu instid0(VALU_DEP_1) | instskip(SKIP_1) | instid1(VALU_DEP_2)
	v_cmp_eq_f64_e64 s0, 1.0, v[2:3]
	v_and_b32_e32 v48, 0x7fffffff, v3
	v_cndmask_b32_e64 v39, v1, 0x3ff00000, s0
	v_cndmask_b32_e64 v38, v0, 0, s0
	v_and_b32_e32 v1, 0x7fffffff, v1
	v_cndmask_b32_e64 v0, v0, 0, s0
	s_delay_alu instid0(VALU_DEP_3) | instskip(NEXT) | instid1(VALU_DEP_3)
	v_cmp_eq_f64_e32 vcc_lo, 0, v[38:39]
	v_cndmask_b32_e64 v1, v1, 0x3ff00000, s0
	s_delay_alu instid0(VALU_DEP_1) | instskip(SKIP_4) | instid1(VALU_DEP_3)
	v_cmp_neq_f64_e64 s0, v[38:39], v[0:1]
	v_cndmask_b32_e64 v49, v48, 0x3ff00000, vcc_lo
	v_cndmask_b32_e64 v48, v2, 0, vcc_lo
	;; [unrolled: 1-line block ×4, first 2 shown]
	v_frexp_mant_f64_e32 v[50:51], v[48:49]
	v_cmp_gt_f64_e64 s4, 1.0, v[48:49]
	v_cmp_eq_f64_e32 vcc_lo, 1.0, v[48:49]
	s_delay_alu instid0(VALU_DEP_3) | instskip(NEXT) | instid1(VALU_DEP_3)
	v_cmp_gt_f64_e64 s1, s[2:3], v[50:51]
	s_xor_b32 s0, s0, s4
	s_delay_alu instid0(VALU_DEP_1) | instskip(NEXT) | instid1(VALU_DEP_1)
	v_cndmask_b32_e64 v53, 0x3ff00000, 2.0, s1
	v_mul_f64 v[50:51], v[50:51], v[52:53]
	s_delay_alu instid0(VALU_DEP_1) | instskip(SKIP_1) | instid1(VALU_DEP_2)
	v_add_f64 v[52:53], v[50:51], 1.0
	v_add_f64 v[66:67], v[50:51], -1.0
	v_rcp_f64_e32 v[54:55], v[52:53]
	v_add_f64 v[68:69], v[52:53], -1.0
	s_delay_alu instid0(VALU_DEP_1) | instskip(SKIP_2) | instid1(VALU_DEP_1)
	v_add_f64 v[50:51], v[50:51], -v[68:69]
	s_waitcnt_depctr 0xfff
	v_fma_f64 v[64:65], -v[52:53], v[54:55], 1.0
	v_fma_f64 v[54:55], v[64:65], v[54:55], v[54:55]
	s_delay_alu instid0(VALU_DEP_1) | instskip(NEXT) | instid1(VALU_DEP_1)
	v_fma_f64 v[64:65], -v[52:53], v[54:55], 1.0
	v_fma_f64 v[54:55], v[64:65], v[54:55], v[54:55]
	s_delay_alu instid0(VALU_DEP_1) | instskip(NEXT) | instid1(VALU_DEP_1)
	v_mul_f64 v[64:65], v[66:67], v[54:55]
	v_mul_f64 v[70:71], v[52:53], v[64:65]
	s_delay_alu instid0(VALU_DEP_1) | instskip(NEXT) | instid1(VALU_DEP_1)
	v_fma_f64 v[52:53], v[64:65], v[52:53], -v[70:71]
	v_fma_f64 v[50:51], v[64:65], v[50:51], v[52:53]
	s_delay_alu instid0(VALU_DEP_1) | instskip(NEXT) | instid1(VALU_DEP_1)
	v_add_f64 v[52:53], v[70:71], v[50:51]
	v_add_f64 v[68:69], v[66:67], -v[52:53]
	v_add_f64 v[70:71], v[52:53], -v[70:71]
	s_delay_alu instid0(VALU_DEP_2) | instskip(NEXT) | instid1(VALU_DEP_2)
	v_add_f64 v[66:67], v[66:67], -v[68:69]
	v_add_f64 v[50:51], v[70:71], -v[50:51]
	s_delay_alu instid0(VALU_DEP_2) | instskip(NEXT) | instid1(VALU_DEP_1)
	v_add_f64 v[52:53], v[66:67], -v[52:53]
	v_add_f64 v[50:51], v[50:51], v[52:53]
	s_delay_alu instid0(VALU_DEP_1) | instskip(NEXT) | instid1(VALU_DEP_1)
	v_add_f64 v[50:51], v[68:69], v[50:51]
	v_mul_f64 v[50:51], v[54:55], v[50:51]
	s_delay_alu instid0(VALU_DEP_1) | instskip(NEXT) | instid1(VALU_DEP_1)
	v_add_f64 v[52:53], v[64:65], v[50:51]
	v_add_f64 v[54:55], v[52:53], -v[64:65]
	v_mul_f64 v[64:65], v[52:53], v[52:53]
	s_delay_alu instid0(VALU_DEP_2) | instskip(NEXT) | instid1(VALU_DEP_2)
	v_add_f64 v[50:51], v[50:51], -v[54:55]
	v_fma_f64 v[54:55], v[52:53], v[52:53], -v[64:65]
	s_delay_alu instid0(VALU_DEP_2) | instskip(NEXT) | instid1(VALU_DEP_1)
	v_add_f64 v[66:67], v[50:51], v[50:51]
	v_fma_f64 v[54:55], v[52:53], v[66:67], v[54:55]
	s_delay_alu instid0(VALU_DEP_1) | instskip(NEXT) | instid1(VALU_DEP_1)
	v_add_f64 v[66:67], v[64:65], v[54:55]
	v_fma_f64 v[68:69], v[66:67], s[10:11], s[8:9]
	s_mov_b32 s8, 0x3abe935a
	s_mov_b32 s9, 0x3fbe25e4
	v_add_f64 v[64:65], v[66:67], -v[64:65]
	v_mul_f64 v[82:83], v[52:53], v[66:67]
	s_mov_b32 s11, 0x3c7abc9e
	s_delay_alu instid0(VALU_DEP_3) | instskip(SKIP_2) | instid1(VALU_DEP_3)
	v_fma_f64 v[68:69], v[66:67], v[68:69], s[8:9]
	s_mov_b32 s8, 0x47e6c9c2
	s_mov_b32 s9, 0x3fc110ef
	v_add_f64 v[54:55], v[54:55], -v[64:65]
	s_delay_alu instid0(VALU_DEP_2)
	v_fma_f64 v[68:69], v[66:67], v[68:69], s[8:9]
	s_mov_b32 s8, 0xcfa74449
	s_mov_b32 s9, 0x3fc3b13b
	s_delay_alu instid0(VALU_DEP_1) | instid1(SALU_CYCLE_1)
	v_fma_f64 v[68:69], v[66:67], v[68:69], s[8:9]
	s_mov_b32 s8, 0x71bf3c30
	s_mov_b32 s9, 0x3fc745d1
	s_delay_alu instid0(VALU_DEP_1) | instid1(SALU_CYCLE_1)
	;; [unrolled: 4-line block ×5, first 2 shown]
	v_fma_f64 v[68:69], v[66:67], v[68:69], s[8:9]
	s_mov_b32 s9, 0x3fe62e42
	s_delay_alu instid0(VALU_DEP_1) | instskip(NEXT) | instid1(VALU_DEP_1)
	v_mul_f64 v[70:71], v[66:67], v[68:69]
	v_fma_f64 v[64:65], v[66:67], v[68:69], -v[70:71]
	s_delay_alu instid0(VALU_DEP_1) | instskip(NEXT) | instid1(VALU_DEP_1)
	v_fma_f64 v[64:65], v[54:55], v[68:69], v[64:65]
	v_add_f64 v[68:69], v[70:71], v[64:65]
	s_delay_alu instid0(VALU_DEP_1)
	v_add_f64 v[80:81], v[68:69], s[2:3]
	v_add_f64 v[70:71], v[68:69], -v[70:71]
	s_mov_b32 s3, 0xbfe55555
	s_delay_alu instid0(VALU_DEP_2) | instid1(SALU_CYCLE_1)
	v_add_f64 v[84:85], v[80:81], s[2:3]
	s_delay_alu instid0(VALU_DEP_2) | instskip(SKIP_3) | instid1(VALU_DEP_3)
	v_add_f64 v[64:65], v[64:65], -v[70:71]
	v_fma_f64 v[70:71], v[66:67], v[52:53], -v[82:83]
	s_mov_b32 s2, 0xd5df274d
	s_mov_b32 s3, 0x3c8543b0
	v_add_f64 v[68:69], v[68:69], -v[84:85]
	s_delay_alu instid0(VALU_DEP_3) | instskip(NEXT) | instid1(VALU_DEP_3)
	v_add_f64 v[64:65], v[64:65], s[2:3]
	v_fma_f64 v[66:67], v[66:67], v[50:51], v[70:71]
	s_mov_b32 s2, 0xfefa39ef
	s_mov_b32 s3, 0xbfe62e42
	;; [unrolled: 1-line block ×3, first 2 shown]
	v_ldexp_f64 v[50:51], v[50:51], 1
	s_delay_alu instid0(VALU_DEP_3) | instskip(NEXT) | instid1(VALU_DEP_3)
	v_add_f64 v[64:65], v[64:65], v[68:69]
	v_fma_f64 v[54:55], v[54:55], v[52:53], v[66:67]
	v_ldexp_f64 v[52:53], v[52:53], 1
	s_delay_alu instid0(VALU_DEP_3) | instskip(NEXT) | instid1(VALU_DEP_3)
	v_add_f64 v[66:67], v[80:81], v[64:65]
	v_add_f64 v[68:69], v[82:83], v[54:55]
	s_delay_alu instid0(VALU_DEP_2) | instskip(NEXT) | instid1(VALU_DEP_2)
	v_add_f64 v[70:71], v[80:81], -v[66:67]
	v_mul_f64 v[80:81], v[68:69], v[66:67]
	v_add_f64 v[82:83], v[68:69], -v[82:83]
	s_delay_alu instid0(VALU_DEP_3) | instskip(NEXT) | instid1(VALU_DEP_3)
	v_add_f64 v[64:65], v[64:65], v[70:71]
	v_fma_f64 v[70:71], v[68:69], v[66:67], -v[80:81]
	s_delay_alu instid0(VALU_DEP_3) | instskip(NEXT) | instid1(VALU_DEP_2)
	v_add_f64 v[54:55], v[54:55], -v[82:83]
	v_fma_f64 v[64:65], v[68:69], v[64:65], v[70:71]
	s_delay_alu instid0(VALU_DEP_1) | instskip(SKIP_1) | instid1(VALU_DEP_2)
	v_fma_f64 v[54:55], v[54:55], v[66:67], v[64:65]
	v_frexp_exp_i32_f64_e32 v66, v[48:49]
	v_add_f64 v[64:65], v[80:81], v[54:55]
	s_delay_alu instid0(VALU_DEP_2) | instskip(NEXT) | instid1(VALU_DEP_1)
	v_subrev_co_ci_u32_e64 v66, s1, 0, v66, s1
	v_cvt_f64_i32_e32 v[66:67], v66
	s_delay_alu instid0(VALU_DEP_3) | instskip(SKIP_1) | instid1(VALU_DEP_3)
	v_add_f64 v[68:69], v[52:53], v[64:65]
	v_add_f64 v[70:71], v[64:65], -v[80:81]
	v_mul_f64 v[80:81], v[66:67], s[8:9]
	s_delay_alu instid0(VALU_DEP_3) | instskip(NEXT) | instid1(VALU_DEP_3)
	v_add_f64 v[52:53], v[68:69], -v[52:53]
	v_add_f64 v[54:55], v[54:55], -v[70:71]
	s_delay_alu instid0(VALU_DEP_3) | instskip(SKIP_3) | instid1(VALU_DEP_3)
	v_fma_f64 v[70:71], v[66:67], s[8:9], -v[80:81]
	s_mov_b32 s8, 0x3b39803f
	s_mov_b32 s9, 0xbc7abc9e
	;; [unrolled: 1-line block ×3, first 2 shown]
	v_add_f64 v[52:53], v[64:65], -v[52:53]
	s_delay_alu instid0(VALU_DEP_3) | instskip(NEXT) | instid1(VALU_DEP_3)
	v_add_f64 v[50:51], v[50:51], v[54:55]
	v_fma_f64 v[54:55], v[66:67], s[10:11], v[70:71]
	s_mov_b32 s10, 0x652b82fe
	s_mov_b32 s11, 0x3ff71547
	s_delay_alu instid0(VALU_DEP_2) | instskip(NEXT) | instid1(VALU_DEP_2)
	v_add_f64 v[50:51], v[50:51], v[52:53]
	v_add_f64 v[52:53], v[80:81], v[54:55]
	s_delay_alu instid0(VALU_DEP_2) | instskip(NEXT) | instid1(VALU_DEP_2)
	v_add_f64 v[64:65], v[68:69], v[50:51]
	v_add_f64 v[80:81], v[52:53], -v[80:81]
	s_delay_alu instid0(VALU_DEP_2) | instskip(SKIP_1) | instid1(VALU_DEP_3)
	v_add_f64 v[66:67], v[52:53], v[64:65]
	v_add_f64 v[68:69], v[64:65], -v[68:69]
	v_add_f64 v[54:55], v[54:55], -v[80:81]
	v_mul_f64 v[80:81], v[36:37], s[10:11]
	s_delay_alu instid0(VALU_DEP_4) | instskip(NEXT) | instid1(VALU_DEP_4)
	v_add_f64 v[70:71], v[66:67], -v[52:53]
	v_add_f64 v[50:51], v[50:51], -v[68:69]
	s_delay_alu instid0(VALU_DEP_3) | instskip(NEXT) | instid1(VALU_DEP_3)
	v_rndne_f64_e32 v[80:81], v[80:81]
	v_add_f64 v[82:83], v[66:67], -v[70:71]
	v_add_f64 v[64:65], v[64:65], -v[70:71]
	s_delay_alu instid0(VALU_DEP_4) | instskip(NEXT) | instid1(VALU_DEP_3)
	v_add_f64 v[68:69], v[54:55], v[50:51]
	v_add_f64 v[52:53], v[52:53], -v[82:83]
	v_fma_f64 v[82:83], v[80:81], s[2:3], v[36:37]
	s_delay_alu instid0(VALU_DEP_2) | instskip(NEXT) | instid1(VALU_DEP_4)
	v_add_f64 v[52:53], v[64:65], v[52:53]
	v_add_f64 v[64:65], v[68:69], -v[54:55]
	s_delay_alu instid0(VALU_DEP_3) | instskip(NEXT) | instid1(VALU_DEP_3)
	v_fma_f64 v[82:83], v[80:81], s[8:9], v[82:83]
	v_add_f64 v[52:53], v[68:69], v[52:53]
	s_delay_alu instid0(VALU_DEP_3) | instskip(SKIP_1) | instid1(VALU_DEP_4)
	v_add_f64 v[68:69], v[68:69], -v[64:65]
	v_add_f64 v[50:51], v[50:51], -v[64:65]
	v_fma_f64 v[84:85], v[82:83], s[14:15], s[12:13]
	s_delay_alu instid0(VALU_DEP_4) | instskip(NEXT) | instid1(VALU_DEP_4)
	v_add_f64 v[70:71], v[66:67], v[52:53]
	v_add_f64 v[54:55], v[54:55], -v[68:69]
	s_delay_alu instid0(VALU_DEP_3) | instskip(NEXT) | instid1(VALU_DEP_3)
	v_fma_f64 v[84:85], v[82:83], v[84:85], s[16:17]
	v_add_f64 v[64:65], v[70:71], -v[66:67]
	s_delay_alu instid0(VALU_DEP_3) | instskip(NEXT) | instid1(VALU_DEP_2)
	v_add_f64 v[50:51], v[50:51], v[54:55]
	v_add_f64 v[52:53], v[52:53], -v[64:65]
	s_delay_alu instid0(VALU_DEP_1) | instskip(NEXT) | instid1(VALU_DEP_1)
	v_add_f64 v[50:51], v[50:51], v[52:53]
	v_add_f64 v[52:53], v[70:71], v[50:51]
	s_delay_alu instid0(VALU_DEP_1) | instskip(SKIP_1) | instid1(VALU_DEP_2)
	v_add_f64 v[54:55], v[52:53], -v[70:71]
	v_mul_f64 v[64:65], v[38:39], v[52:53]
	v_add_f64 v[50:51], v[50:51], -v[54:55]
	s_delay_alu instid0(VALU_DEP_2) | instskip(SKIP_1) | instid1(VALU_DEP_2)
	v_fma_f64 v[52:53], v[38:39], v[52:53], -v[64:65]
	v_cmp_class_f64_e64 s1, v[64:65], 0x204
	v_fma_f64 v[50:51], v[38:39], v[50:51], v[52:53]
	s_delay_alu instid0(VALU_DEP_1) | instskip(NEXT) | instid1(VALU_DEP_1)
	v_add_f64 v[52:53], v[64:65], v[50:51]
	v_cndmask_b32_e64 v55, v53, v65, s1
	s_delay_alu instid0(VALU_DEP_2) | instskip(SKIP_1) | instid1(VALU_DEP_2)
	v_cndmask_b32_e64 v54, v52, v64, s1
	v_add_f64 v[52:53], v[52:53], -v[64:65]
	v_mul_f64 v[66:67], v[54:55], s[10:11]
	s_mov_b32 s10, 0x7c89e6b0
	s_mov_b32 s11, 0x3efa0199
	v_cmp_lt_f64_e64 s1, 0x40900000, v[54:55]
	v_fma_f64 v[84:85], v[82:83], v[84:85], s[10:11]
	s_delay_alu instid0(VALU_DEP_4) | instskip(SKIP_2) | instid1(VALU_DEP_4)
	v_add_f64 v[50:51], v[50:51], -v[52:53]
	v_mul_f64 v[52:53], v[38:39], 0.5
	v_rndne_f64_e32 v[66:67], v[66:67]
	v_fma_f64 v[84:85], v[82:83], v[84:85], s[18:19]
	s_delay_alu instid0(VALU_DEP_2) | instskip(SKIP_3) | instid1(VALU_DEP_3)
	v_fma_f64 v[68:69], v[66:67], s[2:3], v[54:55]
	s_mov_b32 s2, 0x1852b7b0
	s_mov_b32 s3, 0x3f56c16c
	v_cvt_i32_f64_e32 v86, v[66:67]
	v_fma_f64 v[84:85], v[82:83], v[84:85], s[2:3]
	s_delay_alu instid0(VALU_DEP_3) | instskip(SKIP_2) | instid1(VALU_DEP_1)
	v_fma_f64 v[68:69], v[66:67], s[8:9], v[68:69]
	s_mov_b32 s8, 0x11122322
	s_mov_b32 s9, 0x3f811111
	v_fma_f64 v[70:71], v[68:69], s[14:15], s[12:13]
	s_mov_b32 s12, 0x555502a1
	s_mov_b32 s13, 0x3fa55555
	;; [unrolled: 1-line block ×4, first 2 shown]
	s_delay_alu instid0(VALU_DEP_1) | instskip(NEXT) | instid1(VALU_DEP_1)
	v_fma_f64 v[70:71], v[68:69], v[70:71], s[16:17]
	v_fma_f64 v[70:71], v[68:69], v[70:71], s[10:11]
	s_mov_b32 s10, 11
	s_mov_b32 s11, 0x3fe00000
	s_delay_alu instid0(VALU_DEP_1) | instskip(NEXT) | instid1(VALU_DEP_1)
	v_fma_f64 v[70:71], v[68:69], v[70:71], s[18:19]
	v_fma_f64 v[70:71], v[68:69], v[70:71], s[2:3]
	v_cmp_neq_f64_e64 s2, 0x7ff00000, |v[54:55]|
	v_cmp_ngt_f64_e64 s3, 0xc090cc00, v[54:55]
	s_delay_alu instid0(VALU_DEP_3) | instskip(NEXT) | instid1(VALU_DEP_3)
	v_fma_f64 v[70:71], v[68:69], v[70:71], s[8:9]
	v_cndmask_b32_e64 v51, 0, v51, s2
	v_cndmask_b32_e64 v50, 0, v50, s2
	s_delay_alu instid0(VALU_DEP_3) | instskip(NEXT) | instid1(VALU_DEP_1)
	v_fma_f64 v[70:71], v[68:69], v[70:71], s[12:13]
	v_fma_f64 v[70:71], v[68:69], v[70:71], s[14:15]
	s_delay_alu instid0(VALU_DEP_1) | instskip(NEXT) | instid1(VALU_DEP_1)
	v_fma_f64 v[70:71], v[68:69], v[70:71], s[10:11]
	v_fma_f64 v[70:71], v[68:69], v[70:71], 1.0
	s_delay_alu instid0(VALU_DEP_1) | instskip(SKIP_1) | instid1(VALU_DEP_2)
	v_fma_f64 v[66:67], v[68:69], v[70:71], 1.0
	v_fma_f64 v[68:69], v[82:83], v[84:85], s[8:9]
	v_ldexp_f64 v[64:65], v[66:67], v86
	s_delay_alu instid0(VALU_DEP_2) | instskip(NEXT) | instid1(VALU_DEP_2)
	v_fma_f64 v[66:67], v[82:83], v[68:69], s[12:13]
	v_cndmask_b32_e64 v69, v65, 0x7ff00000, s1
	s_delay_alu instid0(VALU_DEP_2) | instskip(SKIP_2) | instid1(VALU_DEP_4)
	v_fma_f64 v[54:55], v[82:83], v[66:67], s[14:15]
	v_and_b32_e32 v65, 0x7fffffff, v65
	v_cndmask_b32_e64 v68, v64, 0, s1
	v_cndmask_b32_e64 v67, 0, v69, s3
	s_delay_alu instid0(VALU_DEP_3) | instskip(NEXT) | instid1(VALU_DEP_3)
	v_cmp_eq_f64_e64 s2, 0x7ff00000, v[64:65]
	v_cndmask_b32_e64 v66, 0, v68, s3
	v_trunc_f64_e32 v[64:65], v[52:53]
	v_trunc_f64_e32 v[68:69], v[38:39]
	s_delay_alu instid0(VALU_DEP_3) | instskip(SKIP_2) | instid1(VALU_DEP_4)
	v_fma_f64 v[50:51], v[66:67], v[50:51], v[66:67]
	v_fma_f64 v[54:55], v[82:83], v[54:55], s[10:11]
	s_or_b32 s2, s1, s2
	v_cmp_neq_f64_e64 s1, v[64:65], v[52:53]
	s_and_b32 s2, s3, s2
	s_delay_alu instid0(VALU_DEP_4)
	v_cmp_eq_f64_e64 s3, v[68:69], v[38:39]
	v_cndmask_b32_e64 v65, v0, 0, s0
	v_cndmask_b32_e64 v64, v50, v66, s2
	v_cndmask_b32_e64 v66, v1, 0, s0
	v_cmp_gt_f64_e64 s0, 0, v[2:3]
	v_cndmask_b32_e64 v50, v51, v67, s2
	v_cmp_gt_f64_e64 s2, 0, v[38:39]
	v_cvt_i32_f64_e32 v68, v[80:81]
	v_fma_f64 v[52:53], v[82:83], v[54:55], 1.0
	s_and_b32 s1, s3, s1
	v_cndmask_b32_e64 v54, 0, v64, s3
	v_cndmask_b32_e64 v51, 0x3ff00000, v3, s1
	s_delay_alu instid0(VALU_DEP_2) | instskip(NEXT) | instid1(VALU_DEP_2)
	v_cndmask_b32_e64 v54, v64, v54, s0
	v_bfi_b32 v55, 0x7fffffff, v50, v51
	s_delay_alu instid0(VALU_DEP_1) | instskip(SKIP_1) | instid1(VALU_DEP_2)
	v_cndmask_b32_e64 v67, 0x7ff80000, v55, s3
	v_cmp_eq_f64_e64 s3, 0, v[2:3]
	v_cndmask_b32_e64 v55, v55, v67, s0
	v_cmp_eq_f64_e64 s0, 0x7ff00000, v[48:49]
	v_fma_f64 v[50:51], v[82:83], v[52:53], 1.0
	v_dual_cndmask_b32 v52, v66, v49 :: v_dual_cndmask_b32 v53, v65, v48
	v_cmp_eq_f64_e32 vcc_lo, 0x7ff00000, v[0:1]
	v_cndmask_b32_e64 v49, 0, v3, s1
	v_cmp_ngt_f64_e64 s1, 0xc090cc00, v[36:37]
	s_xor_b32 s2, s2, s3
	s_delay_alu instid0(SALU_CYCLE_1) | instskip(SKIP_1) | instid1(VALU_DEP_1)
	v_cndmask_b32_e64 v48, 0x7ff00000, 0, s2
	s_or_b32 s0, s0, s3
	v_bfi_b32 v48, 0x7fffffff, v48, v49
	v_ldexp_f64 v[0:1], v[50:51], v68
	v_dual_cndmask_b32 v49, v54, v53 :: v_dual_cndmask_b32 v50, v55, v52
	v_cmp_nlt_f64_e32 vcc_lo, 0x40900000, v[36:37]
	s_delay_alu instid0(VALU_DEP_2) | instskip(NEXT) | instid1(VALU_DEP_3)
	v_cndmask_b32_e64 v37, v49, 0, s0
	v_cndmask_b32_e64 v36, v50, v48, s0
	v_cmp_o_f64_e64 s0, v[2:3], v[38:39]
	v_cndmask_b32_e32 v1, 0x7ff00000, v1, vcc_lo
	s_and_b32 vcc_lo, s1, vcc_lo
	v_cndmask_b32_e32 v0, 0, v0, vcc_lo
	s_delay_alu instid0(VALU_DEP_2) | instskip(NEXT) | instid1(VALU_DEP_4)
	v_cndmask_b32_e64 v1, 0, v1, s1
	v_cndmask_b32_e64 v2, 0, v37, s0
	;; [unrolled: 1-line block ×3, first 2 shown]
	s_delay_alu instid0(VALU_DEP_1)
	v_mul_f64 v[38:39], v[0:1], v[2:3]
.LBB1_11:
	s_or_b32 exec_lo, exec_lo, s6
	s_waitcnt vmcnt(11)
	v_fma_f64 v[0:1], v[8:9], v[14:15], v[32:33]
	s_mov_b32 s0, 0x8b145769
	s_mov_b32 s1, 0x4005bf0a
	s_delay_alu instid0(VALU_DEP_2) | instid1(SALU_CYCLE_1)
	v_div_scale_f64 v[2:3], null, s[0:1], s[0:1], v[6:7]
	s_waitcnt vmcnt(10)
	s_delay_alu instid0(VALU_DEP_2) | instskip(NEXT) | instid1(VALU_DEP_2)
	v_fma_f64 v[0:1], v[8:9], v[0:1], v[34:35]
	v_rcp_f64_e32 v[14:15], v[2:3]
	s_waitcnt vmcnt(9)
	s_delay_alu instid0(VALU_DEP_1) | instskip(SKIP_1) | instid1(VALU_DEP_1)
	v_fma_f64 v[0:1], v[8:9], v[0:1], v[24:25]
	s_waitcnt vmcnt(8)
	v_fma_f64 v[0:1], v[8:9], v[0:1], v[18:19]
	s_waitcnt_depctr 0xfff
	v_fma_f64 v[18:19], -v[2:3], v[14:15], 1.0
	s_waitcnt vmcnt(7)
	v_fma_f64 v[0:1], v[8:9], v[0:1], v[26:27]
	s_delay_alu instid0(VALU_DEP_2) | instskip(SKIP_1) | instid1(VALU_DEP_2)
	v_fma_f64 v[14:15], v[14:15], v[18:19], v[14:15]
	s_waitcnt vmcnt(6)
	v_fma_f64 v[0:1], v[8:9], v[0:1], v[20:21]
	s_delay_alu instid0(VALU_DEP_2) | instskip(SKIP_2) | instid1(VALU_DEP_3)
	v_fma_f64 v[18:19], -v[2:3], v[14:15], 1.0
	v_div_scale_f64 v[20:21], vcc_lo, v[6:7], s[0:1], v[6:7]
	s_waitcnt vmcnt(5)
	v_fma_f64 v[0:1], v[8:9], v[0:1], v[28:29]
	s_delay_alu instid0(VALU_DEP_3) | instskip(SKIP_1) | instid1(VALU_DEP_2)
	v_fma_f64 v[14:15], v[14:15], v[18:19], v[14:15]
	s_waitcnt vmcnt(4)
	v_fma_f64 v[0:1], v[8:9], v[0:1], v[30:31]
	s_delay_alu instid0(VALU_DEP_2) | instskip(SKIP_1) | instid1(VALU_DEP_2)
	v_mul_f64 v[18:19], v[20:21], v[14:15]
	s_waitcnt vmcnt(3)
	v_fma_f64 v[0:1], v[8:9], v[0:1], v[22:23]
	s_delay_alu instid0(VALU_DEP_2) | instskip(SKIP_1) | instid1(VALU_DEP_2)
	v_fma_f64 v[2:3], -v[2:3], v[18:19], v[20:21]
	s_waitcnt vmcnt(2)
	v_fma_f64 v[0:1], v[8:9], v[0:1], v[16:17]
	s_delay_alu instid0(VALU_DEP_2) | instskip(SKIP_1) | instid1(VALU_DEP_2)
	v_div_fmas_f64 v[2:3], v[2:3], v[14:15], v[18:19]
	s_waitcnt vmcnt(1)
	v_fma_f64 v[0:1], v[8:9], v[0:1], v[12:13]
	s_delay_alu instid0(VALU_DEP_2) | instskip(SKIP_1) | instid1(VALU_DEP_2)
	v_div_fixup_f64 v[2:3], v[2:3], s[0:1], v[6:7]
	s_waitcnt vmcnt(0)
	v_fma_f64 v[0:1], v[8:9], v[0:1], v[10:11]
	s_delay_alu instid0(VALU_DEP_2) | instskip(NEXT) | instid1(VALU_DEP_2)
	v_cmp_gt_f64_e64 s0, 0x10000000, v[2:3]
	v_div_scale_f64 v[18:19], vcc_lo, v[4:5], v[0:1], v[4:5]
	s_delay_alu instid0(VALU_DEP_2) | instskip(NEXT) | instid1(VALU_DEP_1)
	v_cndmask_b32_e64 v6, 0, 1, s0
	v_lshlrev_b32_e32 v6, 8, v6
	s_delay_alu instid0(VALU_DEP_1) | instskip(SKIP_1) | instid1(VALU_DEP_2)
	v_ldexp_f64 v[2:3], v[2:3], v6
	v_div_scale_f64 v[6:7], null, v[0:1], v[0:1], v[4:5]
	v_rsq_f64_e32 v[8:9], v[2:3]
	s_delay_alu instid0(VALU_DEP_1) | instskip(SKIP_4) | instid1(VALU_DEP_2)
	v_rcp_f64_e32 v[10:11], v[6:7]
	s_waitcnt_depctr 0xfff
	v_mul_f64 v[12:13], v[2:3], v[8:9]
	v_mul_f64 v[8:9], v[8:9], 0.5
	v_fma_f64 v[14:15], -v[6:7], v[10:11], 1.0
	v_fma_f64 v[16:17], -v[8:9], v[12:13], 0.5
	s_delay_alu instid0(VALU_DEP_2) | instskip(NEXT) | instid1(VALU_DEP_2)
	v_fma_f64 v[10:11], v[10:11], v[14:15], v[10:11]
	v_fma_f64 v[12:13], v[12:13], v[16:17], v[12:13]
	s_delay_alu instid0(VALU_DEP_2) | instskip(SKIP_1) | instid1(VALU_DEP_3)
	v_fma_f64 v[14:15], -v[6:7], v[10:11], 1.0
	v_fma_f64 v[8:9], v[8:9], v[16:17], v[8:9]
	v_fma_f64 v[16:17], -v[12:13], v[12:13], v[2:3]
	s_delay_alu instid0(VALU_DEP_3) | instskip(NEXT) | instid1(VALU_DEP_2)
	v_fma_f64 v[10:11], v[10:11], v[14:15], v[10:11]
	v_fma_f64 v[12:13], v[16:17], v[8:9], v[12:13]
	s_delay_alu instid0(VALU_DEP_2) | instskip(NEXT) | instid1(VALU_DEP_2)
	v_mul_f64 v[14:15], v[18:19], v[10:11]
	v_fma_f64 v[16:17], -v[12:13], v[12:13], v[2:3]
	s_delay_alu instid0(VALU_DEP_2) | instskip(NEXT) | instid1(VALU_DEP_2)
	v_fma_f64 v[6:7], -v[6:7], v[14:15], v[18:19]
	v_fma_f64 v[8:9], v[16:17], v[8:9], v[12:13]
	s_delay_alu instid0(VALU_DEP_2) | instskip(SKIP_2) | instid1(VALU_DEP_2)
	v_div_fmas_f64 v[6:7], v[6:7], v[10:11], v[14:15]
	v_cndmask_b32_e64 v10, 0, 0xffffff80, s0
	v_cmp_class_f64_e64 vcc_lo, v[2:3], 0x260
	v_ldexp_f64 v[8:9], v[8:9], v10
	s_delay_alu instid0(VALU_DEP_4) | instskip(NEXT) | instid1(VALU_DEP_2)
	v_div_fixup_f64 v[0:1], v[6:7], v[0:1], v[4:5]
	v_dual_cndmask_b32 v3, v9, v3 :: v_dual_cndmask_b32 v2, v8, v2
	s_delay_alu instid0(VALU_DEP_1) | instskip(NEXT) | instid1(VALU_DEP_1)
	v_div_scale_f64 v[4:5], null, v[0:1], v[0:1], v[2:3]
	v_rcp_f64_e32 v[6:7], v[4:5]
	s_waitcnt_depctr 0xfff
	v_fma_f64 v[8:9], -v[4:5], v[6:7], 1.0
	s_delay_alu instid0(VALU_DEP_1) | instskip(NEXT) | instid1(VALU_DEP_1)
	v_fma_f64 v[6:7], v[6:7], v[8:9], v[6:7]
	v_fma_f64 v[8:9], -v[4:5], v[6:7], 1.0
	s_delay_alu instid0(VALU_DEP_1) | instskip(SKIP_1) | instid1(VALU_DEP_1)
	v_fma_f64 v[6:7], v[6:7], v[8:9], v[6:7]
	v_div_scale_f64 v[8:9], vcc_lo, v[2:3], v[0:1], v[2:3]
	v_mul_f64 v[10:11], v[8:9], v[6:7]
	s_delay_alu instid0(VALU_DEP_1) | instskip(NEXT) | instid1(VALU_DEP_1)
	v_fma_f64 v[4:5], -v[4:5], v[10:11], v[8:9]
	v_div_fmas_f64 v[4:5], v[4:5], v[6:7], v[10:11]
                                        ; implicit-def: $vgpr6_vgpr7
	s_delay_alu instid0(VALU_DEP_1) | instskip(NEXT) | instid1(VALU_DEP_1)
	v_div_fixup_f64 v[0:1], v[4:5], v[0:1], v[2:3]
                                        ; implicit-def: $vgpr2_vgpr3
	v_mul_f64 v[4:5], v[0:1], v[38:39]
                                        ; implicit-def: $vgpr0_vgpr1
	s_and_not1_saveexec_b32 s6, s5
	s_cbranch_execz .LBB1_2
.LBB1_12:
                                        ; implicit-def: $vgpr4_vgpr5
	s_mov_b32 s0, exec_lo
	v_cmpx_lt_u32_e32 0x3f6fffff, v7
	s_xor_b32 s2, exec_lo, s0
	s_cbranch_execz .LBB1_38
; %bb.13:
                                        ; implicit-def: $vgpr4_vgpr5
	s_mov_b32 s0, exec_lo
	v_cmpx_lt_u32_e32 0x3fffffff, v7
	s_xor_b32 s1, exec_lo, s0
	s_cbranch_execz .LBB1_23
; %bb.14:
	s_mov_b32 s0, exec_lo
                                        ; implicit-def: $vgpr4_vgpr5
	v_cmpx_lt_u32_e32 0x401fffff, v7
	s_xor_b32 s0, exec_lo, s0
	s_cbranch_execz .LBB1_20
; %bb.15:
	s_mov_b32 s3, exec_lo
                                        ; implicit-def: $vgpr4_vgpr5
	v_cmpx_lt_u32_e32 0x438fffff, v7
	s_xor_b32 s3, exec_lo, s3
	s_cbranch_execz .LBB1_17
; %bb.16:
	v_frexp_mant_f64_e64 v[4:5], |v[0:1]|
	s_mov_b32 s5, 0x3fe55555
	s_mov_b32 s4, 0x55555555
	v_mov_b32_e32 v8, 0
	s_mov_b32 s8, 0x6b47b09a
	s_mov_b32 s10, 0xbf559e2b
	;; [unrolled: 1-line block ×4, first 2 shown]
	s_delay_alu instid0(VALU_DEP_2) | instskip(SKIP_2) | instid1(VALU_DEP_1)
	v_cmp_gt_f64_e32 vcc_lo, s[4:5], v[4:5]
	s_mov_b32 s4, 0x55555780
	v_cndmask_b32_e64 v9, 0x3ff00000, 2.0, vcc_lo
	v_mul_f64 v[4:5], v[4:5], v[8:9]
	s_delay_alu instid0(VALU_DEP_1) | instskip(SKIP_1) | instid1(VALU_DEP_2)
	v_add_f64 v[8:9], v[4:5], 1.0
	v_add_f64 v[14:15], v[4:5], -1.0
	v_rcp_f64_e32 v[10:11], v[8:9]
	v_add_f64 v[16:17], v[8:9], -1.0
	s_delay_alu instid0(VALU_DEP_1) | instskip(SKIP_2) | instid1(VALU_DEP_1)
	v_add_f64 v[4:5], v[4:5], -v[16:17]
	s_waitcnt_depctr 0xfff
	v_fma_f64 v[12:13], -v[8:9], v[10:11], 1.0
	v_fma_f64 v[10:11], v[12:13], v[10:11], v[10:11]
	s_delay_alu instid0(VALU_DEP_1) | instskip(NEXT) | instid1(VALU_DEP_1)
	v_fma_f64 v[12:13], -v[8:9], v[10:11], 1.0
	v_fma_f64 v[10:11], v[12:13], v[10:11], v[10:11]
	s_delay_alu instid0(VALU_DEP_1) | instskip(NEXT) | instid1(VALU_DEP_1)
	v_mul_f64 v[12:13], v[14:15], v[10:11]
	v_mul_f64 v[18:19], v[8:9], v[12:13]
	s_delay_alu instid0(VALU_DEP_1) | instskip(NEXT) | instid1(VALU_DEP_1)
	v_fma_f64 v[8:9], v[12:13], v[8:9], -v[18:19]
	v_fma_f64 v[4:5], v[12:13], v[4:5], v[8:9]
	s_delay_alu instid0(VALU_DEP_1) | instskip(NEXT) | instid1(VALU_DEP_1)
	v_add_f64 v[8:9], v[18:19], v[4:5]
	v_add_f64 v[16:17], v[14:15], -v[8:9]
	v_add_f64 v[18:19], v[8:9], -v[18:19]
	s_delay_alu instid0(VALU_DEP_2) | instskip(NEXT) | instid1(VALU_DEP_2)
	v_add_f64 v[14:15], v[14:15], -v[16:17]
	v_add_f64 v[4:5], v[18:19], -v[4:5]
	v_frexp_exp_i32_f64_e32 v18, v[0:1]
	s_delay_alu instid0(VALU_DEP_3) | instskip(NEXT) | instid1(VALU_DEP_1)
	v_add_f64 v[8:9], v[14:15], -v[8:9]
	v_add_f64 v[4:5], v[4:5], v[8:9]
	s_delay_alu instid0(VALU_DEP_1) | instskip(NEXT) | instid1(VALU_DEP_1)
	v_add_f64 v[4:5], v[16:17], v[4:5]
	v_mul_f64 v[4:5], v[10:11], v[4:5]
	s_delay_alu instid0(VALU_DEP_1) | instskip(NEXT) | instid1(VALU_DEP_1)
	v_add_f64 v[8:9], v[12:13], v[4:5]
	v_mul_f64 v[10:11], v[8:9], v[8:9]
	s_delay_alu instid0(VALU_DEP_1) | instskip(SKIP_3) | instid1(VALU_DEP_2)
	v_fma_f64 v[14:15], v[10:11], s[10:11], s[8:9]
	s_mov_b32 s8, 0xd7f4df2e
	s_mov_b32 s9, 0x3fc7474d
	v_mul_f64 v[16:17], v[8:9], v[10:11]
	v_fma_f64 v[14:15], v[10:11], v[14:15], s[8:9]
	s_mov_b32 s8, 0x16291751
	s_mov_b32 s9, 0x3fcc71c0
	s_delay_alu instid0(VALU_DEP_1) | instid1(SALU_CYCLE_1)
	v_fma_f64 v[14:15], v[10:11], v[14:15], s[8:9]
	s_mov_b32 s8, 0x9b27acf1
	s_mov_b32 s9, 0x3fd24924
	s_delay_alu instid0(VALU_DEP_1) | instid1(SALU_CYCLE_1)
	;; [unrolled: 4-line block ×3, first 2 shown]
	v_fma_f64 v[14:15], v[10:11], v[14:15], s[8:9]
	s_delay_alu instid0(VALU_DEP_1) | instskip(SKIP_4) | instid1(VALU_DEP_3)
	v_fma_f64 v[10:11], v[10:11], v[14:15], s[4:5]
	v_ldexp_f64 v[14:15], v[8:9], 1
	v_add_f64 v[8:9], v[8:9], -v[12:13]
	s_mov_b32 s4, 0xfefa39ef
	s_mov_b32 s5, 0x3fe62e42
	v_mul_f64 v[10:11], v[16:17], v[10:11]
	v_subrev_co_ci_u32_e32 v16, vcc_lo, 0, v18, vcc_lo
	s_delay_alu instid0(VALU_DEP_3) | instskip(SKIP_1) | instid1(VALU_DEP_3)
	v_add_f64 v[4:5], v[4:5], -v[8:9]
	v_cmp_class_f64_e64 vcc_lo, v[0:1], 0x204
	v_cvt_f64_i32_e32 v[16:17], v16
	v_add_f64 v[12:13], v[14:15], v[10:11]
	s_delay_alu instid0(VALU_DEP_4) | instskip(NEXT) | instid1(VALU_DEP_3)
	v_ldexp_f64 v[4:5], v[4:5], 1
	v_mul_f64 v[18:19], v[16:17], s[4:5]
	s_delay_alu instid0(VALU_DEP_3) | instskip(NEXT) | instid1(VALU_DEP_2)
	v_add_f64 v[8:9], v[12:13], -v[14:15]
	v_fma_f64 v[14:15], v[16:17], s[4:5], -v[18:19]
	s_mov_b32 s4, 0x3b39803f
	s_mov_b32 s5, 0x3c7abc9e
	s_delay_alu instid0(VALU_DEP_2) | instskip(NEXT) | instid1(VALU_DEP_2)
	v_add_f64 v[8:9], v[10:11], -v[8:9]
	v_fma_f64 v[10:11], v[16:17], s[4:5], v[14:15]
	s_delay_alu instid0(VALU_DEP_2) | instskip(NEXT) | instid1(VALU_DEP_2)
	v_add_f64 v[4:5], v[4:5], v[8:9]
	v_add_f64 v[8:9], v[18:19], v[10:11]
	s_delay_alu instid0(VALU_DEP_2) | instskip(NEXT) | instid1(VALU_DEP_2)
	v_add_f64 v[14:15], v[12:13], v[4:5]
	v_add_f64 v[18:19], v[8:9], -v[18:19]
	s_delay_alu instid0(VALU_DEP_2) | instskip(SKIP_1) | instid1(VALU_DEP_3)
	v_add_f64 v[16:17], v[8:9], v[14:15]
	v_add_f64 v[12:13], v[14:15], -v[12:13]
	v_add_f64 v[10:11], v[10:11], -v[18:19]
	s_delay_alu instid0(VALU_DEP_3) | instskip(NEXT) | instid1(VALU_DEP_3)
	v_add_f64 v[20:21], v[16:17], -v[8:9]
	v_add_f64 v[4:5], v[4:5], -v[12:13]
	s_delay_alu instid0(VALU_DEP_2) | instskip(SKIP_1) | instid1(VALU_DEP_3)
	v_add_f64 v[22:23], v[16:17], -v[20:21]
	v_add_f64 v[12:13], v[14:15], -v[20:21]
	v_add_f64 v[14:15], v[10:11], v[4:5]
	s_delay_alu instid0(VALU_DEP_3) | instskip(NEXT) | instid1(VALU_DEP_1)
	v_add_f64 v[8:9], v[8:9], -v[22:23]
	v_add_f64 v[8:9], v[12:13], v[8:9]
	s_delay_alu instid0(VALU_DEP_3) | instskip(NEXT) | instid1(VALU_DEP_2)
	v_add_f64 v[12:13], v[14:15], -v[10:11]
	v_add_f64 v[8:9], v[14:15], v[8:9]
	s_delay_alu instid0(VALU_DEP_2) | instskip(SKIP_1) | instid1(VALU_DEP_3)
	v_add_f64 v[14:15], v[14:15], -v[12:13]
	v_add_f64 v[4:5], v[4:5], -v[12:13]
	v_add_f64 v[18:19], v[16:17], v[8:9]
	s_delay_alu instid0(VALU_DEP_3) | instskip(NEXT) | instid1(VALU_DEP_2)
	v_add_f64 v[10:11], v[10:11], -v[14:15]
	v_add_f64 v[12:13], v[18:19], -v[16:17]
	s_delay_alu instid0(VALU_DEP_2) | instskip(NEXT) | instid1(VALU_DEP_2)
	v_add_f64 v[4:5], v[4:5], v[10:11]
	v_add_f64 v[8:9], v[8:9], -v[12:13]
	s_delay_alu instid0(VALU_DEP_1) | instskip(SKIP_1) | instid1(VALU_DEP_2)
	v_add_f64 v[4:5], v[4:5], v[8:9]
	v_and_b32_e32 v8, 0x7fffffff, v1
	v_add_f64 v[4:5], v[18:19], v[4:5]
	s_delay_alu instid0(VALU_DEP_1) | instskip(NEXT) | instid1(VALU_DEP_2)
	v_cndmask_b32_e32 v4, v4, v0, vcc_lo
	v_cndmask_b32_e32 v5, v5, v8, vcc_lo
	v_cmp_neq_f64_e32 vcc_lo, 0, v[0:1]
	s_delay_alu instid0(VALU_DEP_2) | instskip(NEXT) | instid1(VALU_DEP_4)
	v_cndmask_b32_e32 v5, 0xfff00000, v5, vcc_lo
	v_cndmask_b32_e32 v4, 0, v4, vcc_lo
	s_delay_alu instid0(VALU_DEP_1)
	v_fma_f64 v[4:5], |v[0:1]|, v[4:5], -|v[0:1]|
.LBB1_17:
	s_and_not1_saveexec_b32 s3, s3
	s_cbranch_execz .LBB1_19
; %bb.18:
	v_frexp_mant_f64_e64 v[4:5], |v[0:1]|
	s_mov_b32 s5, 0x3fe55555
	s_mov_b32 s4, 0x55555555
	v_mov_b32_e32 v8, 0
	s_mov_b32 s8, 0x6b47b09a
	s_mov_b32 s10, 0xbf559e2b
	;; [unrolled: 1-line block ×4, first 2 shown]
	s_delay_alu instid0(VALU_DEP_2) | instskip(SKIP_2) | instid1(VALU_DEP_1)
	v_cmp_gt_f64_e32 vcc_lo, s[4:5], v[4:5]
	s_mov_b32 s4, 0x55555780
	v_cndmask_b32_e64 v9, 0x3ff00000, 2.0, vcc_lo
	v_mul_f64 v[4:5], v[4:5], v[8:9]
	s_delay_alu instid0(VALU_DEP_1) | instskip(SKIP_1) | instid1(VALU_DEP_2)
	v_add_f64 v[8:9], v[4:5], 1.0
	v_add_f64 v[14:15], v[4:5], -1.0
	v_rcp_f64_e32 v[10:11], v[8:9]
	v_add_f64 v[16:17], v[8:9], -1.0
	s_delay_alu instid0(VALU_DEP_1) | instskip(SKIP_2) | instid1(VALU_DEP_1)
	v_add_f64 v[4:5], v[4:5], -v[16:17]
	s_waitcnt_depctr 0xfff
	v_fma_f64 v[12:13], -v[8:9], v[10:11], 1.0
	v_fma_f64 v[10:11], v[12:13], v[10:11], v[10:11]
	s_delay_alu instid0(VALU_DEP_1) | instskip(NEXT) | instid1(VALU_DEP_1)
	v_fma_f64 v[12:13], -v[8:9], v[10:11], 1.0
	v_fma_f64 v[10:11], v[12:13], v[10:11], v[10:11]
	s_delay_alu instid0(VALU_DEP_1) | instskip(NEXT) | instid1(VALU_DEP_1)
	v_mul_f64 v[12:13], v[14:15], v[10:11]
	v_mul_f64 v[18:19], v[8:9], v[12:13]
	s_delay_alu instid0(VALU_DEP_1) | instskip(NEXT) | instid1(VALU_DEP_1)
	v_fma_f64 v[8:9], v[12:13], v[8:9], -v[18:19]
	v_fma_f64 v[4:5], v[12:13], v[4:5], v[8:9]
	s_delay_alu instid0(VALU_DEP_1) | instskip(NEXT) | instid1(VALU_DEP_1)
	v_add_f64 v[8:9], v[18:19], v[4:5]
	v_add_f64 v[16:17], v[14:15], -v[8:9]
	v_add_f64 v[18:19], v[8:9], -v[18:19]
	s_delay_alu instid0(VALU_DEP_2) | instskip(NEXT) | instid1(VALU_DEP_2)
	v_add_f64 v[14:15], v[14:15], -v[16:17]
	v_add_f64 v[4:5], v[18:19], -v[4:5]
	v_and_b32_e32 v19, 0x7fffffff, v1
	v_frexp_exp_i32_f64_e32 v18, v[0:1]
	s_delay_alu instid0(VALU_DEP_4) | instskip(NEXT) | instid1(VALU_DEP_1)
	v_add_f64 v[8:9], v[14:15], -v[8:9]
	v_add_f64 v[4:5], v[4:5], v[8:9]
	s_delay_alu instid0(VALU_DEP_1) | instskip(NEXT) | instid1(VALU_DEP_1)
	v_add_f64 v[4:5], v[16:17], v[4:5]
	v_mul_f64 v[4:5], v[10:11], v[4:5]
	s_delay_alu instid0(VALU_DEP_1) | instskip(NEXT) | instid1(VALU_DEP_1)
	v_add_f64 v[8:9], v[12:13], v[4:5]
	v_mul_f64 v[10:11], v[8:9], v[8:9]
	s_delay_alu instid0(VALU_DEP_1) | instskip(SKIP_3) | instid1(VALU_DEP_2)
	v_fma_f64 v[14:15], v[10:11], s[10:11], s[8:9]
	s_mov_b32 s8, 0xd7f4df2e
	s_mov_b32 s9, 0x3fc7474d
	v_mul_f64 v[16:17], v[8:9], v[10:11]
	v_fma_f64 v[14:15], v[10:11], v[14:15], s[8:9]
	s_mov_b32 s8, 0x16291751
	s_mov_b32 s9, 0x3fcc71c0
	s_delay_alu instid0(VALU_DEP_1) | instid1(SALU_CYCLE_1)
	v_fma_f64 v[14:15], v[10:11], v[14:15], s[8:9]
	s_mov_b32 s8, 0x9b27acf1
	s_mov_b32 s9, 0x3fd24924
	s_delay_alu instid0(VALU_DEP_1) | instid1(SALU_CYCLE_1)
	;; [unrolled: 4-line block ×3, first 2 shown]
	v_fma_f64 v[14:15], v[10:11], v[14:15], s[8:9]
	s_mov_b32 s8, 0xb9e43e4
	s_mov_b32 s9, 0xbf5ab89d
	s_delay_alu instid0(VALU_DEP_1) | instskip(SKIP_4) | instid1(VALU_DEP_3)
	v_fma_f64 v[10:11], v[10:11], v[14:15], s[4:5]
	v_ldexp_f64 v[14:15], v[8:9], 1
	v_add_f64 v[8:9], v[8:9], -v[12:13]
	s_mov_b32 s4, 0xfefa39ef
	s_mov_b32 s5, 0x3fe62e42
	v_mul_f64 v[10:11], v[16:17], v[10:11]
	v_subrev_co_ci_u32_e32 v16, vcc_lo, 0, v18, vcc_lo
	v_mov_b32_e32 v18, v0
	s_delay_alu instid0(VALU_DEP_4) | instskip(NEXT) | instid1(VALU_DEP_3)
	v_add_f64 v[4:5], v[4:5], -v[8:9]
	v_cvt_f64_i32_e32 v[16:17], v16
	s_delay_alu instid0(VALU_DEP_3) | instskip(SKIP_4) | instid1(VALU_DEP_3)
	v_div_scale_f64 v[20:21], null, v[18:19], v[18:19], 1.0
	v_div_scale_f64 v[28:29], vcc_lo, 1.0, v[18:19], 1.0
	v_add_f64 v[12:13], v[14:15], v[10:11]
	v_ldexp_f64 v[4:5], v[4:5], 1
	v_mul_f64 v[22:23], v[16:17], s[4:5]
	v_add_f64 v[8:9], v[12:13], -v[14:15]
	v_rcp_f64_e32 v[14:15], v[20:21]
	s_delay_alu instid0(VALU_DEP_2) | instskip(SKIP_2) | instid1(VALU_DEP_2)
	v_fma_f64 v[24:25], v[16:17], s[4:5], -v[22:23]
	s_mov_b32 s4, 0x3b39803f
	s_mov_b32 s5, 0x3c7abc9e
	v_add_f64 v[8:9], v[10:11], -v[8:9]
	s_waitcnt_depctr 0xfff
	v_fma_f64 v[10:11], -v[20:21], v[14:15], 1.0
	v_fma_f64 v[16:17], v[16:17], s[4:5], v[24:25]
	s_mov_b32 s4, 0x4cdad5d1
	s_mov_b32 s5, 0x3f4b67ba
	v_add_f64 v[4:5], v[4:5], v[8:9]
	s_delay_alu instid0(VALU_DEP_3) | instskip(NEXT) | instid1(VALU_DEP_3)
	v_fma_f64 v[8:9], v[14:15], v[10:11], v[14:15]
	v_add_f64 v[10:11], v[22:23], v[16:17]
	s_delay_alu instid0(VALU_DEP_3) | instskip(NEXT) | instid1(VALU_DEP_3)
	v_add_f64 v[14:15], v[12:13], v[4:5]
	v_fma_f64 v[24:25], -v[20:21], v[8:9], 1.0
	s_delay_alu instid0(VALU_DEP_3) | instskip(NEXT) | instid1(VALU_DEP_3)
	v_add_f64 v[22:23], v[10:11], -v[22:23]
	v_add_f64 v[26:27], v[10:11], v[14:15]
	v_add_f64 v[12:13], v[14:15], -v[12:13]
	s_delay_alu instid0(VALU_DEP_4) | instskip(NEXT) | instid1(VALU_DEP_4)
	v_fma_f64 v[8:9], v[8:9], v[24:25], v[8:9]
	v_add_f64 v[16:17], v[16:17], -v[22:23]
	s_delay_alu instid0(VALU_DEP_4) | instskip(NEXT) | instid1(VALU_DEP_4)
	v_add_f64 v[24:25], v[26:27], -v[10:11]
	v_add_f64 v[4:5], v[4:5], -v[12:13]
	s_delay_alu instid0(VALU_DEP_4) | instskip(NEXT) | instid1(VALU_DEP_3)
	v_mul_f64 v[30:31], v[28:29], v[8:9]
	v_add_f64 v[32:33], v[26:27], -v[24:25]
	v_add_f64 v[12:13], v[14:15], -v[24:25]
	s_delay_alu instid0(VALU_DEP_4) | instskip(NEXT) | instid1(VALU_DEP_4)
	v_add_f64 v[14:15], v[16:17], v[4:5]
	v_fma_f64 v[20:21], -v[20:21], v[30:31], v[28:29]
	s_delay_alu instid0(VALU_DEP_4) | instskip(NEXT) | instid1(VALU_DEP_2)
	v_add_f64 v[10:11], v[10:11], -v[32:33]
	v_div_fmas_f64 v[8:9], v[20:21], v[8:9], v[30:31]
	v_cmp_class_f64_e64 vcc_lo, v[0:1], 0x204
	s_delay_alu instid0(VALU_DEP_3) | instskip(SKIP_1) | instid1(VALU_DEP_4)
	v_add_f64 v[10:11], v[12:13], v[10:11]
	v_add_f64 v[12:13], v[14:15], -v[16:17]
	v_div_fixup_f64 v[8:9], v[8:9], |v[0:1]|, 1.0
	s_delay_alu instid0(VALU_DEP_3) | instskip(NEXT) | instid1(VALU_DEP_3)
	v_add_f64 v[10:11], v[14:15], v[10:11]
	v_add_f64 v[14:15], v[14:15], -v[12:13]
	v_add_f64 v[4:5], v[4:5], -v[12:13]
	s_delay_alu instid0(VALU_DEP_4) | instskip(NEXT) | instid1(VALU_DEP_4)
	v_mul_f64 v[20:21], v[8:9], v[8:9]
	v_add_f64 v[22:23], v[26:27], v[10:11]
	s_delay_alu instid0(VALU_DEP_4) | instskip(NEXT) | instid1(VALU_DEP_3)
	v_add_f64 v[12:13], v[16:17], -v[14:15]
	v_fma_f64 v[24:25], v[20:21], s[8:9], s[4:5]
	s_mov_b32 s4, 0x8c0fe741
	s_mov_b32 s5, 0xbf4380cb
	s_delay_alu instid0(VALU_DEP_3) | instskip(NEXT) | instid1(VALU_DEP_3)
	v_add_f64 v[14:15], v[22:23], -v[26:27]
	v_add_f64 v[4:5], v[4:5], v[12:13]
	s_delay_alu instid0(VALU_DEP_3) | instskip(SKIP_2) | instid1(VALU_DEP_3)
	v_fma_f64 v[16:17], v[20:21], v[24:25], s[4:5]
	s_mov_b32 s4, 0x98cf38b6
	s_mov_b32 s5, 0x3f4a019f
	v_add_f64 v[10:11], v[10:11], -v[14:15]
	s_delay_alu instid0(VALU_DEP_2) | instskip(SKIP_2) | instid1(VALU_DEP_2)
	v_fma_f64 v[12:13], v[20:21], v[16:17], s[4:5]
	s_mov_b32 s4, 0x16b02e5c
	s_mov_b32 s5, 0xbf66c16c
	v_add_f64 v[4:5], v[4:5], v[10:11]
	s_delay_alu instid0(VALU_DEP_2) | instskip(SKIP_3) | instid1(VALU_DEP_3)
	v_fma_f64 v[10:11], v[20:21], v[12:13], s[4:5]
	s_mov_b32 s4, 0x5555553b
	s_mov_b32 s5, 0x3fb55555
	v_add_f64 v[12:13], |v[0:1]|, -0.5
	v_add_f64 v[4:5], v[22:23], v[4:5]
	s_delay_alu instid0(VALU_DEP_3) | instskip(SKIP_2) | instid1(VALU_DEP_2)
	v_fma_f64 v[10:11], v[20:21], v[10:11], s[4:5]
	s_mov_b32 s4, 0x90c97d69
	s_mov_b32 s5, 0x3fdacfe3
	v_dual_cndmask_b32 v5, v5, v19 :: v_dual_cndmask_b32 v4, v4, v18
	v_cmp_neq_f64_e32 vcc_lo, 0, v[0:1]
	s_delay_alu instid0(VALU_DEP_3) | instskip(NEXT) | instid1(VALU_DEP_3)
	v_fma_f64 v[8:9], v[8:9], v[10:11], s[4:5]
	v_add_f64 v[4:5], v[4:5], -1.0
	s_delay_alu instid0(VALU_DEP_1) | instskip(NEXT) | instid1(VALU_DEP_2)
	v_cndmask_b32_e32 v5, 0xfff00000, v5, vcc_lo
	v_cndmask_b32_e32 v4, 0, v4, vcc_lo
	s_delay_alu instid0(VALU_DEP_1)
	v_fma_f64 v[4:5], v[12:13], v[4:5], v[8:9]
.LBB1_19:
	s_or_b32 exec_lo, exec_lo, s3
.LBB1_20:
	s_and_not1_saveexec_b32 s3, s0
	s_cbranch_execz .LBB1_22
; %bb.21:
	v_cvt_i32_f64_e32 v6, v[6:7]
	s_mov_b32 s5, 0x3fe55555
	s_mov_b32 s4, 0x55555555
	;; [unrolled: 1-line block ×6, first 2 shown]
	s_delay_alu instid0(VALU_DEP_1) | instskip(SKIP_2) | instid1(VALU_DEP_3)
	v_cvt_f64_i32_e32 v[4:5], v6
	v_cmp_lt_i32_e32 vcc_lo, 2, v6
	v_cmp_lt_i32_e64 s0, 3, v6
	v_add_f64 v[4:5], |v[0:1]|, -v[4:5]
	s_delay_alu instid0(VALU_DEP_1) | instskip(SKIP_2) | instid1(VALU_DEP_3)
	v_add_f64 v[8:9], v[4:5], 2.0
	v_add_f64 v[10:11], 0x40080000, v[4:5]
	v_add_f64 v[12:13], v[4:5], 4.0
	v_cndmask_b32_e32 v9, 0x3ff00000, v9, vcc_lo
	s_delay_alu instid0(VALU_DEP_4) | instskip(NEXT) | instid1(VALU_DEP_4)
	v_cndmask_b32_e32 v8, 0, v8, vcc_lo
	v_cndmask_b32_e64 v11, 0x3ff00000, v11, s0
	v_cndmask_b32_e64 v10, 0, v10, s0
	v_cmp_lt_i32_e32 vcc_lo, 4, v6
	s_delay_alu instid0(VALU_DEP_2) | instskip(SKIP_4) | instid1(VALU_DEP_2)
	v_mul_f64 v[8:9], v[8:9], v[10:11]
	v_add_f64 v[10:11], 0x40140000, v[4:5]
	v_cndmask_b32_e32 v13, 0x3ff00000, v13, vcc_lo
	v_cndmask_b32_e32 v12, 0, v12, vcc_lo
	v_cmp_lt_i32_e32 vcc_lo, 5, v6
	v_mul_f64 v[8:9], v[12:13], v[8:9]
	v_add_f64 v[12:13], 0x40180000, v[4:5]
	v_cndmask_b32_e32 v11, 0x3ff00000, v11, vcc_lo
	v_cndmask_b32_e32 v10, 0, v10, vcc_lo
	v_cmp_lt_i32_e32 vcc_lo, 6, v6
	s_delay_alu instid0(VALU_DEP_2) | instskip(SKIP_3) | instid1(VALU_DEP_2)
	v_mul_f64 v[8:9], v[10:11], v[8:9]
	v_cndmask_b32_e32 v11, 0x3ff00000, v13, vcc_lo
	v_cndmask_b32_e32 v10, 0, v12, vcc_lo
	v_mov_b32_e32 v12, 0
	v_mul_f64 v[8:9], v[10:11], v[8:9]
	s_delay_alu instid0(VALU_DEP_1) | instskip(SKIP_1) | instid1(VALU_DEP_2)
	v_frexp_mant_f64_e32 v[10:11], v[8:9]
	v_frexp_exp_i32_f64_e32 v6, v[8:9]
	v_cmp_gt_f64_e32 vcc_lo, s[4:5], v[10:11]
	s_mov_b32 s4, 0x55555780
	v_cndmask_b32_e64 v13, 0x3ff00000, 2.0, vcc_lo
	s_delay_alu instid0(VALU_DEP_3) | instskip(NEXT) | instid1(VALU_DEP_2)
	v_subrev_co_ci_u32_e32 v6, vcc_lo, 0, v6, vcc_lo
	v_mul_f64 v[10:11], v[10:11], v[12:13]
	s_delay_alu instid0(VALU_DEP_2) | instskip(NEXT) | instid1(VALU_DEP_2)
	v_cvt_f64_i32_e32 v[24:25], v6
	v_add_f64 v[12:13], v[10:11], 1.0
	v_add_f64 v[18:19], v[10:11], -1.0
	s_delay_alu instid0(VALU_DEP_2) | instskip(SKIP_1) | instid1(VALU_DEP_1)
	v_rcp_f64_e32 v[14:15], v[12:13]
	v_add_f64 v[20:21], v[12:13], -1.0
	v_add_f64 v[10:11], v[10:11], -v[20:21]
	s_waitcnt_depctr 0xfff
	v_fma_f64 v[16:17], -v[12:13], v[14:15], 1.0
	s_delay_alu instid0(VALU_DEP_1) | instskip(NEXT) | instid1(VALU_DEP_1)
	v_fma_f64 v[14:15], v[16:17], v[14:15], v[14:15]
	v_fma_f64 v[16:17], -v[12:13], v[14:15], 1.0
	s_delay_alu instid0(VALU_DEP_1) | instskip(NEXT) | instid1(VALU_DEP_1)
	v_fma_f64 v[14:15], v[16:17], v[14:15], v[14:15]
	v_mul_f64 v[16:17], v[18:19], v[14:15]
	s_delay_alu instid0(VALU_DEP_1) | instskip(NEXT) | instid1(VALU_DEP_1)
	v_mul_f64 v[22:23], v[12:13], v[16:17]
	v_fma_f64 v[12:13], v[16:17], v[12:13], -v[22:23]
	s_delay_alu instid0(VALU_DEP_1) | instskip(NEXT) | instid1(VALU_DEP_1)
	v_fma_f64 v[10:11], v[16:17], v[10:11], v[12:13]
	v_add_f64 v[12:13], v[22:23], v[10:11]
	s_delay_alu instid0(VALU_DEP_1) | instskip(SKIP_1) | instid1(VALU_DEP_2)
	v_add_f64 v[20:21], v[18:19], -v[12:13]
	v_add_f64 v[22:23], v[12:13], -v[22:23]
	;; [unrolled: 1-line block ×3, first 2 shown]
	s_delay_alu instid0(VALU_DEP_2) | instskip(NEXT) | instid1(VALU_DEP_2)
	v_add_f64 v[10:11], v[22:23], -v[10:11]
	v_add_f64 v[12:13], v[18:19], -v[12:13]
	s_delay_alu instid0(VALU_DEP_1) | instskip(NEXT) | instid1(VALU_DEP_1)
	v_add_f64 v[10:11], v[10:11], v[12:13]
	v_add_f64 v[10:11], v[20:21], v[10:11]
	s_delay_alu instid0(VALU_DEP_1) | instskip(NEXT) | instid1(VALU_DEP_1)
	v_mul_f64 v[10:11], v[14:15], v[10:11]
	v_add_f64 v[12:13], v[16:17], v[10:11]
	s_delay_alu instid0(VALU_DEP_1) | instskip(SKIP_1) | instid1(VALU_DEP_2)
	v_mul_f64 v[14:15], v[12:13], v[12:13]
	v_ldexp_f64 v[22:23], v[12:13], 1
	v_fma_f64 v[18:19], v[14:15], s[10:11], s[8:9]
	s_mov_b32 s8, 0xd7f4df2e
	s_mov_b32 s9, 0x3fc7474d
	v_mul_f64 v[20:21], v[12:13], v[14:15]
	s_mov_b32 s10, 0x7e939961
	s_mov_b32 s11, 0x3f9b481c
	v_add_f64 v[12:13], v[12:13], -v[16:17]
	s_delay_alu instid0(VALU_DEP_3) | instskip(SKIP_2) | instid1(VALU_DEP_2)
	v_fma_f64 v[18:19], v[14:15], v[18:19], s[8:9]
	s_mov_b32 s8, 0x16291751
	s_mov_b32 s9, 0x3fcc71c0
	v_add_f64 v[10:11], v[10:11], -v[12:13]
	s_delay_alu instid0(VALU_DEP_2) | instskip(SKIP_2) | instid1(VALU_DEP_2)
	v_fma_f64 v[18:19], v[14:15], v[18:19], s[8:9]
	s_mov_b32 s8, 0x9b27acf1
	s_mov_b32 s9, 0x3fd24924
	v_ldexp_f64 v[10:11], v[10:11], 1
	s_delay_alu instid0(VALU_DEP_2)
	v_fma_f64 v[18:19], v[14:15], v[18:19], s[8:9]
	s_mov_b32 s8, 0x998ef7b6
	s_mov_b32 s9, 0x3fd99999
	s_delay_alu instid0(VALU_DEP_1) | instid1(SALU_CYCLE_1)
	v_fma_f64 v[18:19], v[14:15], v[18:19], s[8:9]
	s_mov_b32 s8, 0xdd17e945
	s_mov_b32 s9, 0x3f00bfec
	s_delay_alu instid0(VALU_DEP_1) | instskip(SKIP_2) | instid1(SALU_CYCLE_1)
	v_fma_f64 v[14:15], v[14:15], v[18:19], s[4:5]
	s_mov_b32 s4, 0x7368f239
	s_mov_b32 s5, 0x3f5e26b6
	v_fma_f64 v[18:19], v[4:5], s[8:9], s[4:5]
	s_mov_b32 s4, 0xca41a95b
	s_mov_b32 s8, 0xa5b38140
	;; [unrolled: 1-line block ×4, first 2 shown]
	s_delay_alu instid0(VALU_DEP_2) | instskip(SKIP_3) | instid1(VALU_DEP_3)
	v_mul_f64 v[14:15], v[20:21], v[14:15]
	v_fma_f64 v[20:21], v[4:5], s[8:9], s[4:5]
	s_mov_b32 s4, 0x742ed475
	s_mov_b32 s5, 0x3f9317ea
	v_fma_f64 v[18:19], v[4:5], v[18:19], s[10:11]
	s_mov_b32 s8, 0xbee5f2f7
	s_mov_b32 s9, 0x3fc2bb9c
	s_mov_b32 s10, 0x4f139f59
	s_mov_b32 s11, 0x3fd4d98f
	s_delay_alu instid0(VALU_DEP_3) | instskip(NEXT) | instid1(VALU_DEP_3)
	v_add_f64 v[16:17], v[22:23], v[14:15]
	v_fma_f64 v[20:21], v[4:5], v[20:21], s[4:5]
	s_mov_b32 s4, 0xfefa39ef
	s_mov_b32 s5, 0x3fe62e42
	s_delay_alu instid0(VALU_DEP_3) | instskip(SKIP_3) | instid1(VALU_DEP_4)
	v_fma_f64 v[18:19], v[4:5], v[18:19], s[8:9]
	v_mul_f64 v[26:27], v[24:25], s[4:5]
	s_mov_b32 s8, 0xccfbdf27
	s_mov_b32 s9, 0x3fc601ed
	v_add_f64 v[12:13], v[16:17], -v[22:23]
	s_delay_alu instid0(VALU_DEP_4) | instskip(SKIP_2) | instid1(VALU_DEP_4)
	v_fma_f64 v[20:21], v[4:5], v[20:21], s[8:9]
	s_mov_b32 s8, 0x36e20878
	s_mov_b32 s9, 0x3fcb848b
	v_fma_f64 v[18:19], v[4:5], v[18:19], s[10:11]
	s_delay_alu instid0(VALU_DEP_4) | instskip(SKIP_2) | instid1(VALU_DEP_4)
	v_fma_f64 v[22:23], v[24:25], s[4:5], -v[26:27]
	s_mov_b32 s4, 0x93d3dcdc
	s_mov_b32 s5, 0x3fe71a18
	v_add_f64 v[12:13], v[14:15], -v[12:13]
	s_delay_alu instid0(VALU_DEP_4) | instskip(SKIP_2) | instid1(VALU_DEP_4)
	v_fma_f64 v[14:15], v[4:5], v[20:21], s[4:5]
	s_mov_b32 s4, 0x3b39803f
	s_mov_b32 s5, 0x3c7abc9e
	v_fma_f64 v[18:19], v[4:5], v[18:19], s[8:9]
	s_delay_alu instid0(VALU_DEP_4) | instskip(SKIP_4) | instid1(VALU_DEP_4)
	v_fma_f64 v[20:21], v[24:25], s[4:5], v[22:23]
	s_mov_b32 s4, 0x62c4ab74
	s_mov_b32 s8, 0xe37db0c8
	;; [unrolled: 1-line block ×4, first 2 shown]
	v_add_f64 v[10:11], v[10:11], v[12:13]
	s_delay_alu instid0(VALU_DEP_4) | instskip(NEXT) | instid1(VALU_DEP_4)
	v_fma_f64 v[12:13], v[4:5], v[14:15], s[4:5]
	v_fma_f64 v[14:15], v[4:5], v[18:19], s[8:9]
	s_delay_alu instid0(VALU_DEP_4) | instskip(NEXT) | instid1(VALU_DEP_4)
	v_add_f64 v[18:19], v[26:27], v[20:21]
	v_add_f64 v[22:23], v[16:17], v[10:11]
	s_delay_alu instid0(VALU_DEP_4) | instskip(NEXT) | instid1(VALU_DEP_4)
	v_fma_f64 v[12:13], v[4:5], v[12:13], 1.0
	v_mul_f64 v[14:15], v[4:5], v[14:15]
	s_delay_alu instid0(VALU_DEP_4) | instskip(NEXT) | instid1(VALU_DEP_4)
	v_add_f64 v[26:27], v[18:19], -v[26:27]
	v_add_f64 v[24:25], v[18:19], v[22:23]
	v_add_f64 v[16:17], v[22:23], -v[16:17]
	s_delay_alu instid0(VALU_DEP_4) | instskip(NEXT) | instid1(VALU_DEP_4)
	v_div_scale_f64 v[28:29], null, v[12:13], v[12:13], v[14:15]
	v_add_f64 v[20:21], v[20:21], -v[26:27]
	s_delay_alu instid0(VALU_DEP_4) | instskip(NEXT) | instid1(VALU_DEP_4)
	v_add_f64 v[30:31], v[24:25], -v[18:19]
	v_add_f64 v[10:11], v[10:11], -v[16:17]
	s_delay_alu instid0(VALU_DEP_4) | instskip(NEXT) | instid1(VALU_DEP_2)
	v_rcp_f64_e32 v[32:33], v[28:29]
	v_add_f64 v[34:35], v[24:25], -v[30:31]
	v_add_f64 v[16:17], v[22:23], -v[30:31]
	s_delay_alu instid0(VALU_DEP_3) | instskip(SKIP_4) | instid1(VALU_DEP_3)
	v_add_f64 v[26:27], v[20:21], v[10:11]
	s_waitcnt_depctr 0xfff
	v_fma_f64 v[36:37], -v[28:29], v[32:33], 1.0
	v_add_f64 v[18:19], v[18:19], -v[34:35]
	v_add_f64 v[30:31], v[26:27], -v[20:21]
	v_fma_f64 v[22:23], v[32:33], v[36:37], v[32:33]
	v_div_scale_f64 v[32:33], vcc_lo, v[14:15], v[12:13], v[14:15]
	s_delay_alu instid0(VALU_DEP_4) | instskip(NEXT) | instid1(VALU_DEP_4)
	v_add_f64 v[16:17], v[16:17], v[18:19]
	v_add_f64 v[10:11], v[10:11], -v[30:31]
	s_delay_alu instid0(VALU_DEP_4) | instskip(NEXT) | instid1(VALU_DEP_3)
	v_fma_f64 v[18:19], -v[28:29], v[22:23], 1.0
	v_add_f64 v[16:17], v[26:27], v[16:17]
	s_delay_alu instid0(VALU_DEP_2) | instskip(SKIP_1) | instid1(VALU_DEP_3)
	v_fma_f64 v[18:19], v[22:23], v[18:19], v[22:23]
	v_add_f64 v[22:23], v[26:27], -v[30:31]
	v_add_f64 v[26:27], v[24:25], v[16:17]
	s_delay_alu instid0(VALU_DEP_3) | instskip(NEXT) | instid1(VALU_DEP_3)
	v_mul_f64 v[34:35], v[32:33], v[18:19]
	v_add_f64 v[20:21], v[20:21], -v[22:23]
	s_delay_alu instid0(VALU_DEP_3) | instskip(NEXT) | instid1(VALU_DEP_3)
	v_add_f64 v[22:23], v[26:27], -v[24:25]
	v_fma_f64 v[24:25], -v[28:29], v[34:35], v[32:33]
	s_delay_alu instid0(VALU_DEP_3) | instskip(NEXT) | instid1(VALU_DEP_3)
	v_add_f64 v[10:11], v[10:11], v[20:21]
	v_add_f64 v[16:17], v[16:17], -v[22:23]
	s_delay_alu instid0(VALU_DEP_3) | instskip(SKIP_1) | instid1(VALU_DEP_3)
	v_div_fmas_f64 v[18:19], v[24:25], v[18:19], v[34:35]
	v_cmp_class_f64_e64 vcc_lo, v[8:9], 0x204
	v_add_f64 v[10:11], v[10:11], v[16:17]
	s_delay_alu instid0(VALU_DEP_3) | instskip(NEXT) | instid1(VALU_DEP_2)
	v_div_fixup_f64 v[12:13], v[18:19], v[12:13], v[14:15]
	v_add_f64 v[10:11], v[26:27], v[10:11]
	s_delay_alu instid0(VALU_DEP_2) | instskip(NEXT) | instid1(VALU_DEP_2)
	v_fma_f64 v[4:5], v[4:5], 0.5, v[12:13]
	v_cndmask_b32_e32 v6, v10, v8, vcc_lo
	s_delay_alu instid0(VALU_DEP_3) | instskip(SKIP_1) | instid1(VALU_DEP_2)
	v_cndmask_b32_e32 v10, v11, v9, vcc_lo
	v_cmp_ngt_f64_e32 vcc_lo, 0, v[8:9]
	v_cndmask_b32_e32 v11, 0x7ff80000, v10, vcc_lo
	v_cmp_nge_f64_e32 vcc_lo, 0, v[8:9]
	v_cndmask_b32_e32 v10, 0, v6, vcc_lo
	v_cmp_neq_f64_e32 vcc_lo, 0, v[8:9]
	s_delay_alu instid0(VALU_DEP_4) | instskip(NEXT) | instid1(VALU_DEP_1)
	v_cndmask_b32_e32 v11, 0xfff00000, v11, vcc_lo
	v_add_f64 v[4:5], v[4:5], v[10:11]
.LBB1_22:
	s_or_b32 exec_lo, exec_lo, s3
.LBB1_23:
	s_and_not1_saveexec_b32 s3, s1
	s_cbranch_execz .LBB1_37
; %bb.24:
	s_mov_b32 s4, exec_lo
                                        ; implicit-def: $sgpr0_sgpr1
                                        ; implicit-def: $vgpr6
                                        ; implicit-def: $vgpr8_vgpr9
	v_cmpx_lt_u32_e32 0x3feccccc, v7
	s_xor_b32 s4, exec_lo, s4
	s_cbranch_execz .LBB1_26
; %bb.25:
	s_mov_b32 s0, 0x6356be3f
	s_mov_b32 s1, 0xbff762d8
	v_add_f64 v[4:5], -|v[0:1]|, 2.0
	v_add_f64 v[8:9], |v[0:1]|, s[0:1]
	v_add_f64 v[10:11], |v[0:1]|, -1.0
	v_cmp_gt_u32_e32 vcc_lo, 0x3ffbb4c3, v7
	v_cmp_gt_u32_e64 s0, 0x3ff3b4c4, v7
	v_cndmask_b32_e64 v6, 0, 1, vcc_lo
	s_delay_alu instid0(VALU_DEP_1) | instskip(SKIP_1) | instid1(VALU_DEP_1)
	v_cndmask_b32_e64 v6, v6, 2, s0
	v_dual_cndmask_b32 v4, v4, v8 :: v_dual_cndmask_b32 v5, v5, v9
	v_cndmask_b32_e64 v8, v4, v10, s0
	s_delay_alu instid0(VALU_DEP_2)
	v_cndmask_b32_e64 v9, v5, v11, s0
	s_mov_b64 s[0:1], 0
.LBB1_26:
	s_or_saveexec_b32 s4, s4
	v_dual_mov_b32 v5, s1 :: v_dual_mov_b32 v4, s0
	s_xor_b32 exec_lo, exec_lo, s4
	s_cbranch_execz .LBB1_28
; %bb.27:
	v_frexp_mant_f64_e64 v[4:5], |v[0:1]|
	s_mov_b32 s1, 0x3fe55555
	s_mov_b32 s0, 0x55555555
	v_mov_b32_e32 v8, 0
	s_mov_b32 s8, 0x6b47b09a
	s_mov_b32 s10, 0xbf559e2b
	;; [unrolled: 1-line block ×4, first 2 shown]
	v_frexp_exp_i32_f64_e32 v6, v[0:1]
	s_delay_alu instid0(VALU_DEP_3) | instskip(SKIP_2) | instid1(VALU_DEP_3)
	v_cmp_gt_f64_e32 vcc_lo, s[0:1], v[4:5]
	s_mov_b32 s0, 0x55555780
	v_cndmask_b32_e64 v9, 0x3ff00000, 2.0, vcc_lo
	v_subrev_co_ci_u32_e32 v6, vcc_lo, 0, v6, vcc_lo
	v_cmp_class_f64_e64 vcc_lo, v[0:1], 0x204
	s_delay_alu instid0(VALU_DEP_3) | instskip(NEXT) | instid1(VALU_DEP_1)
	v_mul_f64 v[4:5], v[4:5], v[8:9]
	v_add_f64 v[8:9], v[4:5], 1.0
	v_add_f64 v[14:15], v[4:5], -1.0
	s_delay_alu instid0(VALU_DEP_2) | instskip(SKIP_1) | instid1(VALU_DEP_1)
	v_rcp_f64_e32 v[10:11], v[8:9]
	v_add_f64 v[16:17], v[8:9], -1.0
	v_add_f64 v[4:5], v[4:5], -v[16:17]
	s_waitcnt_depctr 0xfff
	v_fma_f64 v[12:13], -v[8:9], v[10:11], 1.0
	s_delay_alu instid0(VALU_DEP_1) | instskip(NEXT) | instid1(VALU_DEP_1)
	v_fma_f64 v[10:11], v[12:13], v[10:11], v[10:11]
	v_fma_f64 v[12:13], -v[8:9], v[10:11], 1.0
	s_delay_alu instid0(VALU_DEP_1) | instskip(NEXT) | instid1(VALU_DEP_1)
	v_fma_f64 v[10:11], v[12:13], v[10:11], v[10:11]
	v_mul_f64 v[12:13], v[14:15], v[10:11]
	s_delay_alu instid0(VALU_DEP_1) | instskip(NEXT) | instid1(VALU_DEP_1)
	v_mul_f64 v[18:19], v[8:9], v[12:13]
	v_fma_f64 v[8:9], v[12:13], v[8:9], -v[18:19]
	s_delay_alu instid0(VALU_DEP_1) | instskip(NEXT) | instid1(VALU_DEP_1)
	v_fma_f64 v[4:5], v[12:13], v[4:5], v[8:9]
	v_add_f64 v[8:9], v[18:19], v[4:5]
	s_delay_alu instid0(VALU_DEP_1) | instskip(SKIP_1) | instid1(VALU_DEP_2)
	v_add_f64 v[16:17], v[14:15], -v[8:9]
	v_add_f64 v[18:19], v[8:9], -v[18:19]
	;; [unrolled: 1-line block ×3, first 2 shown]
	s_delay_alu instid0(VALU_DEP_2) | instskip(NEXT) | instid1(VALU_DEP_2)
	v_add_f64 v[4:5], v[18:19], -v[4:5]
	v_add_f64 v[8:9], v[14:15], -v[8:9]
	s_delay_alu instid0(VALU_DEP_1) | instskip(NEXT) | instid1(VALU_DEP_1)
	v_add_f64 v[4:5], v[4:5], v[8:9]
	v_add_f64 v[4:5], v[16:17], v[4:5]
	s_delay_alu instid0(VALU_DEP_1) | instskip(NEXT) | instid1(VALU_DEP_1)
	v_mul_f64 v[4:5], v[10:11], v[4:5]
	v_add_f64 v[8:9], v[12:13], v[4:5]
	s_delay_alu instid0(VALU_DEP_1) | instskip(NEXT) | instid1(VALU_DEP_1)
	v_mul_f64 v[10:11], v[8:9], v[8:9]
	v_fma_f64 v[14:15], v[10:11], s[10:11], s[8:9]
	s_mov_b32 s8, 0xd7f4df2e
	s_mov_b32 s9, 0x3fc7474d
	v_mul_f64 v[16:17], v[8:9], v[10:11]
	s_delay_alu instid0(VALU_DEP_2)
	v_fma_f64 v[14:15], v[10:11], v[14:15], s[8:9]
	s_mov_b32 s8, 0x16291751
	s_mov_b32 s9, 0x3fcc71c0
	s_delay_alu instid0(VALU_DEP_1) | instid1(SALU_CYCLE_1)
	v_fma_f64 v[14:15], v[10:11], v[14:15], s[8:9]
	s_mov_b32 s8, 0x9b27acf1
	s_mov_b32 s9, 0x3fd24924
	s_delay_alu instid0(VALU_DEP_1) | instid1(SALU_CYCLE_1)
	v_fma_f64 v[14:15], v[10:11], v[14:15], s[8:9]
	s_mov_b32 s8, 0x998ef7b6
	s_mov_b32 s9, 0x3fd99999
	s_delay_alu instid0(VALU_DEP_1) | instid1(SALU_CYCLE_1)
	v_fma_f64 v[14:15], v[10:11], v[14:15], s[8:9]
	s_delay_alu instid0(VALU_DEP_1) | instskip(SKIP_4) | instid1(VALU_DEP_3)
	v_fma_f64 v[10:11], v[10:11], v[14:15], s[0:1]
	v_ldexp_f64 v[14:15], v[8:9], 1
	v_add_f64 v[8:9], v[8:9], -v[12:13]
	s_mov_b32 s0, 0xfefa39ef
	s_mov_b32 s1, 0x3fe62e42
	v_mul_f64 v[10:11], v[16:17], v[10:11]
	v_cvt_f64_i32_e32 v[16:17], v6
	s_delay_alu instid0(VALU_DEP_3) | instskip(SKIP_1) | instid1(VALU_DEP_4)
	v_add_f64 v[4:5], v[4:5], -v[8:9]
	v_and_b32_e32 v6, 0x7fffffff, v1
	v_add_f64 v[12:13], v[14:15], v[10:11]
	s_delay_alu instid0(VALU_DEP_4) | instskip(NEXT) | instid1(VALU_DEP_4)
	v_mul_f64 v[18:19], v[16:17], s[0:1]
	v_ldexp_f64 v[4:5], v[4:5], 1
	s_delay_alu instid0(VALU_DEP_3) | instskip(NEXT) | instid1(VALU_DEP_3)
	v_add_f64 v[8:9], v[12:13], -v[14:15]
	v_fma_f64 v[14:15], v[16:17], s[0:1], -v[18:19]
	s_mov_b32 s0, 0x3b39803f
	s_mov_b32 s1, 0x3c7abc9e
	s_delay_alu instid0(VALU_DEP_2) | instskip(NEXT) | instid1(VALU_DEP_2)
	v_add_f64 v[8:9], v[10:11], -v[8:9]
	v_fma_f64 v[10:11], v[16:17], s[0:1], v[14:15]
	s_mov_b32 s0, 0x8d5af8fc
	s_mov_b32 s1, 0xbfdd8b61
	s_delay_alu instid0(VALU_DEP_2) | instskip(NEXT) | instid1(VALU_DEP_2)
	v_add_f64 v[4:5], v[4:5], v[8:9]
	v_add_f64 v[8:9], v[18:19], v[10:11]
	s_delay_alu instid0(VALU_DEP_2) | instskip(NEXT) | instid1(VALU_DEP_2)
	v_add_f64 v[14:15], v[12:13], v[4:5]
	v_add_f64 v[18:19], v[8:9], -v[18:19]
	s_delay_alu instid0(VALU_DEP_2) | instskip(SKIP_1) | instid1(VALU_DEP_3)
	v_add_f64 v[16:17], v[8:9], v[14:15]
	v_add_f64 v[12:13], v[14:15], -v[12:13]
	v_add_f64 v[10:11], v[10:11], -v[18:19]
	s_delay_alu instid0(VALU_DEP_3) | instskip(NEXT) | instid1(VALU_DEP_3)
	v_add_f64 v[20:21], v[16:17], -v[8:9]
	v_add_f64 v[4:5], v[4:5], -v[12:13]
	s_delay_alu instid0(VALU_DEP_2) | instskip(SKIP_1) | instid1(VALU_DEP_3)
	v_add_f64 v[22:23], v[16:17], -v[20:21]
	v_add_f64 v[12:13], v[14:15], -v[20:21]
	v_add_f64 v[14:15], v[10:11], v[4:5]
	s_delay_alu instid0(VALU_DEP_3) | instskip(NEXT) | instid1(VALU_DEP_1)
	v_add_f64 v[8:9], v[8:9], -v[22:23]
	v_add_f64 v[8:9], v[12:13], v[8:9]
	s_delay_alu instid0(VALU_DEP_3) | instskip(NEXT) | instid1(VALU_DEP_2)
	v_add_f64 v[12:13], v[14:15], -v[10:11]
	v_add_f64 v[8:9], v[14:15], v[8:9]
	s_delay_alu instid0(VALU_DEP_2) | instskip(SKIP_1) | instid1(VALU_DEP_3)
	v_add_f64 v[14:15], v[14:15], -v[12:13]
	v_add_f64 v[4:5], v[4:5], -v[12:13]
	v_add_f64 v[18:19], v[16:17], v[8:9]
	s_delay_alu instid0(VALU_DEP_3) | instskip(NEXT) | instid1(VALU_DEP_2)
	v_add_f64 v[10:11], v[10:11], -v[14:15]
	v_add_f64 v[12:13], v[18:19], -v[16:17]
	s_delay_alu instid0(VALU_DEP_2) | instskip(SKIP_4) | instid1(VALU_DEP_1)
	v_add_f64 v[4:5], v[4:5], v[10:11]
	v_add_f64 v[10:11], |v[0:1]|, s[0:1]
	v_cmp_gt_u32_e64 s0, 0x3fe76944, v7
	v_cmp_gt_u32_e64 s1, 0x3fcda661, v7
	v_add_f64 v[8:9], v[8:9], -v[12:13]
	v_add_f64 v[4:5], v[4:5], v[8:9]
	v_add_f64 v[8:9], -|v[0:1]|, 1.0
	s_delay_alu instid0(VALU_DEP_2) | instskip(NEXT) | instid1(VALU_DEP_2)
	v_add_f64 v[4:5], v[18:19], v[4:5]
	v_cndmask_b32_e64 v8, v8, v10, s0
	s_delay_alu instid0(VALU_DEP_3) | instskip(SKIP_1) | instid1(VALU_DEP_3)
	v_cndmask_b32_e64 v9, v9, v11, s0
	v_cndmask_b32_e64 v10, 0, 1, s0
	;; [unrolled: 1-line block ×3, first 2 shown]
	s_delay_alu instid0(VALU_DEP_3) | instskip(SKIP_4) | instid1(VALU_DEP_3)
	v_cndmask_b32_e64 v9, v9, v6, s1
	v_cndmask_b32_e32 v4, v4, v0, vcc_lo
	v_cndmask_b32_e64 v5, -v5, -v6, vcc_lo
	v_cmp_neq_f64_e32 vcc_lo, 0, v[0:1]
	v_cndmask_b32_e64 v6, v10, 2, s1
	v_cndmask_b32_e32 v5, 0x7ff00000, v5, vcc_lo
	v_cndmask_b32_e32 v4, 0, v4, vcc_lo
.LBB1_28:
	s_or_b32 exec_lo, exec_lo, s4
	s_delay_alu instid0(SALU_CYCLE_1)
	s_mov_b32 s0, exec_lo
                                        ; implicit-def: $vgpr12_vgpr13
	v_cmpx_lt_i32_e32 1, v6
	s_xor_b32 s0, exec_lo, s0
	s_cbranch_execz .LBB1_30
; %bb.29:
	s_mov_b32 s4, 0xf6010924
	s_mov_b32 s8, 0xbf2bab09
	s_mov_b32 s5, 0x3fcd4eae
	s_mov_b32 s9, 0x3f8b678b
	s_mov_b32 s10, 0x44ea8450
	v_fma_f64 v[10:11], v[8:9], s[8:9], s[4:5]
	s_mov_b32 s4, 0xd6537c88
	s_mov_b32 s8, 0x57d0cf61
	;; [unrolled: 1-line block ×5, first 2 shown]
	v_fma_f64 v[12:13], v[8:9], s[8:9], s[4:5]
	s_mov_b32 s4, 0xe45050af
	s_mov_b32 s8, 0xd119bd6f
	;; [unrolled: 1-line block ×4, first 2 shown]
                                        ; implicit-def: $vgpr6
	s_delay_alu instid0(VALU_DEP_2) | instskip(NEXT) | instid1(VALU_DEP_2)
	v_fma_f64 v[10:11], v[8:9], v[10:11], s[10:11]
	v_fma_f64 v[12:13], v[8:9], v[12:13], s[4:5]
	s_mov_b32 s4, 0xa42b18f5
	s_mov_b32 s5, 0x40010725
	s_delay_alu instid0(VALU_DEP_2) | instskip(SKIP_2) | instid1(VALU_DEP_2)
	v_fma_f64 v[10:11], v[8:9], v[10:11], s[8:9]
	s_mov_b32 s8, 0x8b005dff
	s_mov_b32 s9, 0x3fe4401e
	v_fma_f64 v[12:13], v[8:9], v[12:13], s[4:5]
	s_mov_b32 s4, 0xc2bd619c
	s_mov_b32 s5, 0x4003a5d7
	s_delay_alu instid0(VALU_DEP_2) | instskip(SKIP_2) | instid1(VALU_DEP_2)
	v_fma_f64 v[10:11], v[8:9], v[10:11], s[8:9]
	s_mov_b32 s8, 0xe37db0c8
	s_mov_b32 s9, 0xbfb3c467
	v_fma_f64 v[12:13], v[8:9], v[12:13], s[4:5]
	s_delay_alu instid0(VALU_DEP_2) | instskip(NEXT) | instid1(VALU_DEP_2)
	v_fma_f64 v[10:11], v[8:9], v[10:11], s[8:9]
	v_fma_f64 v[12:13], v[8:9], v[12:13], 1.0
	s_delay_alu instid0(VALU_DEP_2) | instskip(NEXT) | instid1(VALU_DEP_1)
	v_mul_f64 v[10:11], v[8:9], v[10:11]
	v_div_scale_f64 v[14:15], null, v[12:13], v[12:13], v[10:11]
	s_delay_alu instid0(VALU_DEP_1) | instskip(SKIP_2) | instid1(VALU_DEP_1)
	v_rcp_f64_e32 v[16:17], v[14:15]
	s_waitcnt_depctr 0xfff
	v_fma_f64 v[18:19], -v[14:15], v[16:17], 1.0
	v_fma_f64 v[16:17], v[16:17], v[18:19], v[16:17]
	s_delay_alu instid0(VALU_DEP_1) | instskip(NEXT) | instid1(VALU_DEP_1)
	v_fma_f64 v[18:19], -v[14:15], v[16:17], 1.0
	v_fma_f64 v[16:17], v[16:17], v[18:19], v[16:17]
	v_div_scale_f64 v[18:19], vcc_lo, v[10:11], v[12:13], v[10:11]
	s_delay_alu instid0(VALU_DEP_1) | instskip(NEXT) | instid1(VALU_DEP_1)
	v_mul_f64 v[20:21], v[18:19], v[16:17]
	v_fma_f64 v[14:15], -v[14:15], v[20:21], v[18:19]
	s_delay_alu instid0(VALU_DEP_1) | instskip(NEXT) | instid1(VALU_DEP_1)
	v_div_fmas_f64 v[14:15], v[14:15], v[16:17], v[20:21]
	v_div_fixup_f64 v[10:11], v[14:15], v[12:13], v[10:11]
	s_delay_alu instid0(VALU_DEP_1)
	v_fma_f64 v[12:13], v[8:9], -0.5, v[10:11]
                                        ; implicit-def: $vgpr8_vgpr9
.LBB1_30:
	s_and_not1_saveexec_b32 s0, s0
	s_cbranch_execz .LBB1_36
; %bb.31:
	v_mul_f64 v[10:11], v[8:9], v[8:9]
	s_mov_b32 s1, exec_lo
                                        ; implicit-def: $vgpr12_vgpr13
	v_cmpx_ne_u32_e32 1, v6
	s_xor_b32 s1, exec_lo, s1
	s_cbranch_execz .LBB1_33
; %bb.32:
	s_mov_b32 s4, 0x987dfb07
	s_mov_b32 s8, 0x90a45837
	s_mov_b32 s5, 0x3f1c5088
	s_mov_b32 s9, 0x3f07858e
	s_mov_b32 s10, 0x89b99c00
	s_delay_alu instid0(VALU_DEP_2)
	v_fma_f64 v[12:13], v[10:11], s[8:9], s[4:5]
	s_mov_b32 s4, 0xed10e54d
	s_mov_b32 s8, 0x428cfa52
	;; [unrolled: 1-line block ×5, first 2 shown]
	v_fma_f64 v[14:15], v[10:11], s[8:9], s[4:5]
	s_mov_b32 s4, 0x116f3f5d
	s_mov_b32 s8, 0xccb7926b
	s_mov_b32 s5, 0x3f538a94
	s_mov_b32 s9, 0x3f67add8
	s_delay_alu instid0(VALU_DEP_2) | instskip(NEXT) | instid1(VALU_DEP_2)
	v_fma_f64 v[12:13], v[10:11], v[12:13], s[10:11]
	v_fma_f64 v[14:15], v[10:11], v[14:15], s[4:5]
	s_mov_b32 s4, 0xb68fefe8
	s_mov_b32 s5, 0x3f7e404f
	s_delay_alu instid0(VALU_DEP_2) | instskip(SKIP_2) | instid1(VALU_DEP_2)
	v_fma_f64 v[12:13], v[10:11], v[12:13], s[8:9]
	s_mov_b32 s8, 0xac92547b
	s_mov_b32 s9, 0x3f951322
	v_fma_f64 v[14:15], v[10:11], v[14:15], s[4:5]
	s_mov_b32 s4, 0x1a5562a7
	s_mov_b32 s5, 0x3fb13e00
	s_delay_alu instid0(VALU_DEP_2) | instskip(SKIP_2) | instid1(VALU_DEP_2)
	v_fma_f64 v[12:13], v[10:11], v[12:13], s[8:9]
	s_mov_b32 s8, 0xc4a60fad
	s_mov_b32 s9, 0x3fd4a34c
	v_fma_f64 v[14:15], v[10:11], v[14:15], s[4:5]
	s_mov_b32 s4, 0xe37db0c8
	s_mov_b32 s5, 0x3fb3c467
	s_delay_alu instid0(VALU_DEP_2) | instskip(NEXT) | instid1(VALU_DEP_2)
	v_fma_f64 v[12:13], v[10:11], v[12:13], s[8:9]
	v_fma_f64 v[14:15], v[10:11], v[14:15], s[4:5]
	s_delay_alu instid0(VALU_DEP_2) | instskip(NEXT) | instid1(VALU_DEP_1)
	v_mul_f64 v[10:11], v[10:11], v[12:13]
	v_fma_f64 v[10:11], v[8:9], v[14:15], v[10:11]
	s_delay_alu instid0(VALU_DEP_1)
	v_fma_f64 v[12:13], v[8:9], -0.5, v[10:11]
                                        ; implicit-def: $vgpr8_vgpr9
                                        ; implicit-def: $vgpr10_vgpr11
.LBB1_33:
	s_and_not1_saveexec_b32 s1, s1
	s_cbranch_execz .LBB1_35
; %bb.34:
	s_delay_alu instid0(VALU_DEP_2)
	v_mul_f64 v[12:13], v[8:9], v[10:11]
	s_mov_b32 s4, 0xef61a8e9
	s_mov_b32 s8, 0xecc38c38
	;; [unrolled: 1-line block ×8, first 2 shown]
	s_delay_alu instid0(VALU_DEP_1)
	v_fma_f64 v[14:15], v[12:13], s[8:9], s[4:5]
	v_fma_f64 v[16:17], v[12:13], s[12:13], s[10:11]
	s_mov_b32 s4, 0xb3e914d7
	s_mov_b32 s8, 0x2e15c915
	;; [unrolled: 1-line block ×8, first 2 shown]
	s_delay_alu instid0(VALU_DEP_2) | instskip(NEXT) | instid1(VALU_DEP_2)
	v_fma_f64 v[14:15], v[12:13], v[14:15], s[4:5]
	v_fma_f64 v[16:17], v[12:13], v[16:17], s[8:9]
	s_mov_b32 s4, 0xbf2d1af1
	s_mov_b32 s8, 0x6c0ebbf7
	s_mov_b32 s5, 0xbf56fe8e
	s_mov_b32 s9, 0x3f34af6d
	s_delay_alu instid0(SALU_CYCLE_1) | instskip(SKIP_4) | instid1(VALU_DEP_3)
	v_fma_f64 v[18:19], v[12:13], s[8:9], s[4:5]
	s_mov_b32 s4, 0xe370e344
	s_mov_b32 s8, 0x8dc6c509
	;; [unrolled: 1-line block ×4, first 2 shown]
	v_fma_f64 v[14:15], v[12:13], v[14:15], s[10:11]
	s_delay_alu instid0(VALU_DEP_3) | instskip(SKIP_2) | instid1(VALU_DEP_3)
	v_fma_f64 v[16:17], v[12:13], v[16:17], s[12:13]
	s_mov_b32 s10, 0x94d5419b
	s_mov_b32 s11, 0x3fb08b42
	v_fma_f64 v[18:19], v[12:13], v[18:19], s[4:5]
	s_mov_b32 s4, 0xdf35b713
	s_mov_b32 s5, 0xbfa0c9a8
	s_delay_alu instid0(VALU_DEP_3) | instskip(NEXT) | instid1(VALU_DEP_3)
	v_fma_f64 v[14:15], v[12:13], v[14:15], s[8:9]
	v_fma_f64 v[16:17], v[12:13], v[16:17], s[10:11]
	s_mov_b32 s8, 0xa48a971f
	s_mov_b32 s9, 0xbc50c7ca
	s_delay_alu instid0(VALU_DEP_3) | instskip(SKIP_2) | instid1(VALU_DEP_2)
	v_fma_f64 v[18:19], v[12:13], v[18:19], s[4:5]
	s_mov_b32 s4, 0xc8ee38a2
	s_mov_b32 s5, 0x3fdef72b
	v_fma_f64 v[8:9], v[8:9], v[16:17], v[14:15]
	s_delay_alu instid0(VALU_DEP_2) | instskip(SKIP_2) | instid1(VALU_DEP_2)
	v_fma_f64 v[14:15], v[12:13], v[18:19], s[4:5]
	s_mov_b32 s4, 0xbcc38a42
	s_mov_b32 s5, 0xbfbf19b9
	v_fma_f64 v[8:9], v[12:13], -v[8:9], s[8:9]
	s_delay_alu instid0(VALU_DEP_1) | instskip(NEXT) | instid1(VALU_DEP_1)
	v_fma_f64 v[8:9], v[10:11], v[14:15], -v[8:9]
	v_add_f64 v[12:13], v[8:9], s[4:5]
.LBB1_35:
	s_or_b32 exec_lo, exec_lo, s1
.LBB1_36:
	s_delay_alu instid0(SALU_CYCLE_1) | instskip(NEXT) | instid1(VALU_DEP_1)
	s_or_b32 exec_lo, exec_lo, s0
	v_add_f64 v[4:5], v[4:5], v[12:13]
.LBB1_37:
	s_or_b32 exec_lo, exec_lo, s3
.LBB1_38:
	s_and_not1_saveexec_b32 s0, s2
	s_cbranch_execz .LBB1_40
; %bb.39:
	v_frexp_mant_f64_e64 v[4:5], |v[0:1]|
	s_mov_b32 s3, 0x3fe55555
	s_mov_b32 s2, 0x55555555
	v_mov_b32_e32 v8, 0
	s_mov_b32 s4, 0x6b47b09a
	s_mov_b32 s8, 0xbf559e2b
	;; [unrolled: 1-line block ×4, first 2 shown]
	v_frexp_exp_i32_f64_e32 v6, v[0:1]
	s_delay_alu instid0(VALU_DEP_3) | instskip(SKIP_2) | instid1(VALU_DEP_3)
	v_cmp_gt_f64_e32 vcc_lo, s[2:3], v[4:5]
	s_mov_b32 s2, 0x55555780
	v_cndmask_b32_e64 v9, 0x3ff00000, 2.0, vcc_lo
	v_subrev_co_ci_u32_e32 v6, vcc_lo, 0, v6, vcc_lo
	v_cmp_class_f64_e64 vcc_lo, v[0:1], 0x204
	s_delay_alu instid0(VALU_DEP_3) | instskip(NEXT) | instid1(VALU_DEP_1)
	v_mul_f64 v[4:5], v[4:5], v[8:9]
	v_add_f64 v[8:9], v[4:5], 1.0
	v_add_f64 v[14:15], v[4:5], -1.0
	s_delay_alu instid0(VALU_DEP_2) | instskip(SKIP_1) | instid1(VALU_DEP_1)
	v_rcp_f64_e32 v[10:11], v[8:9]
	v_add_f64 v[16:17], v[8:9], -1.0
	v_add_f64 v[4:5], v[4:5], -v[16:17]
	s_waitcnt_depctr 0xfff
	v_fma_f64 v[12:13], -v[8:9], v[10:11], 1.0
	s_delay_alu instid0(VALU_DEP_1) | instskip(NEXT) | instid1(VALU_DEP_1)
	v_fma_f64 v[10:11], v[12:13], v[10:11], v[10:11]
	v_fma_f64 v[12:13], -v[8:9], v[10:11], 1.0
	s_delay_alu instid0(VALU_DEP_1) | instskip(NEXT) | instid1(VALU_DEP_1)
	v_fma_f64 v[10:11], v[12:13], v[10:11], v[10:11]
	v_mul_f64 v[12:13], v[14:15], v[10:11]
	s_delay_alu instid0(VALU_DEP_1) | instskip(NEXT) | instid1(VALU_DEP_1)
	v_mul_f64 v[18:19], v[8:9], v[12:13]
	v_fma_f64 v[8:9], v[12:13], v[8:9], -v[18:19]
	s_delay_alu instid0(VALU_DEP_1) | instskip(NEXT) | instid1(VALU_DEP_1)
	v_fma_f64 v[4:5], v[12:13], v[4:5], v[8:9]
	v_add_f64 v[8:9], v[18:19], v[4:5]
	s_delay_alu instid0(VALU_DEP_1) | instskip(SKIP_1) | instid1(VALU_DEP_2)
	v_add_f64 v[16:17], v[14:15], -v[8:9]
	v_add_f64 v[18:19], v[8:9], -v[18:19]
	;; [unrolled: 1-line block ×3, first 2 shown]
	s_delay_alu instid0(VALU_DEP_2) | instskip(NEXT) | instid1(VALU_DEP_2)
	v_add_f64 v[4:5], v[18:19], -v[4:5]
	v_add_f64 v[8:9], v[14:15], -v[8:9]
	s_delay_alu instid0(VALU_DEP_1) | instskip(NEXT) | instid1(VALU_DEP_1)
	v_add_f64 v[4:5], v[4:5], v[8:9]
	v_add_f64 v[4:5], v[16:17], v[4:5]
	s_delay_alu instid0(VALU_DEP_1) | instskip(NEXT) | instid1(VALU_DEP_1)
	v_mul_f64 v[4:5], v[10:11], v[4:5]
	v_add_f64 v[8:9], v[12:13], v[4:5]
	s_delay_alu instid0(VALU_DEP_1) | instskip(NEXT) | instid1(VALU_DEP_1)
	v_mul_f64 v[10:11], v[8:9], v[8:9]
	v_fma_f64 v[14:15], v[10:11], s[8:9], s[4:5]
	s_mov_b32 s4, 0xd7f4df2e
	s_mov_b32 s5, 0x3fc7474d
	v_mul_f64 v[16:17], v[8:9], v[10:11]
	s_delay_alu instid0(VALU_DEP_2)
	v_fma_f64 v[14:15], v[10:11], v[14:15], s[4:5]
	s_mov_b32 s4, 0x16291751
	s_mov_b32 s5, 0x3fcc71c0
	s_delay_alu instid0(VALU_DEP_1) | instid1(SALU_CYCLE_1)
	v_fma_f64 v[14:15], v[10:11], v[14:15], s[4:5]
	s_mov_b32 s4, 0x9b27acf1
	s_mov_b32 s5, 0x3fd24924
	s_delay_alu instid0(VALU_DEP_1) | instid1(SALU_CYCLE_1)
	v_fma_f64 v[14:15], v[10:11], v[14:15], s[4:5]
	s_mov_b32 s4, 0x998ef7b6
	s_mov_b32 s5, 0x3fd99999
	s_delay_alu instid0(VALU_DEP_1) | instid1(SALU_CYCLE_1)
	v_fma_f64 v[14:15], v[10:11], v[14:15], s[4:5]
	s_mov_b32 s4, 0x17aa6149
	s_mov_b32 s5, 0xbfca8b9c
	s_delay_alu instid0(VALU_DEP_1) | instskip(SKIP_4) | instid1(VALU_DEP_3)
	v_fma_f64 v[10:11], v[10:11], v[14:15], s[2:3]
	v_ldexp_f64 v[14:15], v[8:9], 1
	v_add_f64 v[8:9], v[8:9], -v[12:13]
	s_mov_b32 s2, 0xfefa39ef
	s_mov_b32 s3, 0x3fe62e42
	v_mul_f64 v[10:11], v[16:17], v[10:11]
	v_cvt_f64_i32_e32 v[16:17], v6
	s_delay_alu instid0(VALU_DEP_3) | instskip(SKIP_1) | instid1(VALU_DEP_4)
	v_add_f64 v[4:5], v[4:5], -v[8:9]
	v_and_b32_e32 v6, 0x7fffffff, v1
	v_add_f64 v[12:13], v[14:15], v[10:11]
	s_delay_alu instid0(VALU_DEP_4) | instskip(NEXT) | instid1(VALU_DEP_4)
	v_mul_f64 v[18:19], v[16:17], s[2:3]
	v_ldexp_f64 v[4:5], v[4:5], 1
	s_delay_alu instid0(VALU_DEP_3) | instskip(NEXT) | instid1(VALU_DEP_3)
	v_add_f64 v[8:9], v[12:13], -v[14:15]
	v_fma_f64 v[14:15], v[16:17], s[2:3], -v[18:19]
	s_mov_b32 s2, 0x3b39803f
	s_mov_b32 s3, 0x3c7abc9e
	s_delay_alu instid0(VALU_DEP_2) | instskip(NEXT) | instid1(VALU_DEP_2)
	v_add_f64 v[8:9], v[10:11], -v[8:9]
	v_fma_f64 v[10:11], v[16:17], s[2:3], v[14:15]
	s_mov_b32 s2, 0x2ac7d848
	s_mov_b32 s3, 0x3fd15132
	s_delay_alu instid0(VALU_DEP_2) | instskip(NEXT) | instid1(VALU_DEP_2)
	v_add_f64 v[4:5], v[4:5], v[8:9]
	v_add_f64 v[8:9], v[18:19], v[10:11]
	s_delay_alu instid0(VALU_DEP_2) | instskip(NEXT) | instid1(VALU_DEP_2)
	v_add_f64 v[14:15], v[12:13], v[4:5]
	v_add_f64 v[18:19], v[8:9], -v[18:19]
	s_delay_alu instid0(VALU_DEP_2) | instskip(SKIP_1) | instid1(VALU_DEP_3)
	v_add_f64 v[16:17], v[8:9], v[14:15]
	v_add_f64 v[12:13], v[14:15], -v[12:13]
	v_add_f64 v[10:11], v[10:11], -v[18:19]
	s_delay_alu instid0(VALU_DEP_3) | instskip(NEXT) | instid1(VALU_DEP_3)
	v_add_f64 v[20:21], v[16:17], -v[8:9]
	v_add_f64 v[4:5], v[4:5], -v[12:13]
	s_delay_alu instid0(VALU_DEP_2) | instskip(SKIP_1) | instid1(VALU_DEP_3)
	v_add_f64 v[22:23], v[16:17], -v[20:21]
	v_add_f64 v[12:13], v[14:15], -v[20:21]
	v_add_f64 v[14:15], v[10:11], v[4:5]
	s_delay_alu instid0(VALU_DEP_3) | instskip(NEXT) | instid1(VALU_DEP_1)
	v_add_f64 v[8:9], v[8:9], -v[22:23]
	v_add_f64 v[8:9], v[12:13], v[8:9]
	s_delay_alu instid0(VALU_DEP_3) | instskip(NEXT) | instid1(VALU_DEP_2)
	v_add_f64 v[12:13], v[14:15], -v[10:11]
	v_add_f64 v[8:9], v[14:15], v[8:9]
	s_delay_alu instid0(VALU_DEP_2) | instskip(SKIP_1) | instid1(VALU_DEP_3)
	v_add_f64 v[14:15], v[14:15], -v[12:13]
	v_add_f64 v[4:5], v[4:5], -v[12:13]
	v_add_f64 v[18:19], v[16:17], v[8:9]
	s_delay_alu instid0(VALU_DEP_3) | instskip(NEXT) | instid1(VALU_DEP_2)
	v_add_f64 v[10:11], v[10:11], -v[14:15]
	v_add_f64 v[12:13], v[18:19], -v[16:17]
	s_delay_alu instid0(VALU_DEP_2) | instskip(SKIP_3) | instid1(VALU_DEP_3)
	v_add_f64 v[4:5], v[4:5], v[10:11]
	v_fma_f64 v[10:11], |v[0:1]|, s[4:5], s[2:3]
	s_mov_b32 s2, 0x5beab2d7
	s_mov_b32 s3, 0xbfd9a4d5
	v_add_f64 v[8:9], v[8:9], -v[12:13]
	s_delay_alu instid0(VALU_DEP_1) | instskip(NEXT) | instid1(VALU_DEP_3)
	v_add_f64 v[4:5], v[4:5], v[8:9]
	v_fma_f64 v[8:9], |v[0:1]|, v[10:11], s[2:3]
	s_mov_b32 s2, 0x625307d3
	s_mov_b32 s3, 0x3fea51a6
	s_delay_alu instid0(VALU_DEP_2) | instskip(NEXT) | instid1(VALU_DEP_2)
	v_add_f64 v[4:5], v[18:19], v[4:5]
	v_fma_f64 v[8:9], |v[0:1]|, v[8:9], s[2:3]
	s_mov_b32 s2, 0xfc6fb619
	s_mov_b32 s3, 0xbfe2788c
	s_delay_alu instid0(VALU_DEP_2) | instskip(NEXT) | instid1(VALU_DEP_3)
	v_cndmask_b32_e32 v10, v4, v0, vcc_lo
	v_cndmask_b32_e64 v6, -v5, -v6, vcc_lo
	v_cmp_neq_f64_e32 vcc_lo, 0, v[0:1]
	s_delay_alu instid0(VALU_DEP_4) | instskip(NEXT) | instid1(VALU_DEP_3)
	v_fma_f64 v[4:5], |v[0:1]|, v[8:9], s[2:3]
	v_cndmask_b32_e32 v9, 0x7ff00000, v6, vcc_lo
	v_cndmask_b32_e32 v8, 0, v10, vcc_lo
	s_delay_alu instid0(VALU_DEP_1)
	v_fma_f64 v[4:5], |v[0:1]|, v[4:5], v[8:9]
.LBB1_40:
	s_or_b32 exec_lo, exec_lo, s0
	s_delay_alu instid0(SALU_CYCLE_1)
	s_mov_b32 s0, exec_lo
	v_cmpx_le_f64_e32 0, v[0:1]
	s_xor_b32 s1, exec_lo, s0
; %bb.41:
	v_cmp_eq_f64_e32 vcc_lo, 1.0, v[0:1]
	v_cmp_eq_f64_e64 s0, 2.0, v[0:1]
	s_delay_alu instid0(VALU_DEP_1)
	s_or_b32 s0, vcc_lo, s0
	s_delay_alu instid0(VALU_DEP_4) | instid1(SALU_CYCLE_1)
	v_cndmask_b32_e64 v5, v5, 0, s0
	v_cndmask_b32_e64 v4, v4, 0, s0
; %bb.42:
	s_and_not1_saveexec_b32 s1, s1
	s_cbranch_execz .LBB1_46
; %bb.43:
	v_add_nc_u32_e32 v6, 0xc32fffff, v7
	s_mov_b32 s2, exec_lo
	s_delay_alu instid0(VALU_DEP_1)
	v_cmpx_gt_u32_e32 0x65fffff, v6
	s_cbranch_execz .LBB1_45
; %bb.44:
	v_mul_f64 v[8:9], |v[0:1]|, 0.5
	s_mov_b32 s4, 0x6fdffd2b
	s_mov_b32 s8, 0xf99eb0bb
	s_mov_b32 s10, 0xca1d4f33
	s_mov_b32 s12, 0x2e21c33
	s_mov_b32 s5, 0xbf7e2fe7
	s_mov_b32 s9, 0x3f3e357e
	s_mov_b32 s11, 0x3f5f9c89
	s_mov_b32 s13, 0xbf1b1673
	v_cmp_class_f64_e64 s0, v[0:1], 0x1f8
	s_delay_alu instid0(VALU_DEP_2) | instskip(SKIP_1) | instid1(VALU_DEP_2)
	v_fract_f64_e32 v[10:11], v[8:9]
	v_cmp_neq_f64_e64 vcc_lo, 0x7ff00000, |v[8:9]|
	v_add_f64 v[10:11], v[10:11], v[10:11]
	s_delay_alu instid0(VALU_DEP_1) | instskip(NEXT) | instid1(VALU_DEP_2)
	v_dual_cndmask_b32 v9, 0, v11 :: v_dual_and_b32 v6, 0x7fffffff, v1
	v_cndmask_b32_e32 v8, 0, v10, vcc_lo
	v_cmp_gt_f64_e64 vcc_lo, |v[0:1]|, 1.0
	s_delay_alu instid0(VALU_DEP_2) | instskip(NEXT) | instid1(VALU_DEP_1)
	v_dual_cndmask_b32 v9, v6, v9 :: v_dual_cndmask_b32 v8, v0, v8
	v_add_f64 v[10:11], v[8:9], v[8:9]
	s_delay_alu instid0(VALU_DEP_1) | instskip(NEXT) | instid1(VALU_DEP_1)
	v_rndne_f64_e32 v[10:11], v[10:11]
	v_fma_f64 v[8:9], v[10:11], -0.5, v[8:9]
	v_cvt_i32_f64_e32 v6, v[10:11]
	s_delay_alu instid0(VALU_DEP_2) | instskip(NEXT) | instid1(VALU_DEP_1)
	v_mul_f64 v[12:13], v[8:9], v[8:9]
	v_fma_f64 v[14:15], v[12:13], s[8:9], s[4:5]
	v_fma_f64 v[16:17], v[12:13], s[12:13], s[10:11]
	s_mov_b32 s4, 0xd5f14825
	s_mov_b32 s8, 0x7294bff9
	;; [unrolled: 1-line block ×4, first 2 shown]
	v_mul_f64 v[18:19], v[8:9], v[12:13]
	s_mov_b32 s10, 0xbf559e2b
	s_mov_b32 s11, 0x3fc3ab76
	s_delay_alu instid0(VALU_DEP_3) | instskip(NEXT) | instid1(VALU_DEP_3)
	v_fma_f64 v[14:15], v[12:13], v[14:15], s[4:5]
	v_fma_f64 v[16:17], v[12:13], v[16:17], s[8:9]
	s_mov_b32 s4, 0xcdfe9424
	s_mov_b32 s8, 0x67b90b37
	s_mov_b32 s5, 0xbfe32d2c
	s_mov_b32 s9, 0x3fce1f50
	s_delay_alu instid0(VALU_DEP_2) | instskip(NEXT) | instid1(VALU_DEP_2)
	v_fma_f64 v[14:15], v[12:13], v[14:15], s[4:5]
	v_fma_f64 v[16:17], v[12:13], v[16:17], s[8:9]
	s_mov_b32 s4, 0x67754fff
	s_mov_b32 s8, 0x7e3c325b
	s_mov_b32 s5, 0x400466bc
	s_mov_b32 s9, 0xbff55d3c
	s_delay_alu instid0(VALU_DEP_2) | instskip(NEXT) | instid1(VALU_DEP_2)
	;; [unrolled: 7-line block ×4, first 2 shown]
	v_mul_f64 v[14:15], v[18:19], v[14:15]
	v_fma_f64 v[16:17], v[12:13], v[16:17], s[4:5]
	s_mov_b32 s4, 0x54442d18
	s_mov_b32 s5, 0x400921fb
	s_delay_alu instid0(VALU_DEP_2) | instid1(SALU_CYCLE_1)
	v_fma_f64 v[8:9], v[8:9], s[4:5], v[14:15]
	s_delay_alu instid0(VALU_DEP_2) | instskip(SKIP_2) | instid1(VALU_DEP_2)
	v_fma_f64 v[10:11], v[12:13], v[16:17], 1.0
	v_and_b32_e32 v12, 1, v6
	v_lshlrev_b32_e32 v6, 30, v6
	v_cmp_eq_u32_e32 vcc_lo, 0, v12
	s_delay_alu instid0(VALU_DEP_2) | instskip(NEXT) | instid1(VALU_DEP_1)
	v_xor_b32_e32 v6, v6, v1
	v_dual_cndmask_b32 v9, v11, v9 :: v_dual_and_b32 v6, 0x80000000, v6
	v_cndmask_b32_e32 v8, v10, v8, vcc_lo
	s_delay_alu instid0(VALU_DEP_2) | instskip(NEXT) | instid1(VALU_DEP_2)
	v_xor_b32_e32 v6, v9, v6
	v_cndmask_b32_e64 v8, 0, v8, s0
	s_delay_alu instid0(VALU_DEP_2) | instskip(SKIP_1) | instid1(VALU_DEP_2)
	v_cndmask_b32_e64 v9, 0x7ff80000, v6, s0
	v_cmp_class_f64_e64 s0, v[0:1], 0x204
	v_mul_f64 v[8:9], v[8:9], v[0:1]
	s_delay_alu instid0(VALU_DEP_1) | instskip(NEXT) | instid1(VALU_DEP_1)
	v_dual_mov_b32 v10, v8 :: v_dual_and_b32 v11, 0x7fffffff, v9
	v_div_scale_f64 v[12:13], null, v[10:11], v[10:11], s[4:5]
	v_div_scale_f64 v[10:11], vcc_lo, s[4:5], v[10:11], s[4:5]
	s_delay_alu instid0(VALU_DEP_2) | instskip(SKIP_2) | instid1(VALU_DEP_1)
	v_rcp_f64_e32 v[14:15], v[12:13]
	s_waitcnt_depctr 0xfff
	v_fma_f64 v[16:17], -v[12:13], v[14:15], 1.0
	v_fma_f64 v[14:15], v[14:15], v[16:17], v[14:15]
	s_delay_alu instid0(VALU_DEP_1) | instskip(NEXT) | instid1(VALU_DEP_1)
	v_fma_f64 v[16:17], -v[12:13], v[14:15], 1.0
	v_fma_f64 v[14:15], v[14:15], v[16:17], v[14:15]
	s_delay_alu instid0(VALU_DEP_1) | instskip(NEXT) | instid1(VALU_DEP_1)
	v_mul_f64 v[16:17], v[10:11], v[14:15]
	v_fma_f64 v[10:11], -v[12:13], v[16:17], v[10:11]
	v_mov_b32_e32 v12, 0
	s_delay_alu instid0(VALU_DEP_2) | instskip(NEXT) | instid1(VALU_DEP_1)
	v_div_fmas_f64 v[10:11], v[10:11], v[14:15], v[16:17]
	v_div_fixup_f64 v[8:9], v[10:11], |v[8:9]|, s[4:5]
	s_mov_b32 s5, 0x3fe55555
	s_mov_b32 s4, 0x55555555
	s_delay_alu instid0(VALU_DEP_1) | instskip(SKIP_1) | instid1(VALU_DEP_2)
	v_frexp_mant_f64_e32 v[10:11], v[8:9]
	v_frexp_exp_i32_f64_e32 v6, v[8:9]
	v_cmp_gt_f64_e32 vcc_lo, s[4:5], v[10:11]
	s_mov_b32 s4, 0x55555780
	v_cndmask_b32_e64 v13, 0x3ff00000, 2.0, vcc_lo
	s_delay_alu instid0(VALU_DEP_3) | instskip(SKIP_1) | instid1(VALU_DEP_3)
	v_subrev_co_ci_u32_e32 v6, vcc_lo, 0, v6, vcc_lo
	v_cmp_class_f64_e64 vcc_lo, v[8:9], 0x204
	v_mul_f64 v[10:11], v[10:11], v[12:13]
	s_delay_alu instid0(VALU_DEP_1) | instskip(SKIP_1) | instid1(VALU_DEP_2)
	v_add_f64 v[12:13], v[10:11], 1.0
	v_add_f64 v[18:19], v[10:11], -1.0
	v_rcp_f64_e32 v[14:15], v[12:13]
	v_add_f64 v[20:21], v[12:13], -1.0
	s_delay_alu instid0(VALU_DEP_1) | instskip(SKIP_2) | instid1(VALU_DEP_1)
	v_add_f64 v[10:11], v[10:11], -v[20:21]
	s_waitcnt_depctr 0xfff
	v_fma_f64 v[16:17], -v[12:13], v[14:15], 1.0
	v_fma_f64 v[14:15], v[16:17], v[14:15], v[14:15]
	s_delay_alu instid0(VALU_DEP_1) | instskip(NEXT) | instid1(VALU_DEP_1)
	v_fma_f64 v[16:17], -v[12:13], v[14:15], 1.0
	v_fma_f64 v[14:15], v[16:17], v[14:15], v[14:15]
	s_delay_alu instid0(VALU_DEP_1) | instskip(NEXT) | instid1(VALU_DEP_1)
	v_mul_f64 v[16:17], v[18:19], v[14:15]
	v_mul_f64 v[22:23], v[12:13], v[16:17]
	s_delay_alu instid0(VALU_DEP_1) | instskip(NEXT) | instid1(VALU_DEP_1)
	v_fma_f64 v[12:13], v[16:17], v[12:13], -v[22:23]
	v_fma_f64 v[10:11], v[16:17], v[10:11], v[12:13]
	s_delay_alu instid0(VALU_DEP_1) | instskip(NEXT) | instid1(VALU_DEP_1)
	v_add_f64 v[12:13], v[22:23], v[10:11]
	v_add_f64 v[20:21], v[18:19], -v[12:13]
	v_add_f64 v[22:23], v[12:13], -v[22:23]
	s_delay_alu instid0(VALU_DEP_2) | instskip(NEXT) | instid1(VALU_DEP_2)
	v_add_f64 v[18:19], v[18:19], -v[20:21]
	v_add_f64 v[10:11], v[22:23], -v[10:11]
	s_delay_alu instid0(VALU_DEP_2) | instskip(NEXT) | instid1(VALU_DEP_1)
	v_add_f64 v[12:13], v[18:19], -v[12:13]
	v_add_f64 v[10:11], v[10:11], v[12:13]
	s_delay_alu instid0(VALU_DEP_1) | instskip(NEXT) | instid1(VALU_DEP_1)
	v_add_f64 v[10:11], v[20:21], v[10:11]
	v_mul_f64 v[10:11], v[14:15], v[10:11]
	s_delay_alu instid0(VALU_DEP_1) | instskip(NEXT) | instid1(VALU_DEP_1)
	v_add_f64 v[12:13], v[16:17], v[10:11]
	v_mul_f64 v[14:15], v[12:13], v[12:13]
	s_delay_alu instid0(VALU_DEP_1) | instskip(SKIP_3) | instid1(VALU_DEP_2)
	v_fma_f64 v[18:19], v[14:15], s[10:11], s[8:9]
	s_mov_b32 s8, 0xd7f4df2e
	s_mov_b32 s9, 0x3fc7474d
	v_mul_f64 v[20:21], v[12:13], v[14:15]
	v_fma_f64 v[18:19], v[14:15], v[18:19], s[8:9]
	s_mov_b32 s8, 0x16291751
	s_mov_b32 s9, 0x3fcc71c0
	s_delay_alu instid0(VALU_DEP_1) | instid1(SALU_CYCLE_1)
	v_fma_f64 v[18:19], v[14:15], v[18:19], s[8:9]
	s_mov_b32 s8, 0x9b27acf1
	s_mov_b32 s9, 0x3fd24924
	s_delay_alu instid0(VALU_DEP_1) | instid1(SALU_CYCLE_1)
	;; [unrolled: 4-line block ×3, first 2 shown]
	v_fma_f64 v[18:19], v[14:15], v[18:19], s[8:9]
	s_delay_alu instid0(VALU_DEP_1) | instskip(SKIP_4) | instid1(VALU_DEP_3)
	v_fma_f64 v[14:15], v[14:15], v[18:19], s[4:5]
	v_ldexp_f64 v[18:19], v[12:13], 1
	v_add_f64 v[12:13], v[12:13], -v[16:17]
	s_mov_b32 s4, 0xfefa39ef
	s_mov_b32 s5, 0x3fe62e42
	v_mul_f64 v[14:15], v[20:21], v[14:15]
	v_cvt_f64_i32_e32 v[20:21], v6
	s_delay_alu instid0(VALU_DEP_3) | instskip(NEXT) | instid1(VALU_DEP_3)
	v_add_f64 v[10:11], v[10:11], -v[12:13]
	v_add_f64 v[16:17], v[18:19], v[14:15]
	s_delay_alu instid0(VALU_DEP_3) | instskip(NEXT) | instid1(VALU_DEP_3)
	v_mul_f64 v[22:23], v[20:21], s[4:5]
	v_ldexp_f64 v[10:11], v[10:11], 1
	s_delay_alu instid0(VALU_DEP_3) | instskip(NEXT) | instid1(VALU_DEP_3)
	v_add_f64 v[12:13], v[16:17], -v[18:19]
	v_fma_f64 v[18:19], v[20:21], s[4:5], -v[22:23]
	s_mov_b32 s4, 0x3b39803f
	s_mov_b32 s5, 0x3c7abc9e
	s_delay_alu instid0(VALU_DEP_2) | instskip(NEXT) | instid1(VALU_DEP_2)
	v_add_f64 v[12:13], v[14:15], -v[12:13]
	v_fma_f64 v[14:15], v[20:21], s[4:5], v[18:19]
	s_delay_alu instid0(VALU_DEP_2) | instskip(NEXT) | instid1(VALU_DEP_2)
	v_add_f64 v[10:11], v[10:11], v[12:13]
	v_add_f64 v[12:13], v[22:23], v[14:15]
	s_delay_alu instid0(VALU_DEP_2) | instskip(NEXT) | instid1(VALU_DEP_2)
	v_add_f64 v[18:19], v[16:17], v[10:11]
	v_add_f64 v[22:23], v[12:13], -v[22:23]
	s_delay_alu instid0(VALU_DEP_2) | instskip(SKIP_1) | instid1(VALU_DEP_3)
	v_add_f64 v[20:21], v[12:13], v[18:19]
	v_add_f64 v[16:17], v[18:19], -v[16:17]
	v_add_f64 v[14:15], v[14:15], -v[22:23]
	s_delay_alu instid0(VALU_DEP_3) | instskip(NEXT) | instid1(VALU_DEP_3)
	v_add_f64 v[24:25], v[20:21], -v[12:13]
	v_add_f64 v[10:11], v[10:11], -v[16:17]
	s_delay_alu instid0(VALU_DEP_2) | instskip(SKIP_1) | instid1(VALU_DEP_3)
	v_add_f64 v[26:27], v[20:21], -v[24:25]
	v_add_f64 v[16:17], v[18:19], -v[24:25]
	v_add_f64 v[18:19], v[14:15], v[10:11]
	s_delay_alu instid0(VALU_DEP_3) | instskip(NEXT) | instid1(VALU_DEP_1)
	v_add_f64 v[12:13], v[12:13], -v[26:27]
	v_add_f64 v[12:13], v[16:17], v[12:13]
	s_delay_alu instid0(VALU_DEP_3) | instskip(NEXT) | instid1(VALU_DEP_2)
	v_add_f64 v[16:17], v[18:19], -v[14:15]
	v_add_f64 v[12:13], v[18:19], v[12:13]
	s_delay_alu instid0(VALU_DEP_2) | instskip(SKIP_1) | instid1(VALU_DEP_3)
	v_add_f64 v[18:19], v[18:19], -v[16:17]
	v_add_f64 v[10:11], v[10:11], -v[16:17]
	v_add_f64 v[22:23], v[20:21], v[12:13]
	s_delay_alu instid0(VALU_DEP_3) | instskip(NEXT) | instid1(VALU_DEP_2)
	v_add_f64 v[14:15], v[14:15], -v[18:19]
	v_add_f64 v[16:17], v[22:23], -v[20:21]
	s_delay_alu instid0(VALU_DEP_2) | instskip(NEXT) | instid1(VALU_DEP_2)
	v_add_f64 v[10:11], v[10:11], v[14:15]
	v_add_f64 v[12:13], v[12:13], -v[16:17]
	s_delay_alu instid0(VALU_DEP_1) | instskip(NEXT) | instid1(VALU_DEP_1)
	v_add_f64 v[10:11], v[10:11], v[12:13]
	v_add_f64 v[10:11], v[22:23], v[10:11]
	s_delay_alu instid0(VALU_DEP_1) | instskip(NEXT) | instid1(VALU_DEP_2)
	v_cndmask_b32_e32 v6, v10, v8, vcc_lo
	v_cndmask_b32_e32 v10, v11, v9, vcc_lo
	v_cmp_neq_f64_e32 vcc_lo, 0, v[8:9]
	v_fract_f64_e32 v[8:9], v[0:1]
	s_delay_alu instid0(VALU_DEP_3) | instskip(SKIP_1) | instid1(VALU_DEP_3)
	v_cndmask_b32_e32 v11, 0xfff00000, v10, vcc_lo
	v_cndmask_b32_e32 v10, 0, v6, vcc_lo
	v_cmp_eq_f64_e32 vcc_lo, 0, v[8:9]
	s_delay_alu instid0(VALU_DEP_2)
	v_add_f64 v[4:5], v[10:11], -v[4:5]
	s_or_b32 s0, s0, vcc_lo
	s_delay_alu instid0(VALU_DEP_1) | instid1(SALU_CYCLE_1)
	v_cndmask_b32_e64 v5, v5, 0x7ff00000, s0
	s_delay_alu instid0(VALU_DEP_2)
	v_cndmask_b32_e64 v4, v4, 0, s0
.LBB1_45:
	s_or_b32 exec_lo, exec_lo, s2
.LBB1_46:
	s_delay_alu instid0(SALU_CYCLE_1)
	s_or_b32 exec_lo, exec_lo, s1
	v_frexp_mant_f64_e32 v[8:9], v[2:3]
	s_mov_b32 s1, 0x3fe55555
	s_mov_b32 s0, 0x55555555
	v_mov_b32_e32 v10, 0
	s_mov_b32 s2, 0x6b47b09a
	s_mov_b32 s4, 0xbf559e2b
	s_mov_b32 s3, 0x3fc38538
	s_mov_b32 s5, 0x3fc3ab76
	v_frexp_exp_i32_f64_e32 v6, v[2:3]
	s_delay_alu instid0(VALU_DEP_3) | instskip(SKIP_2) | instid1(VALU_DEP_3)
	v_cmp_gt_f64_e32 vcc_lo, s[0:1], v[8:9]
	s_mov_b32 s0, 0x55555780
	v_cndmask_b32_e64 v11, 0x3ff00000, 2.0, vcc_lo
	v_subrev_co_ci_u32_e32 v6, vcc_lo, 0, v6, vcc_lo
	v_cmp_gt_f64_e32 vcc_lo, 0, v[0:1]
	s_delay_alu instid0(VALU_DEP_3) | instskip(NEXT) | instid1(VALU_DEP_1)
	v_mul_f64 v[8:9], v[8:9], v[10:11]
	v_add_f64 v[10:11], v[8:9], 1.0
	v_add_f64 v[16:17], v[8:9], -1.0
	s_delay_alu instid0(VALU_DEP_2) | instskip(SKIP_1) | instid1(VALU_DEP_1)
	v_rcp_f64_e32 v[12:13], v[10:11]
	v_add_f64 v[18:19], v[10:11], -1.0
	v_add_f64 v[8:9], v[8:9], -v[18:19]
	s_waitcnt_depctr 0xfff
	v_fma_f64 v[14:15], -v[10:11], v[12:13], 1.0
	s_delay_alu instid0(VALU_DEP_1) | instskip(NEXT) | instid1(VALU_DEP_1)
	v_fma_f64 v[12:13], v[14:15], v[12:13], v[12:13]
	v_fma_f64 v[14:15], -v[10:11], v[12:13], 1.0
	s_delay_alu instid0(VALU_DEP_1) | instskip(NEXT) | instid1(VALU_DEP_1)
	v_fma_f64 v[12:13], v[14:15], v[12:13], v[12:13]
	v_mul_f64 v[14:15], v[16:17], v[12:13]
	s_delay_alu instid0(VALU_DEP_1) | instskip(NEXT) | instid1(VALU_DEP_1)
	v_mul_f64 v[20:21], v[10:11], v[14:15]
	v_fma_f64 v[10:11], v[14:15], v[10:11], -v[20:21]
	s_delay_alu instid0(VALU_DEP_1) | instskip(NEXT) | instid1(VALU_DEP_1)
	v_fma_f64 v[8:9], v[14:15], v[8:9], v[10:11]
	v_add_f64 v[10:11], v[20:21], v[8:9]
	s_delay_alu instid0(VALU_DEP_1) | instskip(SKIP_1) | instid1(VALU_DEP_2)
	v_add_f64 v[18:19], v[16:17], -v[10:11]
	v_add_f64 v[20:21], v[10:11], -v[20:21]
	;; [unrolled: 1-line block ×3, first 2 shown]
	s_delay_alu instid0(VALU_DEP_2) | instskip(NEXT) | instid1(VALU_DEP_2)
	v_add_f64 v[8:9], v[20:21], -v[8:9]
	v_add_f64 v[10:11], v[16:17], -v[10:11]
	s_delay_alu instid0(VALU_DEP_1) | instskip(NEXT) | instid1(VALU_DEP_1)
	v_add_f64 v[8:9], v[8:9], v[10:11]
	v_add_f64 v[8:9], v[18:19], v[8:9]
	s_delay_alu instid0(VALU_DEP_1) | instskip(NEXT) | instid1(VALU_DEP_1)
	v_mul_f64 v[8:9], v[12:13], v[8:9]
	v_add_f64 v[10:11], v[14:15], v[8:9]
	s_delay_alu instid0(VALU_DEP_1) | instskip(NEXT) | instid1(VALU_DEP_1)
	v_mul_f64 v[12:13], v[10:11], v[10:11]
	v_fma_f64 v[16:17], v[12:13], s[4:5], s[2:3]
	s_mov_b32 s2, 0xd7f4df2e
	s_mov_b32 s3, 0x3fc7474d
	v_mul_f64 v[18:19], v[10:11], v[12:13]
	s_mov_b32 s5, 0x3c7abc9e
	s_mov_b32 s4, 0x3b39803f
	s_delay_alu instid0(VALU_DEP_2)
	v_fma_f64 v[16:17], v[12:13], v[16:17], s[2:3]
	s_mov_b32 s2, 0x16291751
	s_mov_b32 s3, 0x3fcc71c0
	s_delay_alu instid0(VALU_DEP_1) | instid1(SALU_CYCLE_1)
	v_fma_f64 v[16:17], v[12:13], v[16:17], s[2:3]
	s_mov_b32 s2, 0x9b27acf1
	s_mov_b32 s3, 0x3fd24924
	s_delay_alu instid0(VALU_DEP_1) | instid1(SALU_CYCLE_1)
	;; [unrolled: 4-line block ×3, first 2 shown]
	v_fma_f64 v[16:17], v[12:13], v[16:17], s[2:3]
	s_mov_b32 s3, 0x3fe62e42
	s_mov_b32 s2, 0xfefa39ef
	s_delay_alu instid0(VALU_DEP_1) | instskip(SKIP_4) | instid1(VALU_DEP_1)
	v_fma_f64 v[12:13], v[12:13], v[16:17], s[0:1]
	v_ldexp_f64 v[16:17], v[10:11], 1
	v_add_f64 v[10:11], v[10:11], -v[14:15]
	v_cmp_class_f64_e64 s0, v[2:3], 0x204
	v_cmp_lt_u32_e64 s1, 0x432fffff, v7
	s_and_b32 s1, vcc_lo, s1
	v_cmp_ngt_f64_e32 vcc_lo, 0, v[2:3]
	v_mul_f64 v[12:13], v[18:19], v[12:13]
	v_cvt_f64_i32_e32 v[18:19], v6
	v_add_f64 v[8:9], v[8:9], -v[10:11]
	s_delay_alu instid0(VALU_DEP_3) | instskip(NEXT) | instid1(VALU_DEP_3)
	v_add_f64 v[14:15], v[16:17], v[12:13]
	v_mul_f64 v[20:21], v[18:19], s[2:3]
	s_delay_alu instid0(VALU_DEP_3) | instskip(NEXT) | instid1(VALU_DEP_3)
	v_ldexp_f64 v[8:9], v[8:9], 1
	v_add_f64 v[10:11], v[14:15], -v[16:17]
	s_delay_alu instid0(VALU_DEP_3) | instskip(SKIP_1) | instid1(VALU_DEP_3)
	v_fma_f64 v[16:17], v[18:19], s[2:3], -v[20:21]
	v_cmp_class_f64_e64 s3, v[0:1], 0x264
	v_add_f64 v[10:11], v[12:13], -v[10:11]
	s_delay_alu instid0(VALU_DEP_3) | instskip(NEXT) | instid1(VALU_DEP_2)
	v_fma_f64 v[12:13], v[18:19], s[4:5], v[16:17]
	v_add_f64 v[8:9], v[8:9], v[10:11]
	s_delay_alu instid0(VALU_DEP_2) | instskip(NEXT) | instid1(VALU_DEP_2)
	v_add_f64 v[10:11], v[20:21], v[12:13]
	v_add_f64 v[16:17], v[14:15], v[8:9]
	s_delay_alu instid0(VALU_DEP_2) | instskip(NEXT) | instid1(VALU_DEP_2)
	v_add_f64 v[20:21], v[10:11], -v[20:21]
	v_add_f64 v[18:19], v[10:11], v[16:17]
	v_add_f64 v[14:15], v[16:17], -v[14:15]
	s_delay_alu instid0(VALU_DEP_3) | instskip(NEXT) | instid1(VALU_DEP_3)
	v_add_f64 v[12:13], v[12:13], -v[20:21]
	v_add_f64 v[22:23], v[18:19], -v[10:11]
	s_delay_alu instid0(VALU_DEP_3) | instskip(NEXT) | instid1(VALU_DEP_2)
	v_add_f64 v[8:9], v[8:9], -v[14:15]
	v_add_f64 v[24:25], v[18:19], -v[22:23]
	;; [unrolled: 1-line block ×3, first 2 shown]
	s_delay_alu instid0(VALU_DEP_3) | instskip(NEXT) | instid1(VALU_DEP_3)
	v_add_f64 v[16:17], v[12:13], v[8:9]
	v_add_f64 v[10:11], v[10:11], -v[24:25]
	s_delay_alu instid0(VALU_DEP_1) | instskip(NEXT) | instid1(VALU_DEP_3)
	v_add_f64 v[10:11], v[14:15], v[10:11]
	v_add_f64 v[14:15], v[16:17], -v[12:13]
	s_delay_alu instid0(VALU_DEP_2) | instskip(NEXT) | instid1(VALU_DEP_2)
	v_add_f64 v[10:11], v[16:17], v[10:11]
	v_add_f64 v[16:17], v[16:17], -v[14:15]
	v_add_f64 v[8:9], v[8:9], -v[14:15]
	s_delay_alu instid0(VALU_DEP_3) | instskip(NEXT) | instid1(VALU_DEP_3)
	v_add_f64 v[20:21], v[18:19], v[10:11]
	v_add_f64 v[12:13], v[12:13], -v[16:17]
	s_delay_alu instid0(VALU_DEP_2) | instskip(NEXT) | instid1(VALU_DEP_2)
	v_add_f64 v[14:15], v[20:21], -v[18:19]
	v_add_f64 v[8:9], v[8:9], v[12:13]
	s_delay_alu instid0(VALU_DEP_2) | instskip(NEXT) | instid1(VALU_DEP_1)
	v_add_f64 v[10:11], v[10:11], -v[14:15]
	v_add_f64 v[8:9], v[8:9], v[10:11]
	s_delay_alu instid0(VALU_DEP_1) | instskip(NEXT) | instid1(VALU_DEP_1)
	v_add_f64 v[8:9], v[20:21], v[8:9]
	v_cndmask_b32_e64 v7, v9, v3, s0
	s_delay_alu instid0(VALU_DEP_2)
	v_cndmask_b32_e64 v6, v8, v2, s0
	s_or_b32 s0, s3, s1
	s_mov_b32 s3, 0xc0862e42
	v_cndmask_b32_e64 v8, v4, 0, s0
	v_cndmask_b32_e32 v7, 0x7ff80000, v7, vcc_lo
	v_cmp_nge_f64_e32 vcc_lo, 0, v[2:3]
	v_cndmask_b32_e64 v9, v5, 0x7ff00000, s0
	s_mov_b32 s1, exec_lo
	v_cndmask_b32_e32 v4, 0, v6, vcc_lo
	v_cmp_neq_f64_e32 vcc_lo, 0, v[2:3]
	v_cndmask_b32_e32 v5, 0xfff00000, v7, vcc_lo
	v_cmp_u_f64_e32 vcc_lo, v[0:1], v[0:1]
	s_delay_alu instid0(VALU_DEP_2) | instskip(SKIP_3) | instid1(VALU_DEP_1)
	v_fma_f64 v[2:3], v[4:5], v[0:1], -v[2:3]
	v_mov_b32_e32 v4, 0
	v_mov_b32_e32 v5, 0
	v_dual_cndmask_b32 v1, v9, v1 :: v_dual_cndmask_b32 v0, v8, v0
	v_add_f64 v[0:1], v[2:3], -v[0:1]
	s_delay_alu instid0(VALU_DEP_1)
	v_cmpx_ngt_f64_e32 s[2:3], v[0:1]
	s_cbranch_execz .LBB1_48
; %bb.47:
	s_mov_b32 s8, 0x652b82fe
	s_mov_b32 s9, 0x3ff71547
	s_mov_b32 s3, 0xbfe62e42
	v_mul_f64 v[2:3], v[0:1], s[8:9]
	s_mov_b32 s5, 0xbc7abc9e
	v_cmp_nlt_f64_e32 vcc_lo, 0x40900000, v[0:1]
	v_cmp_ngt_f64_e64 s0, 0xc090cc00, v[0:1]
	s_delay_alu instid0(VALU_DEP_3) | instskip(NEXT) | instid1(VALU_DEP_1)
	v_rndne_f64_e32 v[2:3], v[2:3]
	v_fma_f64 v[4:5], v[2:3], s[2:3], v[0:1]
	s_mov_b32 s2, 0xfca7ab0c
	s_mov_b32 s3, 0x3e928af3
	v_cvt_i32_f64_e32 v8, v[2:3]
	s_delay_alu instid0(VALU_DEP_2)
	v_fma_f64 v[4:5], v[2:3], s[4:5], v[4:5]
	s_mov_b32 s4, 0x6a5dcb37
	s_mov_b32 s5, 0x3e5ade15
	s_delay_alu instid0(VALU_DEP_1) | instid1(SALU_CYCLE_1)
	v_fma_f64 v[6:7], v[4:5], s[4:5], s[2:3]
	s_mov_b32 s2, 0x623fde64
	s_mov_b32 s3, 0x3ec71dee
	s_delay_alu instid0(VALU_DEP_1) | instid1(SALU_CYCLE_1)
	;; [unrolled: 4-line block ×9, first 2 shown]
	v_fma_f64 v[6:7], v[4:5], v[6:7], s[2:3]
	s_delay_alu instid0(VALU_DEP_1) | instskip(NEXT) | instid1(VALU_DEP_1)
	v_fma_f64 v[6:7], v[4:5], v[6:7], 1.0
	v_fma_f64 v[2:3], v[4:5], v[6:7], 1.0
	s_delay_alu instid0(VALU_DEP_1) | instskip(NEXT) | instid1(VALU_DEP_1)
	v_ldexp_f64 v[2:3], v[2:3], v8
	v_cndmask_b32_e32 v3, 0x7ff00000, v3, vcc_lo
	s_and_b32 vcc_lo, s0, vcc_lo
	s_delay_alu instid0(VALU_DEP_2) | instskip(NEXT) | instid1(VALU_DEP_2)
	v_cndmask_b32_e32 v4, 0, v2, vcc_lo
	v_cndmask_b32_e64 v5, 0, v3, s0
.LBB1_48:
	s_or_b32 exec_lo, exec_lo, s1
	s_delay_alu instid0(SALU_CYCLE_1) | instskip(NEXT) | instid1(VALU_DEP_1)
	s_or_b32 exec_lo, exec_lo, s6
	v_dual_mov_b32 v0, v4 :: v_dual_mov_b32 v1, v5
	s_setpc_b64 s[30:31]
.Lfunc_end1:
	.size	_ZN12_GLOBAL__N_116_igam_helper_facIdEET_S1_S1_, .Lfunc_end1-_ZN12_GLOBAL__N_116_igam_helper_facIdEET_S1_S1_
                                        ; -- End function
	.section	.AMDGPU.csdata,"",@progbits
; Function info:
; codeLenInByte = 19208
; NumSgprs: 34
; NumVgprs: 87
; ScratchSize: 0
; MemoryBound: 0
	.text
	.p2align	2                               ; -- Begin function _ZN12_GLOBAL__N_120_igamc_helper_seriesIdEET_S1_S1_
	.type	_ZN12_GLOBAL__N_120_igamc_helper_seriesIdEET_S1_S1_,@function
_ZN12_GLOBAL__N_120_igamc_helper_seriesIdEET_S1_S1_: ; @_ZN12_GLOBAL__N_120_igamc_helper_seriesIdEET_S1_S1_
; %bb.0:
	s_waitcnt vmcnt(0) expcnt(0) lgkmcnt(0)
	v_mov_b32_e32 v6, 0
	v_dual_mov_b32 v7, 0x3ff00000 :: v_dual_mov_b32 v4, 0
	v_mov_b32_e32 v5, 0
	s_mov_b32 s1, 1
	s_mov_b32 s0, 0
.LBB2_1:                                ; =>This Inner Loop Header: Depth=1
	v_cvt_f64_u32_e32 v[8:9], s1
	s_add_i32 s3, s1, 1
	s_cmpk_eq_i32 s1, 0x7cf
	s_cselect_b32 s1, -1, 0
	s_delay_alu instid0(VALU_DEP_1) | instskip(SKIP_1) | instid1(VALU_DEP_2)
	v_div_scale_f64 v[10:11], null, v[8:9], v[8:9], -v[2:3]
	v_div_scale_f64 v[16:17], vcc_lo, -v[2:3], v[8:9], -v[2:3]
	v_rcp_f64_e32 v[12:13], v[10:11]
	s_waitcnt_depctr 0xfff
	v_fma_f64 v[14:15], -v[10:11], v[12:13], 1.0
	s_delay_alu instid0(VALU_DEP_1) | instskip(NEXT) | instid1(VALU_DEP_1)
	v_fma_f64 v[12:13], v[12:13], v[14:15], v[12:13]
	v_fma_f64 v[14:15], -v[10:11], v[12:13], 1.0
	s_delay_alu instid0(VALU_DEP_1) | instskip(NEXT) | instid1(VALU_DEP_1)
	v_fma_f64 v[12:13], v[12:13], v[14:15], v[12:13]
	v_mul_f64 v[14:15], v[16:17], v[12:13]
	s_delay_alu instid0(VALU_DEP_1) | instskip(NEXT) | instid1(VALU_DEP_1)
	v_fma_f64 v[10:11], -v[10:11], v[14:15], v[16:17]
	v_div_fmas_f64 v[10:11], v[10:11], v[12:13], v[14:15]
	s_delay_alu instid0(VALU_DEP_1) | instskip(SKIP_1) | instid1(VALU_DEP_2)
	v_div_fixup_f64 v[10:11], v[10:11], v[8:9], -v[2:3]
	v_add_f64 v[8:9], v[8:9], v[0:1]
	v_mul_f64 v[6:7], v[6:7], v[10:11]
	s_delay_alu instid0(VALU_DEP_1) | instskip(SKIP_1) | instid1(VALU_DEP_2)
	v_div_scale_f64 v[10:11], null, v[8:9], v[8:9], v[6:7]
	v_div_scale_f64 v[16:17], vcc_lo, v[6:7], v[8:9], v[6:7]
	v_rcp_f64_e32 v[12:13], v[10:11]
	s_waitcnt_depctr 0xfff
	v_fma_f64 v[14:15], -v[10:11], v[12:13], 1.0
	s_delay_alu instid0(VALU_DEP_1) | instskip(NEXT) | instid1(VALU_DEP_1)
	v_fma_f64 v[12:13], v[12:13], v[14:15], v[12:13]
	v_fma_f64 v[14:15], -v[10:11], v[12:13], 1.0
	s_delay_alu instid0(VALU_DEP_1) | instskip(NEXT) | instid1(VALU_DEP_1)
	v_fma_f64 v[12:13], v[12:13], v[14:15], v[12:13]
	v_mul_f64 v[14:15], v[16:17], v[12:13]
	s_delay_alu instid0(VALU_DEP_1) | instskip(NEXT) | instid1(VALU_DEP_1)
	v_fma_f64 v[10:11], -v[10:11], v[14:15], v[16:17]
	v_div_fmas_f64 v[10:11], v[10:11], v[12:13], v[14:15]
	s_delay_alu instid0(VALU_DEP_1) | instskip(NEXT) | instid1(VALU_DEP_1)
	v_div_fixup_f64 v[8:9], v[10:11], v[8:9], v[6:7]
	v_add_f64 v[4:5], v[4:5], v[8:9]
	s_delay_alu instid0(VALU_DEP_1) | instskip(NEXT) | instid1(VALU_DEP_1)
	v_ldexp_f64 v[10:11], |v[4:5]|, 0xffffffcb
	v_cmp_le_f64_e64 s2, |v[8:9]|, v[10:11]
	s_delay_alu instid0(VALU_DEP_1) | instskip(NEXT) | instid1(SALU_CYCLE_1)
	s_or_b32 s1, s2, s1
	s_and_b32 s1, exec_lo, s1
	s_delay_alu instid0(SALU_CYCLE_1)
	s_or_b32 s0, s1, s0
	s_mov_b32 s1, s3
	s_and_not1_b32 exec_lo, exec_lo, s0
	s_cbranch_execnz .LBB2_1
; %bb.2:
	s_or_b32 exec_lo, exec_lo, s0
	v_add_f64 v[6:7], v[0:1], 1.0
                                        ; implicit-def: $vgpr10_vgpr11
	s_mov_b32 s0, exec_lo
	s_delay_alu instid0(VALU_DEP_1) | instskip(NEXT) | instid1(VALU_DEP_1)
	v_dual_mov_b32 v8, v6 :: v_dual_and_b32 v9, 0x7fffffff, v7
	v_cmpx_lt_u32_e32 0x3f6fffff, v9
	s_xor_b32 s2, exec_lo, s0
	s_cbranch_execz .LBB2_28
; %bb.3:
                                        ; implicit-def: $vgpr10_vgpr11
	s_mov_b32 s0, exec_lo
	v_cmpx_lt_u32_e32 0x3fffffff, v9
	s_xor_b32 s1, exec_lo, s0
	s_cbranch_execz .LBB2_13
; %bb.4:
	s_mov_b32 s0, exec_lo
                                        ; implicit-def: $vgpr10_vgpr11
	v_cmpx_lt_u32_e32 0x401fffff, v9
	s_xor_b32 s0, exec_lo, s0
	s_cbranch_execz .LBB2_10
; %bb.5:
	s_mov_b32 s3, exec_lo
                                        ; implicit-def: $vgpr10_vgpr11
	v_cmpx_lt_u32_e32 0x438fffff, v9
	s_xor_b32 s3, exec_lo, s3
	s_cbranch_execz .LBB2_7
; %bb.6:
	v_frexp_mant_f64_e64 v[10:11], |v[6:7]|
	s_mov_b32 s5, 0x3fe55555
	s_mov_b32 s4, 0x55555555
	v_mov_b32_e32 v12, 0
	s_mov_b32 s6, 0x6b47b09a
	s_mov_b32 s8, 0xbf559e2b
	;; [unrolled: 1-line block ×4, first 2 shown]
	v_frexp_exp_i32_f64_e32 v8, v[6:7]
	s_delay_alu instid0(VALU_DEP_3) | instskip(SKIP_2) | instid1(VALU_DEP_3)
	v_cmp_gt_f64_e32 vcc_lo, s[4:5], v[10:11]
	s_mov_b32 s4, 0x55555780
	v_cndmask_b32_e64 v13, 0x3ff00000, 2.0, vcc_lo
	v_subrev_co_ci_u32_e32 v8, vcc_lo, 0, v8, vcc_lo
	v_cmp_class_f64_e64 vcc_lo, v[6:7], 0x204
	s_delay_alu instid0(VALU_DEP_3) | instskip(NEXT) | instid1(VALU_DEP_1)
	v_mul_f64 v[10:11], v[10:11], v[12:13]
	v_add_f64 v[12:13], v[10:11], 1.0
	v_add_f64 v[18:19], v[10:11], -1.0
	s_delay_alu instid0(VALU_DEP_2) | instskip(SKIP_1) | instid1(VALU_DEP_1)
	v_rcp_f64_e32 v[14:15], v[12:13]
	v_add_f64 v[20:21], v[12:13], -1.0
	v_add_f64 v[10:11], v[10:11], -v[20:21]
	s_waitcnt_depctr 0xfff
	v_fma_f64 v[16:17], -v[12:13], v[14:15], 1.0
	s_delay_alu instid0(VALU_DEP_1) | instskip(NEXT) | instid1(VALU_DEP_1)
	v_fma_f64 v[14:15], v[16:17], v[14:15], v[14:15]
	v_fma_f64 v[16:17], -v[12:13], v[14:15], 1.0
	s_delay_alu instid0(VALU_DEP_1) | instskip(NEXT) | instid1(VALU_DEP_1)
	v_fma_f64 v[14:15], v[16:17], v[14:15], v[14:15]
	v_mul_f64 v[16:17], v[18:19], v[14:15]
	s_delay_alu instid0(VALU_DEP_1) | instskip(NEXT) | instid1(VALU_DEP_1)
	v_mul_f64 v[22:23], v[12:13], v[16:17]
	v_fma_f64 v[12:13], v[16:17], v[12:13], -v[22:23]
	s_delay_alu instid0(VALU_DEP_1) | instskip(NEXT) | instid1(VALU_DEP_1)
	v_fma_f64 v[10:11], v[16:17], v[10:11], v[12:13]
	v_add_f64 v[12:13], v[22:23], v[10:11]
	s_delay_alu instid0(VALU_DEP_1) | instskip(SKIP_1) | instid1(VALU_DEP_2)
	v_add_f64 v[20:21], v[18:19], -v[12:13]
	v_add_f64 v[22:23], v[12:13], -v[22:23]
	;; [unrolled: 1-line block ×3, first 2 shown]
	s_delay_alu instid0(VALU_DEP_2) | instskip(NEXT) | instid1(VALU_DEP_2)
	v_add_f64 v[10:11], v[22:23], -v[10:11]
	v_add_f64 v[12:13], v[18:19], -v[12:13]
	s_delay_alu instid0(VALU_DEP_1) | instskip(NEXT) | instid1(VALU_DEP_1)
	v_add_f64 v[10:11], v[10:11], v[12:13]
	v_add_f64 v[10:11], v[20:21], v[10:11]
	s_delay_alu instid0(VALU_DEP_1) | instskip(NEXT) | instid1(VALU_DEP_1)
	v_mul_f64 v[10:11], v[14:15], v[10:11]
	v_add_f64 v[12:13], v[16:17], v[10:11]
	s_delay_alu instid0(VALU_DEP_1) | instskip(NEXT) | instid1(VALU_DEP_1)
	v_mul_f64 v[14:15], v[12:13], v[12:13]
	v_fma_f64 v[18:19], v[14:15], s[8:9], s[6:7]
	s_mov_b32 s6, 0xd7f4df2e
	s_mov_b32 s7, 0x3fc7474d
	v_mul_f64 v[20:21], v[12:13], v[14:15]
	s_delay_alu instid0(VALU_DEP_2)
	v_fma_f64 v[18:19], v[14:15], v[18:19], s[6:7]
	s_mov_b32 s6, 0x16291751
	s_mov_b32 s7, 0x3fcc71c0
	s_delay_alu instid0(VALU_DEP_1) | instid1(SALU_CYCLE_1)
	v_fma_f64 v[18:19], v[14:15], v[18:19], s[6:7]
	s_mov_b32 s6, 0x9b27acf1
	s_mov_b32 s7, 0x3fd24924
	s_delay_alu instid0(VALU_DEP_1) | instid1(SALU_CYCLE_1)
	;; [unrolled: 4-line block ×3, first 2 shown]
	v_fma_f64 v[18:19], v[14:15], v[18:19], s[6:7]
	s_delay_alu instid0(VALU_DEP_1) | instskip(SKIP_4) | instid1(VALU_DEP_3)
	v_fma_f64 v[14:15], v[14:15], v[18:19], s[4:5]
	v_ldexp_f64 v[18:19], v[12:13], 1
	v_add_f64 v[12:13], v[12:13], -v[16:17]
	s_mov_b32 s4, 0xfefa39ef
	s_mov_b32 s5, 0x3fe62e42
	v_mul_f64 v[14:15], v[20:21], v[14:15]
	v_cvt_f64_i32_e32 v[20:21], v8
	s_delay_alu instid0(VALU_DEP_3) | instskip(NEXT) | instid1(VALU_DEP_3)
	v_add_f64 v[10:11], v[10:11], -v[12:13]
	v_add_f64 v[16:17], v[18:19], v[14:15]
	s_delay_alu instid0(VALU_DEP_3) | instskip(NEXT) | instid1(VALU_DEP_3)
	v_mul_f64 v[22:23], v[20:21], s[4:5]
	v_ldexp_f64 v[10:11], v[10:11], 1
	s_delay_alu instid0(VALU_DEP_3) | instskip(NEXT) | instid1(VALU_DEP_3)
	v_add_f64 v[12:13], v[16:17], -v[18:19]
	v_fma_f64 v[18:19], v[20:21], s[4:5], -v[22:23]
	s_mov_b32 s4, 0x3b39803f
	s_mov_b32 s5, 0x3c7abc9e
	s_delay_alu instid0(VALU_DEP_2) | instskip(NEXT) | instid1(VALU_DEP_2)
	v_add_f64 v[12:13], v[14:15], -v[12:13]
	v_fma_f64 v[14:15], v[20:21], s[4:5], v[18:19]
	s_delay_alu instid0(VALU_DEP_2) | instskip(NEXT) | instid1(VALU_DEP_2)
	v_add_f64 v[10:11], v[10:11], v[12:13]
	v_add_f64 v[12:13], v[22:23], v[14:15]
	s_delay_alu instid0(VALU_DEP_2) | instskip(NEXT) | instid1(VALU_DEP_2)
	v_add_f64 v[18:19], v[16:17], v[10:11]
	v_add_f64 v[22:23], v[12:13], -v[22:23]
	s_delay_alu instid0(VALU_DEP_2) | instskip(SKIP_1) | instid1(VALU_DEP_3)
	v_add_f64 v[20:21], v[12:13], v[18:19]
	v_add_f64 v[16:17], v[18:19], -v[16:17]
	v_add_f64 v[14:15], v[14:15], -v[22:23]
	s_delay_alu instid0(VALU_DEP_3) | instskip(NEXT) | instid1(VALU_DEP_3)
	v_add_f64 v[24:25], v[20:21], -v[12:13]
	v_add_f64 v[10:11], v[10:11], -v[16:17]
	s_delay_alu instid0(VALU_DEP_2) | instskip(SKIP_1) | instid1(VALU_DEP_3)
	v_add_f64 v[26:27], v[20:21], -v[24:25]
	v_add_f64 v[16:17], v[18:19], -v[24:25]
	v_add_f64 v[18:19], v[14:15], v[10:11]
	s_delay_alu instid0(VALU_DEP_3) | instskip(NEXT) | instid1(VALU_DEP_1)
	v_add_f64 v[12:13], v[12:13], -v[26:27]
	v_add_f64 v[12:13], v[16:17], v[12:13]
	s_delay_alu instid0(VALU_DEP_3) | instskip(NEXT) | instid1(VALU_DEP_2)
	v_add_f64 v[16:17], v[18:19], -v[14:15]
	v_add_f64 v[12:13], v[18:19], v[12:13]
	s_delay_alu instid0(VALU_DEP_2) | instskip(SKIP_1) | instid1(VALU_DEP_3)
	v_add_f64 v[18:19], v[18:19], -v[16:17]
	v_add_f64 v[10:11], v[10:11], -v[16:17]
	v_add_f64 v[22:23], v[20:21], v[12:13]
	s_delay_alu instid0(VALU_DEP_3) | instskip(NEXT) | instid1(VALU_DEP_2)
	v_add_f64 v[14:15], v[14:15], -v[18:19]
	v_add_f64 v[16:17], v[22:23], -v[20:21]
	s_delay_alu instid0(VALU_DEP_2) | instskip(NEXT) | instid1(VALU_DEP_2)
	v_add_f64 v[10:11], v[10:11], v[14:15]
	v_add_f64 v[12:13], v[12:13], -v[16:17]
	s_delay_alu instid0(VALU_DEP_1) | instskip(NEXT) | instid1(VALU_DEP_1)
	v_add_f64 v[10:11], v[10:11], v[12:13]
	v_add_f64 v[10:11], v[22:23], v[10:11]
	s_delay_alu instid0(VALU_DEP_1) | instskip(NEXT) | instid1(VALU_DEP_2)
	v_cndmask_b32_e32 v8, v10, v6, vcc_lo
	v_cndmask_b32_e32 v10, v11, v9, vcc_lo
	v_cmp_neq_f64_e32 vcc_lo, 0, v[6:7]
	s_delay_alu instid0(VALU_DEP_2) | instskip(NEXT) | instid1(VALU_DEP_4)
	v_cndmask_b32_e32 v11, 0xfff00000, v10, vcc_lo
	v_cndmask_b32_e32 v10, 0, v8, vcc_lo
	s_delay_alu instid0(VALU_DEP_1)
	v_fma_f64 v[10:11], |v[6:7]|, v[10:11], -|v[6:7]|
.LBB2_7:
	s_and_not1_saveexec_b32 s3, s3
	s_cbranch_execz .LBB2_9
; %bb.8:
	v_frexp_mant_f64_e64 v[10:11], |v[6:7]|
	s_mov_b32 s5, 0x3fe55555
	s_mov_b32 s4, 0x55555555
	v_mov_b32_e32 v12, 0
	s_mov_b32 s6, 0x6b47b09a
	s_mov_b32 s8, 0xbf559e2b
	;; [unrolled: 1-line block ×4, first 2 shown]
	v_frexp_exp_i32_f64_e32 v8, v[6:7]
	s_delay_alu instid0(VALU_DEP_3) | instskip(SKIP_2) | instid1(VALU_DEP_3)
	v_cmp_gt_f64_e32 vcc_lo, s[4:5], v[10:11]
	s_mov_b32 s4, 0x55555780
	v_cndmask_b32_e64 v13, 0x3ff00000, 2.0, vcc_lo
	v_subrev_co_ci_u32_e32 v8, vcc_lo, 0, v8, vcc_lo
	s_delay_alu instid0(VALU_DEP_2) | instskip(NEXT) | instid1(VALU_DEP_1)
	v_mul_f64 v[10:11], v[10:11], v[12:13]
	v_add_f64 v[12:13], v[10:11], 1.0
	v_add_f64 v[18:19], v[10:11], -1.0
	s_delay_alu instid0(VALU_DEP_2) | instskip(SKIP_1) | instid1(VALU_DEP_1)
	v_rcp_f64_e32 v[14:15], v[12:13]
	v_add_f64 v[20:21], v[12:13], -1.0
	v_add_f64 v[10:11], v[10:11], -v[20:21]
	s_waitcnt_depctr 0xfff
	v_fma_f64 v[16:17], -v[12:13], v[14:15], 1.0
	s_delay_alu instid0(VALU_DEP_1) | instskip(NEXT) | instid1(VALU_DEP_1)
	v_fma_f64 v[14:15], v[16:17], v[14:15], v[14:15]
	v_fma_f64 v[16:17], -v[12:13], v[14:15], 1.0
	s_delay_alu instid0(VALU_DEP_1) | instskip(NEXT) | instid1(VALU_DEP_1)
	v_fma_f64 v[14:15], v[16:17], v[14:15], v[14:15]
	v_mul_f64 v[16:17], v[18:19], v[14:15]
	s_delay_alu instid0(VALU_DEP_1) | instskip(NEXT) | instid1(VALU_DEP_1)
	v_mul_f64 v[22:23], v[12:13], v[16:17]
	v_fma_f64 v[12:13], v[16:17], v[12:13], -v[22:23]
	s_delay_alu instid0(VALU_DEP_1) | instskip(NEXT) | instid1(VALU_DEP_1)
	v_fma_f64 v[10:11], v[16:17], v[10:11], v[12:13]
	v_add_f64 v[12:13], v[22:23], v[10:11]
	s_delay_alu instid0(VALU_DEP_1) | instskip(SKIP_1) | instid1(VALU_DEP_2)
	v_add_f64 v[20:21], v[18:19], -v[12:13]
	v_add_f64 v[22:23], v[12:13], -v[22:23]
	;; [unrolled: 1-line block ×3, first 2 shown]
	s_delay_alu instid0(VALU_DEP_2) | instskip(NEXT) | instid1(VALU_DEP_2)
	v_add_f64 v[10:11], v[22:23], -v[10:11]
	v_add_f64 v[12:13], v[18:19], -v[12:13]
	s_delay_alu instid0(VALU_DEP_1) | instskip(NEXT) | instid1(VALU_DEP_1)
	v_add_f64 v[10:11], v[10:11], v[12:13]
	v_add_f64 v[10:11], v[20:21], v[10:11]
	s_delay_alu instid0(VALU_DEP_1) | instskip(NEXT) | instid1(VALU_DEP_1)
	v_mul_f64 v[10:11], v[14:15], v[10:11]
	v_add_f64 v[12:13], v[16:17], v[10:11]
	s_delay_alu instid0(VALU_DEP_1) | instskip(NEXT) | instid1(VALU_DEP_1)
	v_mul_f64 v[14:15], v[12:13], v[12:13]
	v_fma_f64 v[18:19], v[14:15], s[8:9], s[6:7]
	s_mov_b32 s6, 0xd7f4df2e
	s_mov_b32 s7, 0x3fc7474d
	v_mul_f64 v[20:21], v[12:13], v[14:15]
	s_delay_alu instid0(VALU_DEP_2)
	v_fma_f64 v[18:19], v[14:15], v[18:19], s[6:7]
	s_mov_b32 s6, 0x16291751
	s_mov_b32 s7, 0x3fcc71c0
	s_delay_alu instid0(VALU_DEP_1) | instid1(SALU_CYCLE_1)
	v_fma_f64 v[18:19], v[14:15], v[18:19], s[6:7]
	s_mov_b32 s6, 0x9b27acf1
	s_mov_b32 s7, 0x3fd24924
	s_delay_alu instid0(VALU_DEP_1) | instid1(SALU_CYCLE_1)
	;; [unrolled: 4-line block ×3, first 2 shown]
	v_fma_f64 v[18:19], v[14:15], v[18:19], s[6:7]
	s_mov_b32 s6, 0xb9e43e4
	s_mov_b32 s7, 0xbf5ab89d
	s_delay_alu instid0(VALU_DEP_1) | instskip(SKIP_4) | instid1(VALU_DEP_3)
	v_fma_f64 v[14:15], v[14:15], v[18:19], s[4:5]
	v_ldexp_f64 v[18:19], v[12:13], 1
	v_add_f64 v[12:13], v[12:13], -v[16:17]
	s_mov_b32 s4, 0xfefa39ef
	s_mov_b32 s5, 0x3fe62e42
	v_mul_f64 v[14:15], v[20:21], v[14:15]
	v_cvt_f64_i32_e32 v[20:21], v8
	v_mov_b32_e32 v8, v6
	s_delay_alu instid0(VALU_DEP_4) | instskip(NEXT) | instid1(VALU_DEP_2)
	v_add_f64 v[10:11], v[10:11], -v[12:13]
	v_div_scale_f64 v[22:23], null, v[8:9], v[8:9], 1.0
	v_div_scale_f64 v[30:31], vcc_lo, 1.0, v[8:9], 1.0
	v_add_f64 v[16:17], v[18:19], v[14:15]
	v_mul_f64 v[24:25], v[20:21], s[4:5]
	v_ldexp_f64 v[10:11], v[10:11], 1
	s_delay_alu instid0(VALU_DEP_3) | instskip(SKIP_1) | instid1(VALU_DEP_3)
	v_add_f64 v[12:13], v[16:17], -v[18:19]
	v_rcp_f64_e32 v[18:19], v[22:23]
	v_fma_f64 v[26:27], v[20:21], s[4:5], -v[24:25]
	s_mov_b32 s4, 0x3b39803f
	s_mov_b32 s5, 0x3c7abc9e
	s_delay_alu instid0(VALU_DEP_2) | instskip(NEXT) | instid1(VALU_DEP_2)
	v_add_f64 v[12:13], v[14:15], -v[12:13]
	v_fma_f64 v[20:21], v[20:21], s[4:5], v[26:27]
	s_waitcnt_depctr 0xfff
	v_fma_f64 v[14:15], -v[22:23], v[18:19], 1.0
	s_mov_b32 s4, 0x4cdad5d1
	s_mov_b32 s5, 0x3f4b67ba
	v_add_f64 v[10:11], v[10:11], v[12:13]
	s_delay_alu instid0(VALU_DEP_2) | instskip(SKIP_1) | instid1(VALU_DEP_3)
	v_fma_f64 v[12:13], v[18:19], v[14:15], v[18:19]
	v_add_f64 v[14:15], v[24:25], v[20:21]
	v_add_f64 v[18:19], v[16:17], v[10:11]
	s_delay_alu instid0(VALU_DEP_3) | instskip(NEXT) | instid1(VALU_DEP_3)
	v_fma_f64 v[26:27], -v[22:23], v[12:13], 1.0
	v_add_f64 v[24:25], v[14:15], -v[24:25]
	s_delay_alu instid0(VALU_DEP_3) | instskip(SKIP_1) | instid1(VALU_DEP_4)
	v_add_f64 v[28:29], v[14:15], v[18:19]
	v_add_f64 v[16:17], v[18:19], -v[16:17]
	v_fma_f64 v[12:13], v[12:13], v[26:27], v[12:13]
	s_delay_alu instid0(VALU_DEP_4) | instskip(NEXT) | instid1(VALU_DEP_4)
	v_add_f64 v[20:21], v[20:21], -v[24:25]
	v_add_f64 v[26:27], v[28:29], -v[14:15]
	s_delay_alu instid0(VALU_DEP_4) | instskip(NEXT) | instid1(VALU_DEP_4)
	v_add_f64 v[10:11], v[10:11], -v[16:17]
	v_mul_f64 v[32:33], v[30:31], v[12:13]
	s_delay_alu instid0(VALU_DEP_3) | instskip(SKIP_1) | instid1(VALU_DEP_4)
	v_add_f64 v[34:35], v[28:29], -v[26:27]
	v_add_f64 v[16:17], v[18:19], -v[26:27]
	v_add_f64 v[18:19], v[20:21], v[10:11]
	s_delay_alu instid0(VALU_DEP_4) | instskip(NEXT) | instid1(VALU_DEP_4)
	v_fma_f64 v[22:23], -v[22:23], v[32:33], v[30:31]
	v_add_f64 v[14:15], v[14:15], -v[34:35]
	s_delay_alu instid0(VALU_DEP_2) | instskip(SKIP_1) | instid1(VALU_DEP_3)
	v_div_fmas_f64 v[12:13], v[22:23], v[12:13], v[32:33]
	v_cmp_class_f64_e64 vcc_lo, v[6:7], 0x204
	v_add_f64 v[14:15], v[16:17], v[14:15]
	v_add_f64 v[16:17], v[18:19], -v[20:21]
	s_delay_alu instid0(VALU_DEP_4) | instskip(NEXT) | instid1(VALU_DEP_3)
	v_div_fixup_f64 v[12:13], v[12:13], |v[6:7]|, 1.0
	v_add_f64 v[14:15], v[18:19], v[14:15]
	s_delay_alu instid0(VALU_DEP_3) | instskip(SKIP_1) | instid1(VALU_DEP_4)
	v_add_f64 v[18:19], v[18:19], -v[16:17]
	v_add_f64 v[10:11], v[10:11], -v[16:17]
	v_mul_f64 v[22:23], v[12:13], v[12:13]
	s_delay_alu instid0(VALU_DEP_4) | instskip(NEXT) | instid1(VALU_DEP_4)
	v_add_f64 v[24:25], v[28:29], v[14:15]
	v_add_f64 v[16:17], v[20:21], -v[18:19]
	s_delay_alu instid0(VALU_DEP_3) | instskip(SKIP_2) | instid1(VALU_DEP_3)
	v_fma_f64 v[26:27], v[22:23], s[6:7], s[4:5]
	s_mov_b32 s4, 0x8c0fe741
	s_mov_b32 s5, 0xbf4380cb
	v_add_f64 v[18:19], v[24:25], -v[28:29]
	s_delay_alu instid0(VALU_DEP_3) | instskip(NEXT) | instid1(VALU_DEP_3)
	v_add_f64 v[10:11], v[10:11], v[16:17]
	v_fma_f64 v[20:21], v[22:23], v[26:27], s[4:5]
	s_mov_b32 s4, 0x98cf38b6
	s_mov_b32 s5, 0x3f4a019f
	s_delay_alu instid0(VALU_DEP_3) | instskip(NEXT) | instid1(VALU_DEP_2)
	v_add_f64 v[14:15], v[14:15], -v[18:19]
	v_fma_f64 v[16:17], v[22:23], v[20:21], s[4:5]
	s_mov_b32 s4, 0x16b02e5c
	s_mov_b32 s5, 0xbf66c16c
	s_delay_alu instid0(VALU_DEP_2) | instskip(NEXT) | instid1(VALU_DEP_2)
	v_add_f64 v[10:11], v[10:11], v[14:15]
	v_fma_f64 v[14:15], v[22:23], v[16:17], s[4:5]
	s_mov_b32 s4, 0x5555553b
	s_mov_b32 s5, 0x3fb55555
	v_add_f64 v[16:17], |v[6:7]|, -0.5
	s_delay_alu instid0(VALU_DEP_3) | instskip(NEXT) | instid1(VALU_DEP_3)
	v_add_f64 v[10:11], v[24:25], v[10:11]
	v_fma_f64 v[14:15], v[22:23], v[14:15], s[4:5]
	s_mov_b32 s4, 0x90c97d69
	s_mov_b32 s5, 0x3fdacfe3
	s_delay_alu instid0(VALU_DEP_2) | instskip(SKIP_1) | instid1(VALU_DEP_3)
	v_dual_cndmask_b32 v11, v11, v9 :: v_dual_cndmask_b32 v10, v10, v8
	v_cmp_neq_f64_e32 vcc_lo, 0, v[6:7]
	v_fma_f64 v[12:13], v[12:13], v[14:15], s[4:5]
	s_delay_alu instid0(VALU_DEP_3) | instskip(NEXT) | instid1(VALU_DEP_1)
	v_add_f64 v[10:11], v[10:11], -1.0
	v_cndmask_b32_e32 v11, 0xfff00000, v11, vcc_lo
	s_delay_alu instid0(VALU_DEP_2) | instskip(NEXT) | instid1(VALU_DEP_1)
	v_cndmask_b32_e32 v10, 0, v10, vcc_lo
	v_fma_f64 v[10:11], v[16:17], v[10:11], v[12:13]
.LBB2_9:
	s_or_b32 exec_lo, exec_lo, s3
.LBB2_10:
	s_and_not1_saveexec_b32 s3, s0
	s_cbranch_execz .LBB2_12
; %bb.11:
	v_cvt_i32_f64_e32 v8, v[8:9]
	s_mov_b32 s5, 0x3fe55555
	s_mov_b32 s4, 0x55555555
	;; [unrolled: 1-line block ×6, first 2 shown]
	s_delay_alu instid0(VALU_DEP_1) | instskip(SKIP_2) | instid1(VALU_DEP_3)
	v_cvt_f64_i32_e32 v[10:11], v8
	v_cmp_lt_i32_e32 vcc_lo, 2, v8
	v_cmp_lt_i32_e64 s0, 3, v8
	v_add_f64 v[10:11], |v[6:7]|, -v[10:11]
	s_delay_alu instid0(VALU_DEP_1) | instskip(SKIP_2) | instid1(VALU_DEP_3)
	v_add_f64 v[12:13], v[10:11], 2.0
	v_add_f64 v[14:15], 0x40080000, v[10:11]
	v_add_f64 v[16:17], v[10:11], 4.0
	v_cndmask_b32_e32 v13, 0x3ff00000, v13, vcc_lo
	s_delay_alu instid0(VALU_DEP_4) | instskip(NEXT) | instid1(VALU_DEP_4)
	v_cndmask_b32_e32 v12, 0, v12, vcc_lo
	v_cndmask_b32_e64 v15, 0x3ff00000, v15, s0
	v_cndmask_b32_e64 v14, 0, v14, s0
	v_cmp_lt_i32_e32 vcc_lo, 4, v8
	s_delay_alu instid0(VALU_DEP_2) | instskip(SKIP_4) | instid1(VALU_DEP_2)
	v_mul_f64 v[12:13], v[12:13], v[14:15]
	v_add_f64 v[14:15], 0x40140000, v[10:11]
	v_cndmask_b32_e32 v17, 0x3ff00000, v17, vcc_lo
	v_cndmask_b32_e32 v16, 0, v16, vcc_lo
	v_cmp_lt_i32_e32 vcc_lo, 5, v8
	v_mul_f64 v[12:13], v[16:17], v[12:13]
	v_add_f64 v[16:17], 0x40180000, v[10:11]
	v_cndmask_b32_e32 v15, 0x3ff00000, v15, vcc_lo
	v_cndmask_b32_e32 v14, 0, v14, vcc_lo
	v_cmp_lt_i32_e32 vcc_lo, 6, v8
	s_delay_alu instid0(VALU_DEP_2) | instskip(SKIP_3) | instid1(VALU_DEP_2)
	v_mul_f64 v[12:13], v[14:15], v[12:13]
	v_cndmask_b32_e32 v15, 0x3ff00000, v17, vcc_lo
	v_cndmask_b32_e32 v14, 0, v16, vcc_lo
	v_mov_b32_e32 v16, 0
	v_mul_f64 v[12:13], v[14:15], v[12:13]
	s_delay_alu instid0(VALU_DEP_1) | instskip(SKIP_1) | instid1(VALU_DEP_2)
	v_frexp_mant_f64_e32 v[14:15], v[12:13]
	v_frexp_exp_i32_f64_e32 v8, v[12:13]
	v_cmp_gt_f64_e32 vcc_lo, s[4:5], v[14:15]
	s_mov_b32 s4, 0x55555780
	v_cndmask_b32_e64 v17, 0x3ff00000, 2.0, vcc_lo
	s_delay_alu instid0(VALU_DEP_3) | instskip(NEXT) | instid1(VALU_DEP_2)
	v_subrev_co_ci_u32_e32 v8, vcc_lo, 0, v8, vcc_lo
	v_mul_f64 v[14:15], v[14:15], v[16:17]
	s_delay_alu instid0(VALU_DEP_2) | instskip(NEXT) | instid1(VALU_DEP_2)
	v_cvt_f64_i32_e32 v[28:29], v8
	v_add_f64 v[16:17], v[14:15], 1.0
	v_add_f64 v[22:23], v[14:15], -1.0
	s_delay_alu instid0(VALU_DEP_2) | instskip(SKIP_1) | instid1(VALU_DEP_1)
	v_rcp_f64_e32 v[18:19], v[16:17]
	v_add_f64 v[24:25], v[16:17], -1.0
	v_add_f64 v[14:15], v[14:15], -v[24:25]
	s_waitcnt_depctr 0xfff
	v_fma_f64 v[20:21], -v[16:17], v[18:19], 1.0
	s_delay_alu instid0(VALU_DEP_1) | instskip(NEXT) | instid1(VALU_DEP_1)
	v_fma_f64 v[18:19], v[20:21], v[18:19], v[18:19]
	v_fma_f64 v[20:21], -v[16:17], v[18:19], 1.0
	s_delay_alu instid0(VALU_DEP_1) | instskip(NEXT) | instid1(VALU_DEP_1)
	v_fma_f64 v[18:19], v[20:21], v[18:19], v[18:19]
	v_mul_f64 v[20:21], v[22:23], v[18:19]
	s_delay_alu instid0(VALU_DEP_1) | instskip(NEXT) | instid1(VALU_DEP_1)
	v_mul_f64 v[26:27], v[16:17], v[20:21]
	v_fma_f64 v[16:17], v[20:21], v[16:17], -v[26:27]
	s_delay_alu instid0(VALU_DEP_1) | instskip(NEXT) | instid1(VALU_DEP_1)
	v_fma_f64 v[14:15], v[20:21], v[14:15], v[16:17]
	v_add_f64 v[16:17], v[26:27], v[14:15]
	s_delay_alu instid0(VALU_DEP_1) | instskip(SKIP_1) | instid1(VALU_DEP_2)
	v_add_f64 v[24:25], v[22:23], -v[16:17]
	v_add_f64 v[26:27], v[16:17], -v[26:27]
	;; [unrolled: 1-line block ×3, first 2 shown]
	s_delay_alu instid0(VALU_DEP_2) | instskip(NEXT) | instid1(VALU_DEP_2)
	v_add_f64 v[14:15], v[26:27], -v[14:15]
	v_add_f64 v[16:17], v[22:23], -v[16:17]
	s_delay_alu instid0(VALU_DEP_1) | instskip(NEXT) | instid1(VALU_DEP_1)
	v_add_f64 v[14:15], v[14:15], v[16:17]
	v_add_f64 v[14:15], v[24:25], v[14:15]
	s_delay_alu instid0(VALU_DEP_1) | instskip(NEXT) | instid1(VALU_DEP_1)
	v_mul_f64 v[14:15], v[18:19], v[14:15]
	v_add_f64 v[16:17], v[20:21], v[14:15]
	s_delay_alu instid0(VALU_DEP_1) | instskip(SKIP_1) | instid1(VALU_DEP_2)
	v_mul_f64 v[18:19], v[16:17], v[16:17]
	v_ldexp_f64 v[26:27], v[16:17], 1
	v_fma_f64 v[22:23], v[18:19], s[8:9], s[6:7]
	s_mov_b32 s6, 0xd7f4df2e
	s_mov_b32 s7, 0x3fc7474d
	v_mul_f64 v[24:25], v[16:17], v[18:19]
	s_mov_b32 s8, 0x7e939961
	s_mov_b32 s9, 0x3f9b481c
	v_add_f64 v[16:17], v[16:17], -v[20:21]
	s_delay_alu instid0(VALU_DEP_3) | instskip(SKIP_2) | instid1(VALU_DEP_2)
	v_fma_f64 v[22:23], v[18:19], v[22:23], s[6:7]
	s_mov_b32 s6, 0x16291751
	s_mov_b32 s7, 0x3fcc71c0
	v_add_f64 v[14:15], v[14:15], -v[16:17]
	s_delay_alu instid0(VALU_DEP_2) | instskip(SKIP_2) | instid1(VALU_DEP_2)
	v_fma_f64 v[22:23], v[18:19], v[22:23], s[6:7]
	s_mov_b32 s6, 0x9b27acf1
	s_mov_b32 s7, 0x3fd24924
	v_ldexp_f64 v[14:15], v[14:15], 1
	s_delay_alu instid0(VALU_DEP_2)
	v_fma_f64 v[22:23], v[18:19], v[22:23], s[6:7]
	s_mov_b32 s6, 0x998ef7b6
	s_mov_b32 s7, 0x3fd99999
	s_delay_alu instid0(VALU_DEP_1) | instid1(SALU_CYCLE_1)
	v_fma_f64 v[22:23], v[18:19], v[22:23], s[6:7]
	s_mov_b32 s6, 0xdd17e945
	s_mov_b32 s7, 0x3f00bfec
	s_delay_alu instid0(VALU_DEP_1) | instskip(SKIP_2) | instid1(SALU_CYCLE_1)
	v_fma_f64 v[18:19], v[18:19], v[22:23], s[4:5]
	s_mov_b32 s4, 0x7368f239
	s_mov_b32 s5, 0x3f5e26b6
	v_fma_f64 v[22:23], v[10:11], s[6:7], s[4:5]
	s_mov_b32 s4, 0xca41a95b
	s_mov_b32 s6, 0xa5b38140
	;; [unrolled: 1-line block ×4, first 2 shown]
	s_delay_alu instid0(VALU_DEP_2) | instskip(SKIP_3) | instid1(VALU_DEP_3)
	v_mul_f64 v[18:19], v[24:25], v[18:19]
	v_fma_f64 v[24:25], v[10:11], s[6:7], s[4:5]
	s_mov_b32 s4, 0x742ed475
	s_mov_b32 s5, 0x3f9317ea
	v_fma_f64 v[22:23], v[10:11], v[22:23], s[8:9]
	s_mov_b32 s6, 0xbee5f2f7
	s_mov_b32 s7, 0x3fc2bb9c
	;; [unrolled: 1-line block ×4, first 2 shown]
	s_delay_alu instid0(VALU_DEP_3) | instskip(NEXT) | instid1(VALU_DEP_3)
	v_add_f64 v[20:21], v[26:27], v[18:19]
	v_fma_f64 v[24:25], v[10:11], v[24:25], s[4:5]
	s_mov_b32 s4, 0xfefa39ef
	s_mov_b32 s5, 0x3fe62e42
	s_delay_alu instid0(VALU_DEP_3) | instskip(SKIP_3) | instid1(VALU_DEP_4)
	v_fma_f64 v[22:23], v[10:11], v[22:23], s[6:7]
	v_mul_f64 v[30:31], v[28:29], s[4:5]
	s_mov_b32 s6, 0xccfbdf27
	s_mov_b32 s7, 0x3fc601ed
	v_add_f64 v[16:17], v[20:21], -v[26:27]
	s_delay_alu instid0(VALU_DEP_4) | instskip(SKIP_2) | instid1(VALU_DEP_4)
	v_fma_f64 v[24:25], v[10:11], v[24:25], s[6:7]
	s_mov_b32 s6, 0x36e20878
	s_mov_b32 s7, 0x3fcb848b
	v_fma_f64 v[22:23], v[10:11], v[22:23], s[8:9]
	s_delay_alu instid0(VALU_DEP_4) | instskip(SKIP_2) | instid1(VALU_DEP_4)
	v_fma_f64 v[26:27], v[28:29], s[4:5], -v[30:31]
	s_mov_b32 s4, 0x93d3dcdc
	s_mov_b32 s5, 0x3fe71a18
	v_add_f64 v[16:17], v[18:19], -v[16:17]
	s_delay_alu instid0(VALU_DEP_4) | instskip(SKIP_2) | instid1(VALU_DEP_4)
	v_fma_f64 v[18:19], v[10:11], v[24:25], s[4:5]
	s_mov_b32 s4, 0x3b39803f
	s_mov_b32 s5, 0x3c7abc9e
	v_fma_f64 v[22:23], v[10:11], v[22:23], s[6:7]
	s_delay_alu instid0(VALU_DEP_4) | instskip(SKIP_4) | instid1(VALU_DEP_4)
	v_fma_f64 v[24:25], v[28:29], s[4:5], v[26:27]
	s_mov_b32 s4, 0x62c4ab74
	s_mov_b32 s6, 0xe37db0c8
	;; [unrolled: 1-line block ×4, first 2 shown]
	v_add_f64 v[14:15], v[14:15], v[16:17]
	s_delay_alu instid0(VALU_DEP_4) | instskip(NEXT) | instid1(VALU_DEP_4)
	v_fma_f64 v[16:17], v[10:11], v[18:19], s[4:5]
	v_fma_f64 v[18:19], v[10:11], v[22:23], s[6:7]
	s_delay_alu instid0(VALU_DEP_4) | instskip(NEXT) | instid1(VALU_DEP_4)
	v_add_f64 v[22:23], v[30:31], v[24:25]
	v_add_f64 v[26:27], v[20:21], v[14:15]
	s_delay_alu instid0(VALU_DEP_4) | instskip(NEXT) | instid1(VALU_DEP_4)
	v_fma_f64 v[16:17], v[10:11], v[16:17], 1.0
	v_mul_f64 v[18:19], v[10:11], v[18:19]
	s_delay_alu instid0(VALU_DEP_4) | instskip(NEXT) | instid1(VALU_DEP_4)
	v_add_f64 v[30:31], v[22:23], -v[30:31]
	v_add_f64 v[28:29], v[22:23], v[26:27]
	v_add_f64 v[20:21], v[26:27], -v[20:21]
	s_delay_alu instid0(VALU_DEP_4) | instskip(NEXT) | instid1(VALU_DEP_4)
	v_div_scale_f64 v[32:33], null, v[16:17], v[16:17], v[18:19]
	v_add_f64 v[24:25], v[24:25], -v[30:31]
	s_delay_alu instid0(VALU_DEP_4) | instskip(NEXT) | instid1(VALU_DEP_4)
	v_add_f64 v[34:35], v[28:29], -v[22:23]
	v_add_f64 v[14:15], v[14:15], -v[20:21]
	s_delay_alu instid0(VALU_DEP_4) | instskip(NEXT) | instid1(VALU_DEP_2)
	v_rcp_f64_e32 v[36:37], v[32:33]
	v_add_f64 v[38:39], v[28:29], -v[34:35]
	v_add_f64 v[20:21], v[26:27], -v[34:35]
	s_delay_alu instid0(VALU_DEP_3) | instskip(SKIP_4) | instid1(VALU_DEP_3)
	v_add_f64 v[30:31], v[24:25], v[14:15]
	s_waitcnt_depctr 0xfff
	v_fma_f64 v[48:49], -v[32:33], v[36:37], 1.0
	v_add_f64 v[22:23], v[22:23], -v[38:39]
	v_add_f64 v[34:35], v[30:31], -v[24:25]
	v_fma_f64 v[26:27], v[36:37], v[48:49], v[36:37]
	v_div_scale_f64 v[36:37], vcc_lo, v[18:19], v[16:17], v[18:19]
	s_delay_alu instid0(VALU_DEP_4) | instskip(NEXT) | instid1(VALU_DEP_4)
	v_add_f64 v[20:21], v[20:21], v[22:23]
	v_add_f64 v[14:15], v[14:15], -v[34:35]
	s_delay_alu instid0(VALU_DEP_4) | instskip(NEXT) | instid1(VALU_DEP_3)
	v_fma_f64 v[22:23], -v[32:33], v[26:27], 1.0
	v_add_f64 v[20:21], v[30:31], v[20:21]
	s_delay_alu instid0(VALU_DEP_2) | instskip(SKIP_1) | instid1(VALU_DEP_3)
	v_fma_f64 v[22:23], v[26:27], v[22:23], v[26:27]
	v_add_f64 v[26:27], v[30:31], -v[34:35]
	v_add_f64 v[30:31], v[28:29], v[20:21]
	s_delay_alu instid0(VALU_DEP_3) | instskip(NEXT) | instid1(VALU_DEP_3)
	v_mul_f64 v[38:39], v[36:37], v[22:23]
	v_add_f64 v[24:25], v[24:25], -v[26:27]
	s_delay_alu instid0(VALU_DEP_3) | instskip(NEXT) | instid1(VALU_DEP_3)
	v_add_f64 v[26:27], v[30:31], -v[28:29]
	v_fma_f64 v[28:29], -v[32:33], v[38:39], v[36:37]
	s_delay_alu instid0(VALU_DEP_3) | instskip(NEXT) | instid1(VALU_DEP_3)
	v_add_f64 v[14:15], v[14:15], v[24:25]
	v_add_f64 v[20:21], v[20:21], -v[26:27]
	s_delay_alu instid0(VALU_DEP_3) | instskip(SKIP_1) | instid1(VALU_DEP_3)
	v_div_fmas_f64 v[22:23], v[28:29], v[22:23], v[38:39]
	v_cmp_class_f64_e64 vcc_lo, v[12:13], 0x204
	v_add_f64 v[14:15], v[14:15], v[20:21]
	s_delay_alu instid0(VALU_DEP_3) | instskip(NEXT) | instid1(VALU_DEP_2)
	v_div_fixup_f64 v[16:17], v[22:23], v[16:17], v[18:19]
	v_add_f64 v[14:15], v[30:31], v[14:15]
	s_delay_alu instid0(VALU_DEP_2) | instskip(NEXT) | instid1(VALU_DEP_2)
	v_fma_f64 v[10:11], v[10:11], 0.5, v[16:17]
	v_cndmask_b32_e32 v8, v14, v12, vcc_lo
	s_delay_alu instid0(VALU_DEP_3) | instskip(SKIP_1) | instid1(VALU_DEP_2)
	v_cndmask_b32_e32 v14, v15, v13, vcc_lo
	v_cmp_ngt_f64_e32 vcc_lo, 0, v[12:13]
	v_cndmask_b32_e32 v15, 0x7ff80000, v14, vcc_lo
	v_cmp_nge_f64_e32 vcc_lo, 0, v[12:13]
	v_cndmask_b32_e32 v14, 0, v8, vcc_lo
	v_cmp_neq_f64_e32 vcc_lo, 0, v[12:13]
	s_delay_alu instid0(VALU_DEP_4) | instskip(NEXT) | instid1(VALU_DEP_1)
	v_cndmask_b32_e32 v15, 0xfff00000, v15, vcc_lo
	v_add_f64 v[10:11], v[10:11], v[14:15]
.LBB2_12:
	s_or_b32 exec_lo, exec_lo, s3
.LBB2_13:
	s_and_not1_saveexec_b32 s3, s1
	s_cbranch_execz .LBB2_27
; %bb.14:
	s_mov_b32 s4, exec_lo
                                        ; implicit-def: $sgpr0_sgpr1
                                        ; implicit-def: $vgpr8
                                        ; implicit-def: $vgpr12_vgpr13
	v_cmpx_lt_u32_e32 0x3feccccc, v9
	s_xor_b32 s4, exec_lo, s4
	s_cbranch_execz .LBB2_16
; %bb.15:
	s_mov_b32 s0, 0x6356be3f
	s_mov_b32 s1, 0xbff762d8
	v_add_f64 v[10:11], -|v[6:7]|, 2.0
	v_add_f64 v[12:13], |v[6:7]|, s[0:1]
	v_add_f64 v[14:15], |v[6:7]|, -1.0
	v_cmp_gt_u32_e32 vcc_lo, 0x3ffbb4c3, v9
	v_cmp_gt_u32_e64 s0, 0x3ff3b4c4, v9
	s_delay_alu instid0(VALU_DEP_4) | instskip(SKIP_2) | instid1(VALU_DEP_3)
	v_cndmask_b32_e32 v8, v10, v12, vcc_lo
	v_cndmask_b32_e32 v10, v11, v13, vcc_lo
	v_cndmask_b32_e64 v11, 0, 1, vcc_lo
	v_cndmask_b32_e64 v12, v8, v14, s0
	s_delay_alu instid0(VALU_DEP_3) | instskip(NEXT) | instid1(VALU_DEP_3)
	v_cndmask_b32_e64 v13, v10, v15, s0
	v_cndmask_b32_e64 v8, v11, 2, s0
	s_mov_b64 s[0:1], 0
.LBB2_16:
	s_or_saveexec_b32 s4, s4
	v_dual_mov_b32 v11, s1 :: v_dual_mov_b32 v10, s0
	s_xor_b32 exec_lo, exec_lo, s4
	s_cbranch_execz .LBB2_18
; %bb.17:
	v_frexp_mant_f64_e64 v[10:11], |v[6:7]|
	s_mov_b32 s1, 0x3fe55555
	s_mov_b32 s0, 0x55555555
	v_mov_b32_e32 v12, 0
	s_mov_b32 s6, 0x6b47b09a
	s_mov_b32 s8, 0xbf559e2b
	;; [unrolled: 1-line block ×4, first 2 shown]
	v_frexp_exp_i32_f64_e32 v8, v[6:7]
	s_delay_alu instid0(VALU_DEP_3) | instskip(SKIP_2) | instid1(VALU_DEP_3)
	v_cmp_gt_f64_e32 vcc_lo, s[0:1], v[10:11]
	s_mov_b32 s0, 0x55555780
	v_cndmask_b32_e64 v13, 0x3ff00000, 2.0, vcc_lo
	v_subrev_co_ci_u32_e32 v8, vcc_lo, 0, v8, vcc_lo
	v_cmp_class_f64_e64 vcc_lo, v[6:7], 0x204
	s_delay_alu instid0(VALU_DEP_3) | instskip(NEXT) | instid1(VALU_DEP_1)
	v_mul_f64 v[10:11], v[10:11], v[12:13]
	v_add_f64 v[12:13], v[10:11], 1.0
	v_add_f64 v[18:19], v[10:11], -1.0
	s_delay_alu instid0(VALU_DEP_2) | instskip(SKIP_1) | instid1(VALU_DEP_1)
	v_rcp_f64_e32 v[14:15], v[12:13]
	v_add_f64 v[20:21], v[12:13], -1.0
	v_add_f64 v[10:11], v[10:11], -v[20:21]
	s_waitcnt_depctr 0xfff
	v_fma_f64 v[16:17], -v[12:13], v[14:15], 1.0
	s_delay_alu instid0(VALU_DEP_1) | instskip(NEXT) | instid1(VALU_DEP_1)
	v_fma_f64 v[14:15], v[16:17], v[14:15], v[14:15]
	v_fma_f64 v[16:17], -v[12:13], v[14:15], 1.0
	s_delay_alu instid0(VALU_DEP_1) | instskip(NEXT) | instid1(VALU_DEP_1)
	v_fma_f64 v[14:15], v[16:17], v[14:15], v[14:15]
	v_mul_f64 v[16:17], v[18:19], v[14:15]
	s_delay_alu instid0(VALU_DEP_1) | instskip(NEXT) | instid1(VALU_DEP_1)
	v_mul_f64 v[22:23], v[12:13], v[16:17]
	v_fma_f64 v[12:13], v[16:17], v[12:13], -v[22:23]
	s_delay_alu instid0(VALU_DEP_1) | instskip(NEXT) | instid1(VALU_DEP_1)
	v_fma_f64 v[10:11], v[16:17], v[10:11], v[12:13]
	v_add_f64 v[12:13], v[22:23], v[10:11]
	s_delay_alu instid0(VALU_DEP_1) | instskip(SKIP_1) | instid1(VALU_DEP_2)
	v_add_f64 v[20:21], v[18:19], -v[12:13]
	v_add_f64 v[22:23], v[12:13], -v[22:23]
	;; [unrolled: 1-line block ×3, first 2 shown]
	s_delay_alu instid0(VALU_DEP_2) | instskip(NEXT) | instid1(VALU_DEP_2)
	v_add_f64 v[10:11], v[22:23], -v[10:11]
	v_add_f64 v[12:13], v[18:19], -v[12:13]
	s_delay_alu instid0(VALU_DEP_1) | instskip(NEXT) | instid1(VALU_DEP_1)
	v_add_f64 v[10:11], v[10:11], v[12:13]
	v_add_f64 v[10:11], v[20:21], v[10:11]
	s_delay_alu instid0(VALU_DEP_1) | instskip(NEXT) | instid1(VALU_DEP_1)
	v_mul_f64 v[10:11], v[14:15], v[10:11]
	v_add_f64 v[12:13], v[16:17], v[10:11]
	s_delay_alu instid0(VALU_DEP_1) | instskip(NEXT) | instid1(VALU_DEP_1)
	v_mul_f64 v[14:15], v[12:13], v[12:13]
	v_fma_f64 v[18:19], v[14:15], s[8:9], s[6:7]
	s_mov_b32 s6, 0xd7f4df2e
	s_mov_b32 s7, 0x3fc7474d
	v_mul_f64 v[20:21], v[12:13], v[14:15]
	s_delay_alu instid0(VALU_DEP_2)
	v_fma_f64 v[18:19], v[14:15], v[18:19], s[6:7]
	s_mov_b32 s6, 0x16291751
	s_mov_b32 s7, 0x3fcc71c0
	s_delay_alu instid0(VALU_DEP_1) | instid1(SALU_CYCLE_1)
	v_fma_f64 v[18:19], v[14:15], v[18:19], s[6:7]
	s_mov_b32 s6, 0x9b27acf1
	s_mov_b32 s7, 0x3fd24924
	s_delay_alu instid0(VALU_DEP_1) | instid1(SALU_CYCLE_1)
	;; [unrolled: 4-line block ×3, first 2 shown]
	v_fma_f64 v[18:19], v[14:15], v[18:19], s[6:7]
	s_delay_alu instid0(VALU_DEP_1) | instskip(SKIP_4) | instid1(VALU_DEP_3)
	v_fma_f64 v[14:15], v[14:15], v[18:19], s[0:1]
	v_ldexp_f64 v[18:19], v[12:13], 1
	v_add_f64 v[12:13], v[12:13], -v[16:17]
	s_mov_b32 s0, 0xfefa39ef
	s_mov_b32 s1, 0x3fe62e42
	v_mul_f64 v[14:15], v[20:21], v[14:15]
	v_cvt_f64_i32_e32 v[20:21], v8
	s_delay_alu instid0(VALU_DEP_3) | instskip(NEXT) | instid1(VALU_DEP_3)
	v_add_f64 v[10:11], v[10:11], -v[12:13]
	v_add_f64 v[16:17], v[18:19], v[14:15]
	s_delay_alu instid0(VALU_DEP_3) | instskip(NEXT) | instid1(VALU_DEP_3)
	v_mul_f64 v[22:23], v[20:21], s[0:1]
	v_ldexp_f64 v[10:11], v[10:11], 1
	s_delay_alu instid0(VALU_DEP_3) | instskip(NEXT) | instid1(VALU_DEP_3)
	v_add_f64 v[12:13], v[16:17], -v[18:19]
	v_fma_f64 v[18:19], v[20:21], s[0:1], -v[22:23]
	s_mov_b32 s0, 0x3b39803f
	s_mov_b32 s1, 0x3c7abc9e
	s_delay_alu instid0(VALU_DEP_2) | instskip(NEXT) | instid1(VALU_DEP_2)
	v_add_f64 v[12:13], v[14:15], -v[12:13]
	v_fma_f64 v[14:15], v[20:21], s[0:1], v[18:19]
	s_mov_b32 s0, 0x8d5af8fc
	s_mov_b32 s1, 0xbfdd8b61
	s_delay_alu instid0(VALU_DEP_2) | instskip(NEXT) | instid1(VALU_DEP_2)
	v_add_f64 v[10:11], v[10:11], v[12:13]
	v_add_f64 v[12:13], v[22:23], v[14:15]
	s_delay_alu instid0(VALU_DEP_2) | instskip(NEXT) | instid1(VALU_DEP_2)
	v_add_f64 v[18:19], v[16:17], v[10:11]
	v_add_f64 v[22:23], v[12:13], -v[22:23]
	s_delay_alu instid0(VALU_DEP_2) | instskip(SKIP_1) | instid1(VALU_DEP_3)
	v_add_f64 v[20:21], v[12:13], v[18:19]
	v_add_f64 v[16:17], v[18:19], -v[16:17]
	v_add_f64 v[14:15], v[14:15], -v[22:23]
	s_delay_alu instid0(VALU_DEP_3) | instskip(NEXT) | instid1(VALU_DEP_3)
	v_add_f64 v[24:25], v[20:21], -v[12:13]
	v_add_f64 v[10:11], v[10:11], -v[16:17]
	s_delay_alu instid0(VALU_DEP_2) | instskip(SKIP_1) | instid1(VALU_DEP_3)
	v_add_f64 v[26:27], v[20:21], -v[24:25]
	v_add_f64 v[16:17], v[18:19], -v[24:25]
	v_add_f64 v[18:19], v[14:15], v[10:11]
	s_delay_alu instid0(VALU_DEP_3) | instskip(NEXT) | instid1(VALU_DEP_1)
	v_add_f64 v[12:13], v[12:13], -v[26:27]
	v_add_f64 v[12:13], v[16:17], v[12:13]
	s_delay_alu instid0(VALU_DEP_3) | instskip(NEXT) | instid1(VALU_DEP_2)
	v_add_f64 v[16:17], v[18:19], -v[14:15]
	v_add_f64 v[12:13], v[18:19], v[12:13]
	s_delay_alu instid0(VALU_DEP_2) | instskip(SKIP_1) | instid1(VALU_DEP_3)
	v_add_f64 v[18:19], v[18:19], -v[16:17]
	v_add_f64 v[10:11], v[10:11], -v[16:17]
	v_add_f64 v[22:23], v[20:21], v[12:13]
	s_delay_alu instid0(VALU_DEP_3) | instskip(NEXT) | instid1(VALU_DEP_2)
	v_add_f64 v[14:15], v[14:15], -v[18:19]
	v_add_f64 v[16:17], v[22:23], -v[20:21]
	s_delay_alu instid0(VALU_DEP_2) | instskip(SKIP_4) | instid1(VALU_DEP_1)
	v_add_f64 v[10:11], v[10:11], v[14:15]
	v_add_f64 v[14:15], |v[6:7]|, s[0:1]
	v_cmp_gt_u32_e64 s0, 0x3fe76944, v9
	v_cmp_gt_u32_e64 s1, 0x3fcda661, v9
	v_add_f64 v[12:13], v[12:13], -v[16:17]
	v_add_f64 v[10:11], v[10:11], v[12:13]
	v_add_f64 v[12:13], -|v[6:7]|, 1.0
	s_delay_alu instid0(VALU_DEP_2) | instskip(NEXT) | instid1(VALU_DEP_1)
	v_add_f64 v[10:11], v[22:23], v[10:11]
	v_cndmask_b32_e32 v8, v10, v6, vcc_lo
	s_delay_alu instid0(VALU_DEP_2) | instskip(SKIP_4) | instid1(VALU_DEP_2)
	v_cndmask_b32_e64 v10, -v11, -v9, vcc_lo
	v_cmp_neq_f64_e32 vcc_lo, 0, v[6:7]
	v_cndmask_b32_e64 v11, v12, v14, s0
	v_cndmask_b32_e64 v12, v13, v15, s0
	;; [unrolled: 1-line block ×4, first 2 shown]
	s_delay_alu instid0(VALU_DEP_4)
	v_cndmask_b32_e64 v12, v11, v6, s1
	v_cndmask_b32_e32 v11, 0x7ff00000, v10, vcc_lo
	v_cndmask_b32_e32 v10, 0, v8, vcc_lo
	v_cndmask_b32_e64 v8, v14, 2, s1
.LBB2_18:
	s_or_b32 exec_lo, exec_lo, s4
	s_delay_alu instid0(SALU_CYCLE_1) | instskip(NEXT) | instid1(VALU_DEP_1)
	s_mov_b32 s0, exec_lo
                                        ; implicit-def: $vgpr16_vgpr17
	v_cmpx_lt_i32_e32 1, v8
	s_xor_b32 s0, exec_lo, s0
	s_cbranch_execz .LBB2_20
; %bb.19:
	s_mov_b32 s4, 0xf6010924
	s_mov_b32 s6, 0xbf2bab09
	;; [unrolled: 1-line block ×5, first 2 shown]
	v_fma_f64 v[14:15], v[12:13], s[6:7], s[4:5]
	s_mov_b32 s4, 0xd6537c88
	s_mov_b32 s6, 0x57d0cf61
	;; [unrolled: 1-line block ×5, first 2 shown]
	v_fma_f64 v[16:17], v[12:13], s[6:7], s[4:5]
	s_mov_b32 s4, 0xe45050af
	s_mov_b32 s6, 0xd119bd6f
	s_mov_b32 s5, 0x3fe89dfb
	s_mov_b32 s7, 0x3ff7475c
                                        ; implicit-def: $vgpr8
	s_delay_alu instid0(VALU_DEP_2) | instskip(NEXT) | instid1(VALU_DEP_2)
	v_fma_f64 v[14:15], v[12:13], v[14:15], s[8:9]
	v_fma_f64 v[16:17], v[12:13], v[16:17], s[4:5]
	s_mov_b32 s4, 0xa42b18f5
	s_mov_b32 s5, 0x40010725
	s_delay_alu instid0(VALU_DEP_2) | instskip(SKIP_2) | instid1(VALU_DEP_2)
	v_fma_f64 v[14:15], v[12:13], v[14:15], s[6:7]
	s_mov_b32 s6, 0x8b005dff
	s_mov_b32 s7, 0x3fe4401e
	v_fma_f64 v[16:17], v[12:13], v[16:17], s[4:5]
	s_mov_b32 s4, 0xc2bd619c
	s_mov_b32 s5, 0x4003a5d7
	s_delay_alu instid0(VALU_DEP_2) | instskip(SKIP_2) | instid1(VALU_DEP_2)
	v_fma_f64 v[14:15], v[12:13], v[14:15], s[6:7]
	s_mov_b32 s6, 0xe37db0c8
	s_mov_b32 s7, 0xbfb3c467
	v_fma_f64 v[16:17], v[12:13], v[16:17], s[4:5]
	s_delay_alu instid0(VALU_DEP_2) | instskip(NEXT) | instid1(VALU_DEP_2)
	v_fma_f64 v[14:15], v[12:13], v[14:15], s[6:7]
	v_fma_f64 v[16:17], v[12:13], v[16:17], 1.0
	s_delay_alu instid0(VALU_DEP_2) | instskip(NEXT) | instid1(VALU_DEP_1)
	v_mul_f64 v[14:15], v[12:13], v[14:15]
	v_div_scale_f64 v[18:19], null, v[16:17], v[16:17], v[14:15]
	s_delay_alu instid0(VALU_DEP_1) | instskip(SKIP_2) | instid1(VALU_DEP_1)
	v_rcp_f64_e32 v[20:21], v[18:19]
	s_waitcnt_depctr 0xfff
	v_fma_f64 v[22:23], -v[18:19], v[20:21], 1.0
	v_fma_f64 v[20:21], v[20:21], v[22:23], v[20:21]
	s_delay_alu instid0(VALU_DEP_1) | instskip(NEXT) | instid1(VALU_DEP_1)
	v_fma_f64 v[22:23], -v[18:19], v[20:21], 1.0
	v_fma_f64 v[20:21], v[20:21], v[22:23], v[20:21]
	v_div_scale_f64 v[22:23], vcc_lo, v[14:15], v[16:17], v[14:15]
	s_delay_alu instid0(VALU_DEP_1) | instskip(NEXT) | instid1(VALU_DEP_1)
	v_mul_f64 v[24:25], v[22:23], v[20:21]
	v_fma_f64 v[18:19], -v[18:19], v[24:25], v[22:23]
	s_delay_alu instid0(VALU_DEP_1) | instskip(NEXT) | instid1(VALU_DEP_1)
	v_div_fmas_f64 v[18:19], v[18:19], v[20:21], v[24:25]
	v_div_fixup_f64 v[14:15], v[18:19], v[16:17], v[14:15]
	s_delay_alu instid0(VALU_DEP_1)
	v_fma_f64 v[16:17], v[12:13], -0.5, v[14:15]
                                        ; implicit-def: $vgpr12_vgpr13
.LBB2_20:
	s_and_not1_saveexec_b32 s0, s0
	s_cbranch_execz .LBB2_26
; %bb.21:
	v_mul_f64 v[14:15], v[12:13], v[12:13]
	s_mov_b32 s1, exec_lo
                                        ; implicit-def: $vgpr16_vgpr17
	v_cmpx_ne_u32_e32 1, v8
	s_xor_b32 s1, exec_lo, s1
	s_cbranch_execz .LBB2_23
; %bb.22:
	s_mov_b32 s4, 0x987dfb07
	s_mov_b32 s6, 0x90a45837
	;; [unrolled: 1-line block ×5, first 2 shown]
	s_delay_alu instid0(VALU_DEP_2)
	v_fma_f64 v[16:17], v[14:15], s[6:7], s[4:5]
	s_mov_b32 s4, 0xed10e54d
	s_mov_b32 s6, 0x428cfa52
	;; [unrolled: 1-line block ×5, first 2 shown]
	v_fma_f64 v[18:19], v[14:15], s[6:7], s[4:5]
	s_mov_b32 s4, 0x116f3f5d
	s_mov_b32 s6, 0xccb7926b
	;; [unrolled: 1-line block ×4, first 2 shown]
	s_delay_alu instid0(VALU_DEP_2) | instskip(NEXT) | instid1(VALU_DEP_2)
	v_fma_f64 v[16:17], v[14:15], v[16:17], s[8:9]
	v_fma_f64 v[18:19], v[14:15], v[18:19], s[4:5]
	s_mov_b32 s4, 0xb68fefe8
	s_mov_b32 s5, 0x3f7e404f
	s_delay_alu instid0(VALU_DEP_2) | instskip(SKIP_2) | instid1(VALU_DEP_2)
	v_fma_f64 v[16:17], v[14:15], v[16:17], s[6:7]
	s_mov_b32 s6, 0xac92547b
	s_mov_b32 s7, 0x3f951322
	v_fma_f64 v[18:19], v[14:15], v[18:19], s[4:5]
	s_mov_b32 s4, 0x1a5562a7
	s_mov_b32 s5, 0x3fb13e00
	s_delay_alu instid0(VALU_DEP_2) | instskip(SKIP_2) | instid1(VALU_DEP_2)
	v_fma_f64 v[16:17], v[14:15], v[16:17], s[6:7]
	s_mov_b32 s6, 0xc4a60fad
	s_mov_b32 s7, 0x3fd4a34c
	v_fma_f64 v[18:19], v[14:15], v[18:19], s[4:5]
	s_mov_b32 s4, 0xe37db0c8
	s_mov_b32 s5, 0x3fb3c467
	s_delay_alu instid0(VALU_DEP_2) | instskip(NEXT) | instid1(VALU_DEP_2)
	v_fma_f64 v[16:17], v[14:15], v[16:17], s[6:7]
	v_fma_f64 v[18:19], v[14:15], v[18:19], s[4:5]
	s_delay_alu instid0(VALU_DEP_2) | instskip(NEXT) | instid1(VALU_DEP_1)
	v_mul_f64 v[14:15], v[14:15], v[16:17]
	v_fma_f64 v[14:15], v[12:13], v[18:19], v[14:15]
	s_delay_alu instid0(VALU_DEP_1)
	v_fma_f64 v[16:17], v[12:13], -0.5, v[14:15]
                                        ; implicit-def: $vgpr12_vgpr13
                                        ; implicit-def: $vgpr14_vgpr15
.LBB2_23:
	s_and_not1_saveexec_b32 s1, s1
	s_cbranch_execz .LBB2_25
; %bb.24:
	s_delay_alu instid0(VALU_DEP_2)
	v_mul_f64 v[16:17], v[12:13], v[14:15]
	s_mov_b32 s4, 0xef61a8e9
	s_mov_b32 s6, 0xecc38c38
	;; [unrolled: 1-line block ×8, first 2 shown]
	s_delay_alu instid0(VALU_DEP_1)
	v_fma_f64 v[18:19], v[16:17], s[6:7], s[4:5]
	v_fma_f64 v[20:21], v[16:17], s[10:11], s[8:9]
	s_mov_b32 s4, 0xb3e914d7
	s_mov_b32 s6, 0x2e15c915
	;; [unrolled: 1-line block ×8, first 2 shown]
	s_delay_alu instid0(VALU_DEP_2) | instskip(NEXT) | instid1(VALU_DEP_2)
	v_fma_f64 v[18:19], v[16:17], v[18:19], s[4:5]
	v_fma_f64 v[20:21], v[16:17], v[20:21], s[6:7]
	s_mov_b32 s4, 0xbf2d1af1
	s_mov_b32 s6, 0x6c0ebbf7
	;; [unrolled: 1-line block ×4, first 2 shown]
	s_delay_alu instid0(SALU_CYCLE_1) | instskip(SKIP_4) | instid1(VALU_DEP_3)
	v_fma_f64 v[22:23], v[16:17], s[6:7], s[4:5]
	s_mov_b32 s4, 0xe370e344
	s_mov_b32 s6, 0x8dc6c509
	;; [unrolled: 1-line block ×4, first 2 shown]
	v_fma_f64 v[18:19], v[16:17], v[18:19], s[8:9]
	s_delay_alu instid0(VALU_DEP_3) | instskip(SKIP_2) | instid1(VALU_DEP_3)
	v_fma_f64 v[20:21], v[16:17], v[20:21], s[10:11]
	s_mov_b32 s8, 0x94d5419b
	s_mov_b32 s9, 0x3fb08b42
	v_fma_f64 v[22:23], v[16:17], v[22:23], s[4:5]
	s_mov_b32 s4, 0xdf35b713
	s_mov_b32 s5, 0xbfa0c9a8
	s_delay_alu instid0(VALU_DEP_3) | instskip(NEXT) | instid1(VALU_DEP_3)
	v_fma_f64 v[18:19], v[16:17], v[18:19], s[6:7]
	v_fma_f64 v[20:21], v[16:17], v[20:21], s[8:9]
	s_mov_b32 s6, 0xa48a971f
	s_mov_b32 s7, 0xbc50c7ca
	s_delay_alu instid0(VALU_DEP_3) | instskip(SKIP_2) | instid1(VALU_DEP_2)
	v_fma_f64 v[22:23], v[16:17], v[22:23], s[4:5]
	s_mov_b32 s4, 0xc8ee38a2
	s_mov_b32 s5, 0x3fdef72b
	v_fma_f64 v[12:13], v[12:13], v[20:21], v[18:19]
	s_delay_alu instid0(VALU_DEP_2) | instskip(SKIP_2) | instid1(VALU_DEP_2)
	v_fma_f64 v[18:19], v[16:17], v[22:23], s[4:5]
	s_mov_b32 s4, 0xbcc38a42
	s_mov_b32 s5, 0xbfbf19b9
	v_fma_f64 v[12:13], v[16:17], -v[12:13], s[6:7]
	s_delay_alu instid0(VALU_DEP_1) | instskip(NEXT) | instid1(VALU_DEP_1)
	v_fma_f64 v[12:13], v[14:15], v[18:19], -v[12:13]
	v_add_f64 v[16:17], v[12:13], s[4:5]
.LBB2_25:
	s_or_b32 exec_lo, exec_lo, s1
.LBB2_26:
	s_delay_alu instid0(SALU_CYCLE_1) | instskip(NEXT) | instid1(VALU_DEP_1)
	s_or_b32 exec_lo, exec_lo, s0
	v_add_f64 v[10:11], v[10:11], v[16:17]
.LBB2_27:
	s_or_b32 exec_lo, exec_lo, s3
.LBB2_28:
	s_and_not1_saveexec_b32 s0, s2
	s_cbranch_execz .LBB2_30
; %bb.29:
	v_frexp_mant_f64_e64 v[10:11], |v[6:7]|
	s_mov_b32 s3, 0x3fe55555
	s_mov_b32 s2, 0x55555555
	v_mov_b32_e32 v12, 0
	s_mov_b32 s4, 0x6b47b09a
	s_mov_b32 s6, 0xbf559e2b
	;; [unrolled: 1-line block ×4, first 2 shown]
	v_frexp_exp_i32_f64_e32 v8, v[6:7]
	s_delay_alu instid0(VALU_DEP_3) | instskip(SKIP_2) | instid1(VALU_DEP_3)
	v_cmp_gt_f64_e32 vcc_lo, s[2:3], v[10:11]
	s_mov_b32 s2, 0x55555780
	v_cndmask_b32_e64 v13, 0x3ff00000, 2.0, vcc_lo
	v_subrev_co_ci_u32_e32 v8, vcc_lo, 0, v8, vcc_lo
	v_cmp_class_f64_e64 vcc_lo, v[6:7], 0x204
	s_delay_alu instid0(VALU_DEP_3) | instskip(NEXT) | instid1(VALU_DEP_1)
	v_mul_f64 v[10:11], v[10:11], v[12:13]
	v_add_f64 v[12:13], v[10:11], 1.0
	v_add_f64 v[18:19], v[10:11], -1.0
	s_delay_alu instid0(VALU_DEP_2) | instskip(SKIP_1) | instid1(VALU_DEP_1)
	v_rcp_f64_e32 v[14:15], v[12:13]
	v_add_f64 v[20:21], v[12:13], -1.0
	v_add_f64 v[10:11], v[10:11], -v[20:21]
	s_waitcnt_depctr 0xfff
	v_fma_f64 v[16:17], -v[12:13], v[14:15], 1.0
	s_delay_alu instid0(VALU_DEP_1) | instskip(NEXT) | instid1(VALU_DEP_1)
	v_fma_f64 v[14:15], v[16:17], v[14:15], v[14:15]
	v_fma_f64 v[16:17], -v[12:13], v[14:15], 1.0
	s_delay_alu instid0(VALU_DEP_1) | instskip(NEXT) | instid1(VALU_DEP_1)
	v_fma_f64 v[14:15], v[16:17], v[14:15], v[14:15]
	v_mul_f64 v[16:17], v[18:19], v[14:15]
	s_delay_alu instid0(VALU_DEP_1) | instskip(NEXT) | instid1(VALU_DEP_1)
	v_mul_f64 v[22:23], v[12:13], v[16:17]
	v_fma_f64 v[12:13], v[16:17], v[12:13], -v[22:23]
	s_delay_alu instid0(VALU_DEP_1) | instskip(NEXT) | instid1(VALU_DEP_1)
	v_fma_f64 v[10:11], v[16:17], v[10:11], v[12:13]
	v_add_f64 v[12:13], v[22:23], v[10:11]
	s_delay_alu instid0(VALU_DEP_1) | instskip(SKIP_1) | instid1(VALU_DEP_2)
	v_add_f64 v[20:21], v[18:19], -v[12:13]
	v_add_f64 v[22:23], v[12:13], -v[22:23]
	;; [unrolled: 1-line block ×3, first 2 shown]
	s_delay_alu instid0(VALU_DEP_2) | instskip(NEXT) | instid1(VALU_DEP_2)
	v_add_f64 v[10:11], v[22:23], -v[10:11]
	v_add_f64 v[12:13], v[18:19], -v[12:13]
	s_delay_alu instid0(VALU_DEP_1) | instskip(NEXT) | instid1(VALU_DEP_1)
	v_add_f64 v[10:11], v[10:11], v[12:13]
	v_add_f64 v[10:11], v[20:21], v[10:11]
	s_delay_alu instid0(VALU_DEP_1) | instskip(NEXT) | instid1(VALU_DEP_1)
	v_mul_f64 v[10:11], v[14:15], v[10:11]
	v_add_f64 v[12:13], v[16:17], v[10:11]
	s_delay_alu instid0(VALU_DEP_1) | instskip(NEXT) | instid1(VALU_DEP_1)
	v_mul_f64 v[14:15], v[12:13], v[12:13]
	v_fma_f64 v[18:19], v[14:15], s[6:7], s[4:5]
	s_mov_b32 s4, 0xd7f4df2e
	s_mov_b32 s5, 0x3fc7474d
	v_mul_f64 v[20:21], v[12:13], v[14:15]
	s_delay_alu instid0(VALU_DEP_2)
	v_fma_f64 v[18:19], v[14:15], v[18:19], s[4:5]
	s_mov_b32 s4, 0x16291751
	s_mov_b32 s5, 0x3fcc71c0
	s_delay_alu instid0(VALU_DEP_1) | instid1(SALU_CYCLE_1)
	v_fma_f64 v[18:19], v[14:15], v[18:19], s[4:5]
	s_mov_b32 s4, 0x9b27acf1
	s_mov_b32 s5, 0x3fd24924
	s_delay_alu instid0(VALU_DEP_1) | instid1(SALU_CYCLE_1)
	;; [unrolled: 4-line block ×3, first 2 shown]
	v_fma_f64 v[18:19], v[14:15], v[18:19], s[4:5]
	s_mov_b32 s4, 0x17aa6149
	s_mov_b32 s5, 0xbfca8b9c
	s_delay_alu instid0(VALU_DEP_1) | instskip(SKIP_4) | instid1(VALU_DEP_3)
	v_fma_f64 v[14:15], v[14:15], v[18:19], s[2:3]
	v_ldexp_f64 v[18:19], v[12:13], 1
	v_add_f64 v[12:13], v[12:13], -v[16:17]
	s_mov_b32 s2, 0xfefa39ef
	s_mov_b32 s3, 0x3fe62e42
	v_mul_f64 v[14:15], v[20:21], v[14:15]
	v_cvt_f64_i32_e32 v[20:21], v8
	s_delay_alu instid0(VALU_DEP_3) | instskip(NEXT) | instid1(VALU_DEP_3)
	v_add_f64 v[10:11], v[10:11], -v[12:13]
	v_add_f64 v[16:17], v[18:19], v[14:15]
	s_delay_alu instid0(VALU_DEP_3) | instskip(NEXT) | instid1(VALU_DEP_3)
	v_mul_f64 v[22:23], v[20:21], s[2:3]
	v_ldexp_f64 v[10:11], v[10:11], 1
	s_delay_alu instid0(VALU_DEP_3) | instskip(NEXT) | instid1(VALU_DEP_3)
	v_add_f64 v[12:13], v[16:17], -v[18:19]
	v_fma_f64 v[18:19], v[20:21], s[2:3], -v[22:23]
	s_mov_b32 s2, 0x3b39803f
	s_mov_b32 s3, 0x3c7abc9e
	s_delay_alu instid0(VALU_DEP_2) | instskip(NEXT) | instid1(VALU_DEP_2)
	v_add_f64 v[12:13], v[14:15], -v[12:13]
	v_fma_f64 v[14:15], v[20:21], s[2:3], v[18:19]
	s_mov_b32 s2, 0x2ac7d848
	s_mov_b32 s3, 0x3fd15132
	s_delay_alu instid0(VALU_DEP_2) | instskip(NEXT) | instid1(VALU_DEP_2)
	v_add_f64 v[10:11], v[10:11], v[12:13]
	v_add_f64 v[12:13], v[22:23], v[14:15]
	s_delay_alu instid0(VALU_DEP_2) | instskip(NEXT) | instid1(VALU_DEP_2)
	v_add_f64 v[18:19], v[16:17], v[10:11]
	v_add_f64 v[22:23], v[12:13], -v[22:23]
	s_delay_alu instid0(VALU_DEP_2) | instskip(SKIP_1) | instid1(VALU_DEP_3)
	v_add_f64 v[20:21], v[12:13], v[18:19]
	v_add_f64 v[16:17], v[18:19], -v[16:17]
	v_add_f64 v[14:15], v[14:15], -v[22:23]
	s_delay_alu instid0(VALU_DEP_3) | instskip(NEXT) | instid1(VALU_DEP_3)
	v_add_f64 v[24:25], v[20:21], -v[12:13]
	v_add_f64 v[10:11], v[10:11], -v[16:17]
	s_delay_alu instid0(VALU_DEP_2) | instskip(SKIP_1) | instid1(VALU_DEP_3)
	v_add_f64 v[26:27], v[20:21], -v[24:25]
	v_add_f64 v[16:17], v[18:19], -v[24:25]
	v_add_f64 v[18:19], v[14:15], v[10:11]
	s_delay_alu instid0(VALU_DEP_3) | instskip(NEXT) | instid1(VALU_DEP_1)
	v_add_f64 v[12:13], v[12:13], -v[26:27]
	v_add_f64 v[12:13], v[16:17], v[12:13]
	s_delay_alu instid0(VALU_DEP_3) | instskip(NEXT) | instid1(VALU_DEP_2)
	v_add_f64 v[16:17], v[18:19], -v[14:15]
	v_add_f64 v[12:13], v[18:19], v[12:13]
	s_delay_alu instid0(VALU_DEP_2) | instskip(SKIP_1) | instid1(VALU_DEP_3)
	v_add_f64 v[18:19], v[18:19], -v[16:17]
	v_add_f64 v[10:11], v[10:11], -v[16:17]
	v_add_f64 v[22:23], v[20:21], v[12:13]
	s_delay_alu instid0(VALU_DEP_3) | instskip(NEXT) | instid1(VALU_DEP_2)
	v_add_f64 v[14:15], v[14:15], -v[18:19]
	v_add_f64 v[16:17], v[22:23], -v[20:21]
	s_delay_alu instid0(VALU_DEP_2) | instskip(SKIP_3) | instid1(VALU_DEP_3)
	v_add_f64 v[10:11], v[10:11], v[14:15]
	v_fma_f64 v[14:15], |v[6:7]|, s[4:5], s[2:3]
	s_mov_b32 s2, 0x5beab2d7
	s_mov_b32 s3, 0xbfd9a4d5
	v_add_f64 v[12:13], v[12:13], -v[16:17]
	s_delay_alu instid0(VALU_DEP_1) | instskip(NEXT) | instid1(VALU_DEP_3)
	v_add_f64 v[10:11], v[10:11], v[12:13]
	v_fma_f64 v[12:13], |v[6:7]|, v[14:15], s[2:3]
	s_mov_b32 s2, 0x625307d3
	s_mov_b32 s3, 0x3fea51a6
	s_delay_alu instid0(VALU_DEP_2) | instskip(NEXT) | instid1(VALU_DEP_2)
	v_add_f64 v[10:11], v[22:23], v[10:11]
	v_fma_f64 v[12:13], |v[6:7]|, v[12:13], s[2:3]
	s_mov_b32 s2, 0xfc6fb619
	s_mov_b32 s3, 0xbfe2788c
	s_delay_alu instid0(VALU_DEP_2) | instskip(NEXT) | instid1(VALU_DEP_3)
	v_cndmask_b32_e32 v8, v10, v6, vcc_lo
	v_cndmask_b32_e64 v14, -v11, -v9, vcc_lo
	v_cmp_neq_f64_e32 vcc_lo, 0, v[6:7]
	s_delay_alu instid0(VALU_DEP_4) | instskip(NEXT) | instid1(VALU_DEP_3)
	v_fma_f64 v[10:11], |v[6:7]|, v[12:13], s[2:3]
	v_cndmask_b32_e32 v13, 0x7ff00000, v14, vcc_lo
	v_cndmask_b32_e32 v12, 0, v8, vcc_lo
	s_delay_alu instid0(VALU_DEP_1)
	v_fma_f64 v[10:11], |v[6:7]|, v[10:11], v[12:13]
.LBB2_30:
	s_or_b32 exec_lo, exec_lo, s0
	s_delay_alu instid0(SALU_CYCLE_1)
	s_mov_b32 s0, exec_lo
	v_cmpx_le_f64_e32 0, v[6:7]
	s_xor_b32 s1, exec_lo, s0
; %bb.31:
	v_cmp_eq_f64_e32 vcc_lo, 1.0, v[6:7]
	v_cmp_eq_f64_e64 s0, 2.0, v[6:7]
	s_delay_alu instid0(VALU_DEP_1)
	s_or_b32 s0, vcc_lo, s0
	s_delay_alu instid0(VALU_DEP_4) | instid1(SALU_CYCLE_1)
	v_cndmask_b32_e64 v11, v11, 0, s0
	v_cndmask_b32_e64 v10, v10, 0, s0
; %bb.32:
	s_and_not1_saveexec_b32 s1, s1
	s_cbranch_execz .LBB2_36
; %bb.33:
	v_add_nc_u32_e32 v8, 0xc32fffff, v9
	s_mov_b32 s2, exec_lo
	s_delay_alu instid0(VALU_DEP_1)
	v_cmpx_gt_u32_e32 0x65fffff, v8
	s_cbranch_execz .LBB2_35
; %bb.34:
	v_mul_f64 v[12:13], |v[6:7]|, 0.5
	s_mov_b32 s4, 0x6fdffd2b
	s_mov_b32 s6, 0xf99eb0bb
	;; [unrolled: 1-line block ×8, first 2 shown]
	v_cmp_class_f64_e64 s0, v[6:7], 0x1f8
	s_delay_alu instid0(VALU_DEP_2) | instskip(SKIP_1) | instid1(VALU_DEP_2)
	v_fract_f64_e32 v[14:15], v[12:13]
	v_cmp_neq_f64_e64 vcc_lo, 0x7ff00000, |v[12:13]|
	v_add_f64 v[14:15], v[14:15], v[14:15]
	s_delay_alu instid0(VALU_DEP_1) | instskip(NEXT) | instid1(VALU_DEP_2)
	v_cndmask_b32_e32 v12, 0, v15, vcc_lo
	v_cndmask_b32_e32 v8, 0, v14, vcc_lo
	v_cmp_gt_f64_e64 vcc_lo, |v[6:7]|, 1.0
	s_delay_alu instid0(VALU_DEP_3) | instskip(NEXT) | instid1(VALU_DEP_3)
	v_cndmask_b32_e32 v13, v9, v12, vcc_lo
	v_cndmask_b32_e32 v12, v6, v8, vcc_lo
	s_delay_alu instid0(VALU_DEP_1) | instskip(NEXT) | instid1(VALU_DEP_1)
	v_add_f64 v[14:15], v[12:13], v[12:13]
	v_rndne_f64_e32 v[14:15], v[14:15]
	s_delay_alu instid0(VALU_DEP_1) | instskip(SKIP_1) | instid1(VALU_DEP_2)
	v_fma_f64 v[12:13], v[14:15], -0.5, v[12:13]
	v_cvt_i32_f64_e32 v8, v[14:15]
	v_mul_f64 v[16:17], v[12:13], v[12:13]
	s_delay_alu instid0(VALU_DEP_1)
	v_fma_f64 v[18:19], v[16:17], s[6:7], s[4:5]
	v_fma_f64 v[20:21], v[16:17], s[10:11], s[8:9]
	s_mov_b32 s4, 0xd5f14825
	s_mov_b32 s6, 0x7294bff9
	;; [unrolled: 1-line block ×4, first 2 shown]
	v_mul_f64 v[22:23], v[12:13], v[16:17]
	s_mov_b32 s8, 0xbf559e2b
	s_mov_b32 s9, 0x3fc3ab76
	s_delay_alu instid0(VALU_DEP_3) | instskip(NEXT) | instid1(VALU_DEP_3)
	v_fma_f64 v[18:19], v[16:17], v[18:19], s[4:5]
	v_fma_f64 v[20:21], v[16:17], v[20:21], s[6:7]
	s_mov_b32 s4, 0xcdfe9424
	s_mov_b32 s6, 0x67b90b37
	s_mov_b32 s5, 0xbfe32d2c
	s_mov_b32 s7, 0x3fce1f50
	s_delay_alu instid0(VALU_DEP_2) | instskip(NEXT) | instid1(VALU_DEP_2)
	v_fma_f64 v[18:19], v[16:17], v[18:19], s[4:5]
	v_fma_f64 v[20:21], v[16:17], v[20:21], s[6:7]
	s_mov_b32 s4, 0x67754fff
	s_mov_b32 s6, 0x7e3c325b
	s_mov_b32 s5, 0x400466bc
	s_mov_b32 s7, 0xbff55d3c
	s_delay_alu instid0(VALU_DEP_2) | instskip(NEXT) | instid1(VALU_DEP_2)
	;; [unrolled: 7-line block ×4, first 2 shown]
	v_mul_f64 v[18:19], v[22:23], v[18:19]
	v_fma_f64 v[20:21], v[16:17], v[20:21], s[4:5]
	s_mov_b32 s4, 0x54442d18
	s_mov_b32 s5, 0x400921fb
	s_delay_alu instid0(VALU_DEP_2) | instid1(SALU_CYCLE_1)
	v_fma_f64 v[12:13], v[12:13], s[4:5], v[18:19]
	s_delay_alu instid0(VALU_DEP_2) | instskip(SKIP_2) | instid1(VALU_DEP_2)
	v_fma_f64 v[14:15], v[16:17], v[20:21], 1.0
	v_and_b32_e32 v16, 1, v8
	v_lshlrev_b32_e32 v8, 30, v8
	v_cmp_eq_u32_e32 vcc_lo, 0, v16
	s_delay_alu instid0(VALU_DEP_2) | instskip(NEXT) | instid1(VALU_DEP_1)
	v_xor_b32_e32 v8, v8, v7
	v_dual_cndmask_b32 v13, v15, v13 :: v_dual_and_b32 v8, 0x80000000, v8
	v_cndmask_b32_e32 v12, v14, v12, vcc_lo
	s_delay_alu instid0(VALU_DEP_2) | instskip(NEXT) | instid1(VALU_DEP_2)
	v_xor_b32_e32 v8, v13, v8
	v_cndmask_b32_e64 v12, 0, v12, s0
	s_delay_alu instid0(VALU_DEP_2) | instskip(SKIP_1) | instid1(VALU_DEP_2)
	v_cndmask_b32_e64 v13, 0x7ff80000, v8, s0
	v_cmp_class_f64_e64 s0, v[6:7], 0x204
	v_mul_f64 v[12:13], v[6:7], v[12:13]
	s_delay_alu instid0(VALU_DEP_1) | instskip(NEXT) | instid1(VALU_DEP_1)
	v_dual_mov_b32 v14, v12 :: v_dual_and_b32 v15, 0x7fffffff, v13
	v_div_scale_f64 v[16:17], null, v[14:15], v[14:15], s[4:5]
	v_div_scale_f64 v[14:15], vcc_lo, s[4:5], v[14:15], s[4:5]
	s_delay_alu instid0(VALU_DEP_2) | instskip(SKIP_2) | instid1(VALU_DEP_1)
	v_rcp_f64_e32 v[18:19], v[16:17]
	s_waitcnt_depctr 0xfff
	v_fma_f64 v[20:21], -v[16:17], v[18:19], 1.0
	v_fma_f64 v[18:19], v[18:19], v[20:21], v[18:19]
	s_delay_alu instid0(VALU_DEP_1) | instskip(NEXT) | instid1(VALU_DEP_1)
	v_fma_f64 v[20:21], -v[16:17], v[18:19], 1.0
	v_fma_f64 v[18:19], v[18:19], v[20:21], v[18:19]
	s_delay_alu instid0(VALU_DEP_1) | instskip(NEXT) | instid1(VALU_DEP_1)
	v_mul_f64 v[20:21], v[14:15], v[18:19]
	v_fma_f64 v[14:15], -v[16:17], v[20:21], v[14:15]
	v_mov_b32_e32 v16, 0
	s_delay_alu instid0(VALU_DEP_2) | instskip(NEXT) | instid1(VALU_DEP_1)
	v_div_fmas_f64 v[14:15], v[14:15], v[18:19], v[20:21]
	v_div_fixup_f64 v[12:13], v[14:15], |v[12:13]|, s[4:5]
	s_mov_b32 s5, 0x3fe55555
	s_mov_b32 s4, 0x55555555
	s_delay_alu instid0(VALU_DEP_1) | instskip(SKIP_1) | instid1(VALU_DEP_2)
	v_frexp_mant_f64_e32 v[14:15], v[12:13]
	v_frexp_exp_i32_f64_e32 v8, v[12:13]
	v_cmp_gt_f64_e32 vcc_lo, s[4:5], v[14:15]
	s_mov_b32 s4, 0x55555780
	v_cndmask_b32_e64 v17, 0x3ff00000, 2.0, vcc_lo
	s_delay_alu instid0(VALU_DEP_3) | instskip(SKIP_1) | instid1(VALU_DEP_3)
	v_subrev_co_ci_u32_e32 v8, vcc_lo, 0, v8, vcc_lo
	v_cmp_class_f64_e64 vcc_lo, v[12:13], 0x204
	v_mul_f64 v[14:15], v[14:15], v[16:17]
	s_delay_alu instid0(VALU_DEP_1) | instskip(SKIP_1) | instid1(VALU_DEP_2)
	v_add_f64 v[16:17], v[14:15], 1.0
	v_add_f64 v[22:23], v[14:15], -1.0
	v_rcp_f64_e32 v[18:19], v[16:17]
	v_add_f64 v[24:25], v[16:17], -1.0
	s_delay_alu instid0(VALU_DEP_1) | instskip(SKIP_2) | instid1(VALU_DEP_1)
	v_add_f64 v[14:15], v[14:15], -v[24:25]
	s_waitcnt_depctr 0xfff
	v_fma_f64 v[20:21], -v[16:17], v[18:19], 1.0
	v_fma_f64 v[18:19], v[20:21], v[18:19], v[18:19]
	s_delay_alu instid0(VALU_DEP_1) | instskip(NEXT) | instid1(VALU_DEP_1)
	v_fma_f64 v[20:21], -v[16:17], v[18:19], 1.0
	v_fma_f64 v[18:19], v[20:21], v[18:19], v[18:19]
	s_delay_alu instid0(VALU_DEP_1) | instskip(NEXT) | instid1(VALU_DEP_1)
	v_mul_f64 v[20:21], v[22:23], v[18:19]
	v_mul_f64 v[26:27], v[16:17], v[20:21]
	s_delay_alu instid0(VALU_DEP_1) | instskip(NEXT) | instid1(VALU_DEP_1)
	v_fma_f64 v[16:17], v[20:21], v[16:17], -v[26:27]
	v_fma_f64 v[14:15], v[20:21], v[14:15], v[16:17]
	s_delay_alu instid0(VALU_DEP_1) | instskip(NEXT) | instid1(VALU_DEP_1)
	v_add_f64 v[16:17], v[26:27], v[14:15]
	v_add_f64 v[24:25], v[22:23], -v[16:17]
	v_add_f64 v[26:27], v[16:17], -v[26:27]
	s_delay_alu instid0(VALU_DEP_2) | instskip(NEXT) | instid1(VALU_DEP_2)
	v_add_f64 v[22:23], v[22:23], -v[24:25]
	v_add_f64 v[14:15], v[26:27], -v[14:15]
	s_delay_alu instid0(VALU_DEP_2) | instskip(NEXT) | instid1(VALU_DEP_1)
	v_add_f64 v[16:17], v[22:23], -v[16:17]
	v_add_f64 v[14:15], v[14:15], v[16:17]
	s_delay_alu instid0(VALU_DEP_1) | instskip(NEXT) | instid1(VALU_DEP_1)
	v_add_f64 v[14:15], v[24:25], v[14:15]
	v_mul_f64 v[14:15], v[18:19], v[14:15]
	s_delay_alu instid0(VALU_DEP_1) | instskip(NEXT) | instid1(VALU_DEP_1)
	v_add_f64 v[16:17], v[20:21], v[14:15]
	v_mul_f64 v[18:19], v[16:17], v[16:17]
	s_delay_alu instid0(VALU_DEP_1) | instskip(SKIP_3) | instid1(VALU_DEP_2)
	v_fma_f64 v[22:23], v[18:19], s[8:9], s[6:7]
	s_mov_b32 s6, 0xd7f4df2e
	s_mov_b32 s7, 0x3fc7474d
	v_mul_f64 v[24:25], v[16:17], v[18:19]
	v_fma_f64 v[22:23], v[18:19], v[22:23], s[6:7]
	s_mov_b32 s6, 0x16291751
	s_mov_b32 s7, 0x3fcc71c0
	s_delay_alu instid0(VALU_DEP_1) | instid1(SALU_CYCLE_1)
	v_fma_f64 v[22:23], v[18:19], v[22:23], s[6:7]
	s_mov_b32 s6, 0x9b27acf1
	s_mov_b32 s7, 0x3fd24924
	s_delay_alu instid0(VALU_DEP_1) | instid1(SALU_CYCLE_1)
	;; [unrolled: 4-line block ×3, first 2 shown]
	v_fma_f64 v[22:23], v[18:19], v[22:23], s[6:7]
	s_delay_alu instid0(VALU_DEP_1) | instskip(SKIP_4) | instid1(VALU_DEP_3)
	v_fma_f64 v[18:19], v[18:19], v[22:23], s[4:5]
	v_ldexp_f64 v[22:23], v[16:17], 1
	v_add_f64 v[16:17], v[16:17], -v[20:21]
	s_mov_b32 s4, 0xfefa39ef
	s_mov_b32 s5, 0x3fe62e42
	v_mul_f64 v[18:19], v[24:25], v[18:19]
	v_cvt_f64_i32_e32 v[24:25], v8
	s_delay_alu instid0(VALU_DEP_3) | instskip(NEXT) | instid1(VALU_DEP_3)
	v_add_f64 v[14:15], v[14:15], -v[16:17]
	v_add_f64 v[20:21], v[22:23], v[18:19]
	s_delay_alu instid0(VALU_DEP_3) | instskip(NEXT) | instid1(VALU_DEP_3)
	v_mul_f64 v[26:27], v[24:25], s[4:5]
	v_ldexp_f64 v[14:15], v[14:15], 1
	s_delay_alu instid0(VALU_DEP_3) | instskip(NEXT) | instid1(VALU_DEP_3)
	v_add_f64 v[16:17], v[20:21], -v[22:23]
	v_fma_f64 v[22:23], v[24:25], s[4:5], -v[26:27]
	s_mov_b32 s4, 0x3b39803f
	s_mov_b32 s5, 0x3c7abc9e
	s_delay_alu instid0(VALU_DEP_2) | instskip(NEXT) | instid1(VALU_DEP_2)
	v_add_f64 v[16:17], v[18:19], -v[16:17]
	v_fma_f64 v[18:19], v[24:25], s[4:5], v[22:23]
	s_delay_alu instid0(VALU_DEP_2) | instskip(NEXT) | instid1(VALU_DEP_2)
	v_add_f64 v[14:15], v[14:15], v[16:17]
	v_add_f64 v[16:17], v[26:27], v[18:19]
	s_delay_alu instid0(VALU_DEP_2) | instskip(NEXT) | instid1(VALU_DEP_2)
	v_add_f64 v[22:23], v[20:21], v[14:15]
	v_add_f64 v[26:27], v[16:17], -v[26:27]
	s_delay_alu instid0(VALU_DEP_2) | instskip(SKIP_1) | instid1(VALU_DEP_3)
	v_add_f64 v[24:25], v[16:17], v[22:23]
	v_add_f64 v[20:21], v[22:23], -v[20:21]
	v_add_f64 v[18:19], v[18:19], -v[26:27]
	s_delay_alu instid0(VALU_DEP_3) | instskip(NEXT) | instid1(VALU_DEP_3)
	v_add_f64 v[28:29], v[24:25], -v[16:17]
	v_add_f64 v[14:15], v[14:15], -v[20:21]
	s_delay_alu instid0(VALU_DEP_2) | instskip(SKIP_1) | instid1(VALU_DEP_3)
	v_add_f64 v[30:31], v[24:25], -v[28:29]
	v_add_f64 v[20:21], v[22:23], -v[28:29]
	v_add_f64 v[22:23], v[18:19], v[14:15]
	s_delay_alu instid0(VALU_DEP_3) | instskip(NEXT) | instid1(VALU_DEP_1)
	v_add_f64 v[16:17], v[16:17], -v[30:31]
	v_add_f64 v[16:17], v[20:21], v[16:17]
	s_delay_alu instid0(VALU_DEP_3) | instskip(NEXT) | instid1(VALU_DEP_2)
	v_add_f64 v[20:21], v[22:23], -v[18:19]
	v_add_f64 v[16:17], v[22:23], v[16:17]
	s_delay_alu instid0(VALU_DEP_2) | instskip(SKIP_1) | instid1(VALU_DEP_3)
	v_add_f64 v[22:23], v[22:23], -v[20:21]
	v_add_f64 v[14:15], v[14:15], -v[20:21]
	v_add_f64 v[26:27], v[24:25], v[16:17]
	s_delay_alu instid0(VALU_DEP_3) | instskip(NEXT) | instid1(VALU_DEP_2)
	v_add_f64 v[18:19], v[18:19], -v[22:23]
	v_add_f64 v[20:21], v[26:27], -v[24:25]
	s_delay_alu instid0(VALU_DEP_2) | instskip(NEXT) | instid1(VALU_DEP_2)
	v_add_f64 v[14:15], v[14:15], v[18:19]
	v_add_f64 v[16:17], v[16:17], -v[20:21]
	s_delay_alu instid0(VALU_DEP_1) | instskip(NEXT) | instid1(VALU_DEP_1)
	v_add_f64 v[14:15], v[14:15], v[16:17]
	v_add_f64 v[14:15], v[26:27], v[14:15]
	s_delay_alu instid0(VALU_DEP_1) | instskip(NEXT) | instid1(VALU_DEP_2)
	v_cndmask_b32_e32 v8, v14, v12, vcc_lo
	v_cndmask_b32_e32 v14, v15, v13, vcc_lo
	v_cmp_neq_f64_e32 vcc_lo, 0, v[12:13]
	v_fract_f64_e32 v[12:13], v[6:7]
	s_delay_alu instid0(VALU_DEP_3) | instskip(SKIP_1) | instid1(VALU_DEP_3)
	v_cndmask_b32_e32 v15, 0xfff00000, v14, vcc_lo
	v_cndmask_b32_e32 v14, 0, v8, vcc_lo
	v_cmp_eq_f64_e32 vcc_lo, 0, v[12:13]
	s_delay_alu instid0(VALU_DEP_2)
	v_add_f64 v[10:11], v[14:15], -v[10:11]
	s_or_b32 s0, s0, vcc_lo
	s_delay_alu instid0(VALU_DEP_1) | instid1(SALU_CYCLE_1)
	v_cndmask_b32_e64 v11, v11, 0x7ff00000, s0
	s_delay_alu instid0(VALU_DEP_2)
	v_cndmask_b32_e64 v10, v10, 0, s0
.LBB2_35:
	s_or_b32 exec_lo, exec_lo, s2
.LBB2_36:
	s_delay_alu instid0(SALU_CYCLE_1) | instskip(SKIP_2) | instid1(VALU_DEP_1)
	s_or_b32 exec_lo, exec_lo, s1
	v_dual_mov_b32 v12, v0 :: v_dual_and_b32 v13, 0x7fffffff, v1
                                        ; implicit-def: $vgpr14_vgpr15
	s_mov_b32 s0, exec_lo
	v_cmpx_lt_u32_e32 0x3f6fffff, v13
	s_xor_b32 s2, exec_lo, s0
	s_cbranch_execz .LBB2_62
; %bb.37:
                                        ; implicit-def: $vgpr14_vgpr15
	s_mov_b32 s0, exec_lo
	v_cmpx_lt_u32_e32 0x3fffffff, v13
	s_xor_b32 s1, exec_lo, s0
	s_cbranch_execz .LBB2_47
; %bb.38:
	s_mov_b32 s0, exec_lo
                                        ; implicit-def: $vgpr14_vgpr15
	v_cmpx_lt_u32_e32 0x401fffff, v13
	s_xor_b32 s0, exec_lo, s0
	s_cbranch_execz .LBB2_44
; %bb.39:
	s_mov_b32 s3, exec_lo
                                        ; implicit-def: $vgpr14_vgpr15
	v_cmpx_lt_u32_e32 0x438fffff, v13
	s_xor_b32 s3, exec_lo, s3
	s_cbranch_execz .LBB2_41
; %bb.40:
	v_frexp_mant_f64_e64 v[14:15], |v[0:1]|
	s_mov_b32 s5, 0x3fe55555
	s_mov_b32 s4, 0x55555555
	v_mov_b32_e32 v16, 0
	s_mov_b32 s6, 0x6b47b09a
	s_mov_b32 s8, 0xbf559e2b
	;; [unrolled: 1-line block ×4, first 2 shown]
	v_frexp_exp_i32_f64_e32 v8, v[0:1]
	s_delay_alu instid0(VALU_DEP_3) | instskip(SKIP_2) | instid1(VALU_DEP_3)
	v_cmp_gt_f64_e32 vcc_lo, s[4:5], v[14:15]
	s_mov_b32 s4, 0x55555780
	v_cndmask_b32_e64 v17, 0x3ff00000, 2.0, vcc_lo
	v_subrev_co_ci_u32_e32 v8, vcc_lo, 0, v8, vcc_lo
	v_cmp_class_f64_e64 vcc_lo, v[0:1], 0x204
	s_delay_alu instid0(VALU_DEP_3) | instskip(NEXT) | instid1(VALU_DEP_1)
	v_mul_f64 v[14:15], v[14:15], v[16:17]
	v_add_f64 v[16:17], v[14:15], 1.0
	v_add_f64 v[22:23], v[14:15], -1.0
	s_delay_alu instid0(VALU_DEP_2) | instskip(SKIP_1) | instid1(VALU_DEP_1)
	v_rcp_f64_e32 v[18:19], v[16:17]
	v_add_f64 v[24:25], v[16:17], -1.0
	v_add_f64 v[14:15], v[14:15], -v[24:25]
	s_waitcnt_depctr 0xfff
	v_fma_f64 v[20:21], -v[16:17], v[18:19], 1.0
	s_delay_alu instid0(VALU_DEP_1) | instskip(NEXT) | instid1(VALU_DEP_1)
	v_fma_f64 v[18:19], v[20:21], v[18:19], v[18:19]
	v_fma_f64 v[20:21], -v[16:17], v[18:19], 1.0
	s_delay_alu instid0(VALU_DEP_1) | instskip(NEXT) | instid1(VALU_DEP_1)
	v_fma_f64 v[18:19], v[20:21], v[18:19], v[18:19]
	v_mul_f64 v[20:21], v[22:23], v[18:19]
	s_delay_alu instid0(VALU_DEP_1) | instskip(NEXT) | instid1(VALU_DEP_1)
	v_mul_f64 v[26:27], v[16:17], v[20:21]
	v_fma_f64 v[16:17], v[20:21], v[16:17], -v[26:27]
	s_delay_alu instid0(VALU_DEP_1) | instskip(NEXT) | instid1(VALU_DEP_1)
	v_fma_f64 v[14:15], v[20:21], v[14:15], v[16:17]
	v_add_f64 v[16:17], v[26:27], v[14:15]
	s_delay_alu instid0(VALU_DEP_1) | instskip(SKIP_1) | instid1(VALU_DEP_2)
	v_add_f64 v[24:25], v[22:23], -v[16:17]
	v_add_f64 v[26:27], v[16:17], -v[26:27]
	;; [unrolled: 1-line block ×3, first 2 shown]
	s_delay_alu instid0(VALU_DEP_2) | instskip(NEXT) | instid1(VALU_DEP_2)
	v_add_f64 v[14:15], v[26:27], -v[14:15]
	v_add_f64 v[16:17], v[22:23], -v[16:17]
	s_delay_alu instid0(VALU_DEP_1) | instskip(NEXT) | instid1(VALU_DEP_1)
	v_add_f64 v[14:15], v[14:15], v[16:17]
	v_add_f64 v[14:15], v[24:25], v[14:15]
	s_delay_alu instid0(VALU_DEP_1) | instskip(NEXT) | instid1(VALU_DEP_1)
	v_mul_f64 v[14:15], v[18:19], v[14:15]
	v_add_f64 v[16:17], v[20:21], v[14:15]
	s_delay_alu instid0(VALU_DEP_1) | instskip(NEXT) | instid1(VALU_DEP_1)
	v_mul_f64 v[18:19], v[16:17], v[16:17]
	v_fma_f64 v[22:23], v[18:19], s[8:9], s[6:7]
	s_mov_b32 s6, 0xd7f4df2e
	s_mov_b32 s7, 0x3fc7474d
	v_mul_f64 v[24:25], v[16:17], v[18:19]
	s_delay_alu instid0(VALU_DEP_2)
	v_fma_f64 v[22:23], v[18:19], v[22:23], s[6:7]
	s_mov_b32 s6, 0x16291751
	s_mov_b32 s7, 0x3fcc71c0
	s_delay_alu instid0(VALU_DEP_1) | instid1(SALU_CYCLE_1)
	v_fma_f64 v[22:23], v[18:19], v[22:23], s[6:7]
	s_mov_b32 s6, 0x9b27acf1
	s_mov_b32 s7, 0x3fd24924
	s_delay_alu instid0(VALU_DEP_1) | instid1(SALU_CYCLE_1)
	;; [unrolled: 4-line block ×3, first 2 shown]
	v_fma_f64 v[22:23], v[18:19], v[22:23], s[6:7]
	s_delay_alu instid0(VALU_DEP_1) | instskip(SKIP_4) | instid1(VALU_DEP_3)
	v_fma_f64 v[18:19], v[18:19], v[22:23], s[4:5]
	v_ldexp_f64 v[22:23], v[16:17], 1
	v_add_f64 v[16:17], v[16:17], -v[20:21]
	s_mov_b32 s4, 0xfefa39ef
	s_mov_b32 s5, 0x3fe62e42
	v_mul_f64 v[18:19], v[24:25], v[18:19]
	v_cvt_f64_i32_e32 v[24:25], v8
	s_delay_alu instid0(VALU_DEP_3) | instskip(NEXT) | instid1(VALU_DEP_3)
	v_add_f64 v[14:15], v[14:15], -v[16:17]
	v_add_f64 v[20:21], v[22:23], v[18:19]
	s_delay_alu instid0(VALU_DEP_3) | instskip(NEXT) | instid1(VALU_DEP_3)
	v_mul_f64 v[26:27], v[24:25], s[4:5]
	v_ldexp_f64 v[14:15], v[14:15], 1
	s_delay_alu instid0(VALU_DEP_3) | instskip(NEXT) | instid1(VALU_DEP_3)
	v_add_f64 v[16:17], v[20:21], -v[22:23]
	v_fma_f64 v[22:23], v[24:25], s[4:5], -v[26:27]
	s_mov_b32 s4, 0x3b39803f
	s_mov_b32 s5, 0x3c7abc9e
	s_delay_alu instid0(VALU_DEP_2) | instskip(NEXT) | instid1(VALU_DEP_2)
	v_add_f64 v[16:17], v[18:19], -v[16:17]
	v_fma_f64 v[18:19], v[24:25], s[4:5], v[22:23]
	s_delay_alu instid0(VALU_DEP_2) | instskip(NEXT) | instid1(VALU_DEP_2)
	v_add_f64 v[14:15], v[14:15], v[16:17]
	v_add_f64 v[16:17], v[26:27], v[18:19]
	s_delay_alu instid0(VALU_DEP_2) | instskip(NEXT) | instid1(VALU_DEP_2)
	v_add_f64 v[22:23], v[20:21], v[14:15]
	v_add_f64 v[26:27], v[16:17], -v[26:27]
	s_delay_alu instid0(VALU_DEP_2) | instskip(SKIP_1) | instid1(VALU_DEP_3)
	v_add_f64 v[24:25], v[16:17], v[22:23]
	v_add_f64 v[20:21], v[22:23], -v[20:21]
	v_add_f64 v[18:19], v[18:19], -v[26:27]
	s_delay_alu instid0(VALU_DEP_3) | instskip(NEXT) | instid1(VALU_DEP_3)
	v_add_f64 v[28:29], v[24:25], -v[16:17]
	v_add_f64 v[14:15], v[14:15], -v[20:21]
	s_delay_alu instid0(VALU_DEP_2) | instskip(SKIP_1) | instid1(VALU_DEP_3)
	v_add_f64 v[30:31], v[24:25], -v[28:29]
	v_add_f64 v[20:21], v[22:23], -v[28:29]
	v_add_f64 v[22:23], v[18:19], v[14:15]
	s_delay_alu instid0(VALU_DEP_3) | instskip(NEXT) | instid1(VALU_DEP_1)
	v_add_f64 v[16:17], v[16:17], -v[30:31]
	v_add_f64 v[16:17], v[20:21], v[16:17]
	s_delay_alu instid0(VALU_DEP_3) | instskip(NEXT) | instid1(VALU_DEP_2)
	v_add_f64 v[20:21], v[22:23], -v[18:19]
	v_add_f64 v[16:17], v[22:23], v[16:17]
	s_delay_alu instid0(VALU_DEP_2) | instskip(SKIP_1) | instid1(VALU_DEP_3)
	v_add_f64 v[22:23], v[22:23], -v[20:21]
	v_add_f64 v[14:15], v[14:15], -v[20:21]
	v_add_f64 v[26:27], v[24:25], v[16:17]
	s_delay_alu instid0(VALU_DEP_3) | instskip(NEXT) | instid1(VALU_DEP_2)
	v_add_f64 v[18:19], v[18:19], -v[22:23]
	v_add_f64 v[20:21], v[26:27], -v[24:25]
	s_delay_alu instid0(VALU_DEP_2) | instskip(NEXT) | instid1(VALU_DEP_2)
	v_add_f64 v[14:15], v[14:15], v[18:19]
	v_add_f64 v[16:17], v[16:17], -v[20:21]
	s_delay_alu instid0(VALU_DEP_1) | instskip(NEXT) | instid1(VALU_DEP_1)
	v_add_f64 v[14:15], v[14:15], v[16:17]
	v_add_f64 v[14:15], v[26:27], v[14:15]
	s_delay_alu instid0(VALU_DEP_1) | instskip(NEXT) | instid1(VALU_DEP_2)
	v_cndmask_b32_e32 v8, v14, v0, vcc_lo
	v_cndmask_b32_e32 v12, v15, v13, vcc_lo
	v_cmp_neq_f64_e32 vcc_lo, 0, v[0:1]
	s_delay_alu instid0(VALU_DEP_2) | instskip(NEXT) | instid1(VALU_DEP_4)
	v_cndmask_b32_e32 v15, 0xfff00000, v12, vcc_lo
	v_cndmask_b32_e32 v14, 0, v8, vcc_lo
	s_delay_alu instid0(VALU_DEP_1)
	v_fma_f64 v[14:15], |v[0:1]|, v[14:15], -|v[0:1]|
.LBB2_41:
	s_and_not1_saveexec_b32 s3, s3
	s_cbranch_execz .LBB2_43
; %bb.42:
	v_frexp_mant_f64_e64 v[14:15], |v[0:1]|
	s_mov_b32 s5, 0x3fe55555
	s_mov_b32 s4, 0x55555555
	v_mov_b32_e32 v16, 0
	s_mov_b32 s6, 0x6b47b09a
	s_mov_b32 s8, 0xbf559e2b
	;; [unrolled: 1-line block ×4, first 2 shown]
	v_frexp_exp_i32_f64_e32 v8, v[0:1]
	v_mov_b32_e32 v12, v0
	s_delay_alu instid0(VALU_DEP_4) | instskip(SKIP_2) | instid1(VALU_DEP_4)
	v_cmp_gt_f64_e32 vcc_lo, s[4:5], v[14:15]
	s_mov_b32 s4, 0x55555780
	v_cndmask_b32_e64 v17, 0x3ff00000, 2.0, vcc_lo
	v_subrev_co_ci_u32_e32 v8, vcc_lo, 0, v8, vcc_lo
	v_div_scale_f64 v[34:35], vcc_lo, 1.0, v[12:13], 1.0
	s_delay_alu instid0(VALU_DEP_3) | instskip(NEXT) | instid1(VALU_DEP_1)
	v_mul_f64 v[14:15], v[14:15], v[16:17]
	v_add_f64 v[16:17], v[14:15], 1.0
	v_add_f64 v[22:23], v[14:15], -1.0
	s_delay_alu instid0(VALU_DEP_2) | instskip(SKIP_1) | instid1(VALU_DEP_1)
	v_rcp_f64_e32 v[18:19], v[16:17]
	v_add_f64 v[24:25], v[16:17], -1.0
	v_add_f64 v[14:15], v[14:15], -v[24:25]
	s_waitcnt_depctr 0xfff
	v_fma_f64 v[20:21], -v[16:17], v[18:19], 1.0
	s_delay_alu instid0(VALU_DEP_1) | instskip(NEXT) | instid1(VALU_DEP_1)
	v_fma_f64 v[18:19], v[20:21], v[18:19], v[18:19]
	v_fma_f64 v[20:21], -v[16:17], v[18:19], 1.0
	s_delay_alu instid0(VALU_DEP_1) | instskip(NEXT) | instid1(VALU_DEP_1)
	v_fma_f64 v[18:19], v[20:21], v[18:19], v[18:19]
	v_mul_f64 v[20:21], v[22:23], v[18:19]
	s_delay_alu instid0(VALU_DEP_1) | instskip(NEXT) | instid1(VALU_DEP_1)
	v_mul_f64 v[26:27], v[16:17], v[20:21]
	v_fma_f64 v[16:17], v[20:21], v[16:17], -v[26:27]
	s_delay_alu instid0(VALU_DEP_1) | instskip(NEXT) | instid1(VALU_DEP_1)
	v_fma_f64 v[14:15], v[20:21], v[14:15], v[16:17]
	v_add_f64 v[16:17], v[26:27], v[14:15]
	s_delay_alu instid0(VALU_DEP_1) | instskip(SKIP_1) | instid1(VALU_DEP_2)
	v_add_f64 v[24:25], v[22:23], -v[16:17]
	v_add_f64 v[26:27], v[16:17], -v[26:27]
	;; [unrolled: 1-line block ×3, first 2 shown]
	s_delay_alu instid0(VALU_DEP_2) | instskip(SKIP_1) | instid1(VALU_DEP_3)
	v_add_f64 v[14:15], v[26:27], -v[14:15]
	v_div_scale_f64 v[26:27], null, v[12:13], v[12:13], 1.0
	v_add_f64 v[16:17], v[22:23], -v[16:17]
	s_delay_alu instid0(VALU_DEP_1) | instskip(NEXT) | instid1(VALU_DEP_1)
	v_add_f64 v[14:15], v[14:15], v[16:17]
	v_add_f64 v[14:15], v[24:25], v[14:15]
	s_delay_alu instid0(VALU_DEP_1) | instskip(NEXT) | instid1(VALU_DEP_1)
	v_mul_f64 v[14:15], v[18:19], v[14:15]
	v_add_f64 v[16:17], v[20:21], v[14:15]
	s_delay_alu instid0(VALU_DEP_1) | instskip(NEXT) | instid1(VALU_DEP_1)
	v_mul_f64 v[18:19], v[16:17], v[16:17]
	v_fma_f64 v[22:23], v[18:19], s[8:9], s[6:7]
	s_mov_b32 s6, 0xd7f4df2e
	s_mov_b32 s7, 0x3fc7474d
	v_mul_f64 v[24:25], v[16:17], v[18:19]
	s_delay_alu instid0(VALU_DEP_2)
	v_fma_f64 v[22:23], v[18:19], v[22:23], s[6:7]
	s_mov_b32 s6, 0x16291751
	s_mov_b32 s7, 0x3fcc71c0
	s_delay_alu instid0(VALU_DEP_1) | instid1(SALU_CYCLE_1)
	v_fma_f64 v[22:23], v[18:19], v[22:23], s[6:7]
	s_mov_b32 s6, 0x9b27acf1
	s_mov_b32 s7, 0x3fd24924
	s_delay_alu instid0(VALU_DEP_1) | instid1(SALU_CYCLE_1)
	;; [unrolled: 4-line block ×3, first 2 shown]
	v_fma_f64 v[22:23], v[18:19], v[22:23], s[6:7]
	s_mov_b32 s6, 0xb9e43e4
	s_mov_b32 s7, 0xbf5ab89d
	s_delay_alu instid0(VALU_DEP_1) | instskip(SKIP_4) | instid1(VALU_DEP_3)
	v_fma_f64 v[18:19], v[18:19], v[22:23], s[4:5]
	v_ldexp_f64 v[22:23], v[16:17], 1
	v_add_f64 v[16:17], v[16:17], -v[20:21]
	s_mov_b32 s4, 0xfefa39ef
	s_mov_b32 s5, 0x3fe62e42
	v_mul_f64 v[18:19], v[24:25], v[18:19]
	v_cvt_f64_i32_e32 v[24:25], v8
	s_delay_alu instid0(VALU_DEP_3) | instskip(NEXT) | instid1(VALU_DEP_3)
	v_add_f64 v[14:15], v[14:15], -v[16:17]
	v_add_f64 v[20:21], v[22:23], v[18:19]
	s_delay_alu instid0(VALU_DEP_3) | instskip(NEXT) | instid1(VALU_DEP_3)
	v_mul_f64 v[28:29], v[24:25], s[4:5]
	v_ldexp_f64 v[14:15], v[14:15], 1
	s_delay_alu instid0(VALU_DEP_3) | instskip(SKIP_1) | instid1(VALU_DEP_3)
	v_add_f64 v[16:17], v[20:21], -v[22:23]
	v_rcp_f64_e32 v[22:23], v[26:27]
	v_fma_f64 v[30:31], v[24:25], s[4:5], -v[28:29]
	s_mov_b32 s4, 0x3b39803f
	s_mov_b32 s5, 0x3c7abc9e
	s_delay_alu instid0(VALU_DEP_2) | instskip(NEXT) | instid1(VALU_DEP_2)
	v_add_f64 v[16:17], v[18:19], -v[16:17]
	v_fma_f64 v[24:25], v[24:25], s[4:5], v[30:31]
	s_waitcnt_depctr 0xfff
	v_fma_f64 v[18:19], -v[26:27], v[22:23], 1.0
	s_mov_b32 s4, 0x4cdad5d1
	s_mov_b32 s5, 0x3f4b67ba
	v_add_f64 v[14:15], v[14:15], v[16:17]
	s_delay_alu instid0(VALU_DEP_2) | instskip(SKIP_1) | instid1(VALU_DEP_3)
	v_fma_f64 v[16:17], v[22:23], v[18:19], v[22:23]
	v_add_f64 v[18:19], v[28:29], v[24:25]
	v_add_f64 v[22:23], v[20:21], v[14:15]
	s_delay_alu instid0(VALU_DEP_3) | instskip(NEXT) | instid1(VALU_DEP_3)
	v_fma_f64 v[30:31], -v[26:27], v[16:17], 1.0
	v_add_f64 v[28:29], v[18:19], -v[28:29]
	s_delay_alu instid0(VALU_DEP_3) | instskip(SKIP_1) | instid1(VALU_DEP_4)
	v_add_f64 v[32:33], v[18:19], v[22:23]
	v_add_f64 v[20:21], v[22:23], -v[20:21]
	v_fma_f64 v[16:17], v[16:17], v[30:31], v[16:17]
	s_delay_alu instid0(VALU_DEP_4) | instskip(NEXT) | instid1(VALU_DEP_4)
	v_add_f64 v[24:25], v[24:25], -v[28:29]
	v_add_f64 v[30:31], v[32:33], -v[18:19]
	s_delay_alu instid0(VALU_DEP_4) | instskip(NEXT) | instid1(VALU_DEP_4)
	v_add_f64 v[14:15], v[14:15], -v[20:21]
	v_mul_f64 v[36:37], v[34:35], v[16:17]
	s_delay_alu instid0(VALU_DEP_3) | instskip(SKIP_1) | instid1(VALU_DEP_4)
	v_add_f64 v[38:39], v[32:33], -v[30:31]
	v_add_f64 v[20:21], v[22:23], -v[30:31]
	v_add_f64 v[22:23], v[24:25], v[14:15]
	s_delay_alu instid0(VALU_DEP_4) | instskip(NEXT) | instid1(VALU_DEP_4)
	v_fma_f64 v[26:27], -v[26:27], v[36:37], v[34:35]
	v_add_f64 v[18:19], v[18:19], -v[38:39]
	s_delay_alu instid0(VALU_DEP_2) | instskip(SKIP_1) | instid1(VALU_DEP_3)
	v_div_fmas_f64 v[16:17], v[26:27], v[16:17], v[36:37]
	v_cmp_class_f64_e64 vcc_lo, v[0:1], 0x204
	v_add_f64 v[18:19], v[20:21], v[18:19]
	v_add_f64 v[20:21], v[22:23], -v[24:25]
	s_delay_alu instid0(VALU_DEP_4) | instskip(NEXT) | instid1(VALU_DEP_3)
	v_div_fixup_f64 v[16:17], v[16:17], |v[0:1]|, 1.0
	v_add_f64 v[18:19], v[22:23], v[18:19]
	s_delay_alu instid0(VALU_DEP_3) | instskip(SKIP_1) | instid1(VALU_DEP_4)
	v_add_f64 v[22:23], v[22:23], -v[20:21]
	v_add_f64 v[14:15], v[14:15], -v[20:21]
	v_mul_f64 v[26:27], v[16:17], v[16:17]
	s_delay_alu instid0(VALU_DEP_4) | instskip(NEXT) | instid1(VALU_DEP_4)
	v_add_f64 v[28:29], v[32:33], v[18:19]
	v_add_f64 v[20:21], v[24:25], -v[22:23]
	s_delay_alu instid0(VALU_DEP_3) | instskip(SKIP_2) | instid1(VALU_DEP_3)
	v_fma_f64 v[30:31], v[26:27], s[6:7], s[4:5]
	s_mov_b32 s4, 0x8c0fe741
	s_mov_b32 s5, 0xbf4380cb
	v_add_f64 v[22:23], v[28:29], -v[32:33]
	s_delay_alu instid0(VALU_DEP_3) | instskip(NEXT) | instid1(VALU_DEP_3)
	v_add_f64 v[14:15], v[14:15], v[20:21]
	v_fma_f64 v[24:25], v[26:27], v[30:31], s[4:5]
	s_mov_b32 s4, 0x98cf38b6
	s_mov_b32 s5, 0x3f4a019f
	s_delay_alu instid0(VALU_DEP_3) | instskip(NEXT) | instid1(VALU_DEP_2)
	v_add_f64 v[18:19], v[18:19], -v[22:23]
	v_fma_f64 v[20:21], v[26:27], v[24:25], s[4:5]
	s_mov_b32 s4, 0x16b02e5c
	s_mov_b32 s5, 0xbf66c16c
	s_delay_alu instid0(VALU_DEP_2) | instskip(NEXT) | instid1(VALU_DEP_2)
	v_add_f64 v[14:15], v[14:15], v[18:19]
	v_fma_f64 v[18:19], v[26:27], v[20:21], s[4:5]
	s_mov_b32 s4, 0x5555553b
	s_mov_b32 s5, 0x3fb55555
	v_add_f64 v[20:21], |v[0:1]|, -0.5
	s_delay_alu instid0(VALU_DEP_3) | instskip(NEXT) | instid1(VALU_DEP_3)
	v_add_f64 v[14:15], v[28:29], v[14:15]
	v_fma_f64 v[18:19], v[26:27], v[18:19], s[4:5]
	s_mov_b32 s4, 0x90c97d69
	s_mov_b32 s5, 0x3fdacfe3
	s_delay_alu instid0(VALU_DEP_2) | instskip(SKIP_1) | instid1(VALU_DEP_3)
	v_dual_cndmask_b32 v15, v15, v13 :: v_dual_cndmask_b32 v14, v14, v12
	v_cmp_neq_f64_e32 vcc_lo, 0, v[0:1]
	v_fma_f64 v[16:17], v[16:17], v[18:19], s[4:5]
	s_delay_alu instid0(VALU_DEP_3) | instskip(NEXT) | instid1(VALU_DEP_1)
	v_add_f64 v[14:15], v[14:15], -1.0
	v_cndmask_b32_e32 v15, 0xfff00000, v15, vcc_lo
	s_delay_alu instid0(VALU_DEP_2) | instskip(NEXT) | instid1(VALU_DEP_1)
	v_cndmask_b32_e32 v14, 0, v14, vcc_lo
	v_fma_f64 v[14:15], v[20:21], v[14:15], v[16:17]
.LBB2_43:
	s_or_b32 exec_lo, exec_lo, s3
.LBB2_44:
	s_and_not1_saveexec_b32 s3, s0
	s_cbranch_execz .LBB2_46
; %bb.45:
	v_cvt_i32_f64_e32 v8, v[12:13]
	s_mov_b32 s5, 0x3fe55555
	s_mov_b32 s4, 0x55555555
	;; [unrolled: 1-line block ×6, first 2 shown]
	s_delay_alu instid0(VALU_DEP_1) | instskip(SKIP_2) | instid1(VALU_DEP_3)
	v_cvt_f64_i32_e32 v[14:15], v8
	v_cmp_lt_i32_e32 vcc_lo, 2, v8
	v_cmp_lt_i32_e64 s0, 3, v8
	v_add_f64 v[14:15], |v[0:1]|, -v[14:15]
	s_delay_alu instid0(VALU_DEP_1) | instskip(SKIP_2) | instid1(VALU_DEP_3)
	v_add_f64 v[16:17], v[14:15], 2.0
	v_add_f64 v[18:19], 0x40080000, v[14:15]
	v_add_f64 v[20:21], v[14:15], 4.0
	v_cndmask_b32_e32 v17, 0x3ff00000, v17, vcc_lo
	s_delay_alu instid0(VALU_DEP_4) | instskip(NEXT) | instid1(VALU_DEP_4)
	v_cndmask_b32_e32 v16, 0, v16, vcc_lo
	v_cndmask_b32_e64 v19, 0x3ff00000, v19, s0
	v_cndmask_b32_e64 v18, 0, v18, s0
	v_cmp_lt_i32_e32 vcc_lo, 4, v8
	s_delay_alu instid0(VALU_DEP_2) | instskip(SKIP_4) | instid1(VALU_DEP_2)
	v_mul_f64 v[16:17], v[16:17], v[18:19]
	v_add_f64 v[18:19], 0x40140000, v[14:15]
	v_cndmask_b32_e32 v21, 0x3ff00000, v21, vcc_lo
	v_cndmask_b32_e32 v20, 0, v20, vcc_lo
	v_cmp_lt_i32_e32 vcc_lo, 5, v8
	v_mul_f64 v[16:17], v[20:21], v[16:17]
	v_add_f64 v[20:21], 0x40180000, v[14:15]
	v_cndmask_b32_e32 v19, 0x3ff00000, v19, vcc_lo
	v_cndmask_b32_e32 v18, 0, v18, vcc_lo
	v_cmp_lt_i32_e32 vcc_lo, 6, v8
	s_delay_alu instid0(VALU_DEP_2) | instskip(SKIP_3) | instid1(VALU_DEP_2)
	v_mul_f64 v[16:17], v[18:19], v[16:17]
	v_cndmask_b32_e32 v19, 0x3ff00000, v21, vcc_lo
	v_cndmask_b32_e32 v18, 0, v20, vcc_lo
	v_mov_b32_e32 v20, 0
	v_mul_f64 v[16:17], v[18:19], v[16:17]
	s_delay_alu instid0(VALU_DEP_1) | instskip(SKIP_1) | instid1(VALU_DEP_2)
	v_frexp_mant_f64_e32 v[18:19], v[16:17]
	v_frexp_exp_i32_f64_e32 v8, v[16:17]
	v_cmp_gt_f64_e32 vcc_lo, s[4:5], v[18:19]
	s_mov_b32 s4, 0x55555780
	v_cndmask_b32_e64 v21, 0x3ff00000, 2.0, vcc_lo
	s_delay_alu instid0(VALU_DEP_3) | instskip(NEXT) | instid1(VALU_DEP_2)
	v_subrev_co_ci_u32_e32 v8, vcc_lo, 0, v8, vcc_lo
	v_mul_f64 v[18:19], v[18:19], v[20:21]
	s_delay_alu instid0(VALU_DEP_2) | instskip(NEXT) | instid1(VALU_DEP_2)
	v_cvt_f64_i32_e32 v[32:33], v8
	v_add_f64 v[20:21], v[18:19], 1.0
	v_add_f64 v[26:27], v[18:19], -1.0
	s_delay_alu instid0(VALU_DEP_2) | instskip(SKIP_1) | instid1(VALU_DEP_1)
	v_rcp_f64_e32 v[22:23], v[20:21]
	v_add_f64 v[28:29], v[20:21], -1.0
	v_add_f64 v[18:19], v[18:19], -v[28:29]
	s_waitcnt_depctr 0xfff
	v_fma_f64 v[24:25], -v[20:21], v[22:23], 1.0
	s_delay_alu instid0(VALU_DEP_1) | instskip(NEXT) | instid1(VALU_DEP_1)
	v_fma_f64 v[22:23], v[24:25], v[22:23], v[22:23]
	v_fma_f64 v[24:25], -v[20:21], v[22:23], 1.0
	s_delay_alu instid0(VALU_DEP_1) | instskip(NEXT) | instid1(VALU_DEP_1)
	v_fma_f64 v[22:23], v[24:25], v[22:23], v[22:23]
	v_mul_f64 v[24:25], v[26:27], v[22:23]
	s_delay_alu instid0(VALU_DEP_1) | instskip(NEXT) | instid1(VALU_DEP_1)
	v_mul_f64 v[30:31], v[20:21], v[24:25]
	v_fma_f64 v[20:21], v[24:25], v[20:21], -v[30:31]
	s_delay_alu instid0(VALU_DEP_1) | instskip(NEXT) | instid1(VALU_DEP_1)
	v_fma_f64 v[18:19], v[24:25], v[18:19], v[20:21]
	v_add_f64 v[20:21], v[30:31], v[18:19]
	s_delay_alu instid0(VALU_DEP_1) | instskip(SKIP_1) | instid1(VALU_DEP_2)
	v_add_f64 v[28:29], v[26:27], -v[20:21]
	v_add_f64 v[30:31], v[20:21], -v[30:31]
	;; [unrolled: 1-line block ×3, first 2 shown]
	s_delay_alu instid0(VALU_DEP_2) | instskip(NEXT) | instid1(VALU_DEP_2)
	v_add_f64 v[18:19], v[30:31], -v[18:19]
	v_add_f64 v[20:21], v[26:27], -v[20:21]
	s_delay_alu instid0(VALU_DEP_1) | instskip(NEXT) | instid1(VALU_DEP_1)
	v_add_f64 v[18:19], v[18:19], v[20:21]
	v_add_f64 v[18:19], v[28:29], v[18:19]
	s_delay_alu instid0(VALU_DEP_1) | instskip(NEXT) | instid1(VALU_DEP_1)
	v_mul_f64 v[18:19], v[22:23], v[18:19]
	v_add_f64 v[20:21], v[24:25], v[18:19]
	s_delay_alu instid0(VALU_DEP_1) | instskip(SKIP_1) | instid1(VALU_DEP_2)
	v_mul_f64 v[22:23], v[20:21], v[20:21]
	v_ldexp_f64 v[30:31], v[20:21], 1
	v_fma_f64 v[26:27], v[22:23], s[8:9], s[6:7]
	s_mov_b32 s6, 0xd7f4df2e
	s_mov_b32 s7, 0x3fc7474d
	v_mul_f64 v[28:29], v[20:21], v[22:23]
	s_mov_b32 s8, 0x7e939961
	s_mov_b32 s9, 0x3f9b481c
	v_add_f64 v[20:21], v[20:21], -v[24:25]
	s_delay_alu instid0(VALU_DEP_3) | instskip(SKIP_2) | instid1(VALU_DEP_2)
	v_fma_f64 v[26:27], v[22:23], v[26:27], s[6:7]
	s_mov_b32 s6, 0x16291751
	s_mov_b32 s7, 0x3fcc71c0
	v_add_f64 v[18:19], v[18:19], -v[20:21]
	s_delay_alu instid0(VALU_DEP_2) | instskip(SKIP_2) | instid1(VALU_DEP_2)
	v_fma_f64 v[26:27], v[22:23], v[26:27], s[6:7]
	s_mov_b32 s6, 0x9b27acf1
	s_mov_b32 s7, 0x3fd24924
	v_ldexp_f64 v[18:19], v[18:19], 1
	s_delay_alu instid0(VALU_DEP_2)
	v_fma_f64 v[26:27], v[22:23], v[26:27], s[6:7]
	s_mov_b32 s6, 0x998ef7b6
	s_mov_b32 s7, 0x3fd99999
	s_delay_alu instid0(VALU_DEP_1) | instid1(SALU_CYCLE_1)
	v_fma_f64 v[26:27], v[22:23], v[26:27], s[6:7]
	s_mov_b32 s6, 0xdd17e945
	s_mov_b32 s7, 0x3f00bfec
	s_delay_alu instid0(VALU_DEP_1) | instskip(SKIP_2) | instid1(SALU_CYCLE_1)
	v_fma_f64 v[22:23], v[22:23], v[26:27], s[4:5]
	s_mov_b32 s4, 0x7368f239
	s_mov_b32 s5, 0x3f5e26b6
	v_fma_f64 v[26:27], v[14:15], s[6:7], s[4:5]
	s_mov_b32 s4, 0xca41a95b
	s_mov_b32 s6, 0xa5b38140
	;; [unrolled: 1-line block ×4, first 2 shown]
	s_delay_alu instid0(VALU_DEP_2) | instskip(SKIP_3) | instid1(VALU_DEP_3)
	v_mul_f64 v[22:23], v[28:29], v[22:23]
	v_fma_f64 v[28:29], v[14:15], s[6:7], s[4:5]
	s_mov_b32 s4, 0x742ed475
	s_mov_b32 s5, 0x3f9317ea
	v_fma_f64 v[26:27], v[14:15], v[26:27], s[8:9]
	s_mov_b32 s6, 0xbee5f2f7
	s_mov_b32 s7, 0x3fc2bb9c
	;; [unrolled: 1-line block ×4, first 2 shown]
	s_delay_alu instid0(VALU_DEP_3) | instskip(NEXT) | instid1(VALU_DEP_3)
	v_add_f64 v[24:25], v[30:31], v[22:23]
	v_fma_f64 v[28:29], v[14:15], v[28:29], s[4:5]
	s_mov_b32 s4, 0xfefa39ef
	s_mov_b32 s5, 0x3fe62e42
	s_delay_alu instid0(VALU_DEP_3) | instskip(SKIP_3) | instid1(VALU_DEP_4)
	v_fma_f64 v[26:27], v[14:15], v[26:27], s[6:7]
	v_mul_f64 v[34:35], v[32:33], s[4:5]
	s_mov_b32 s6, 0xccfbdf27
	s_mov_b32 s7, 0x3fc601ed
	v_add_f64 v[20:21], v[24:25], -v[30:31]
	s_delay_alu instid0(VALU_DEP_4) | instskip(SKIP_2) | instid1(VALU_DEP_4)
	v_fma_f64 v[28:29], v[14:15], v[28:29], s[6:7]
	s_mov_b32 s6, 0x36e20878
	s_mov_b32 s7, 0x3fcb848b
	v_fma_f64 v[26:27], v[14:15], v[26:27], s[8:9]
	s_delay_alu instid0(VALU_DEP_4) | instskip(SKIP_2) | instid1(VALU_DEP_4)
	v_fma_f64 v[30:31], v[32:33], s[4:5], -v[34:35]
	s_mov_b32 s4, 0x93d3dcdc
	s_mov_b32 s5, 0x3fe71a18
	v_add_f64 v[20:21], v[22:23], -v[20:21]
	s_delay_alu instid0(VALU_DEP_4) | instskip(SKIP_2) | instid1(VALU_DEP_4)
	v_fma_f64 v[22:23], v[14:15], v[28:29], s[4:5]
	s_mov_b32 s4, 0x3b39803f
	s_mov_b32 s5, 0x3c7abc9e
	v_fma_f64 v[26:27], v[14:15], v[26:27], s[6:7]
	s_delay_alu instid0(VALU_DEP_4) | instskip(SKIP_4) | instid1(VALU_DEP_4)
	v_fma_f64 v[28:29], v[32:33], s[4:5], v[30:31]
	s_mov_b32 s4, 0x62c4ab74
	s_mov_b32 s6, 0xe37db0c8
	;; [unrolled: 1-line block ×4, first 2 shown]
	v_add_f64 v[18:19], v[18:19], v[20:21]
	s_delay_alu instid0(VALU_DEP_4) | instskip(NEXT) | instid1(VALU_DEP_4)
	v_fma_f64 v[20:21], v[14:15], v[22:23], s[4:5]
	v_fma_f64 v[22:23], v[14:15], v[26:27], s[6:7]
	s_delay_alu instid0(VALU_DEP_4) | instskip(NEXT) | instid1(VALU_DEP_4)
	v_add_f64 v[26:27], v[34:35], v[28:29]
	v_add_f64 v[30:31], v[24:25], v[18:19]
	s_delay_alu instid0(VALU_DEP_4) | instskip(NEXT) | instid1(VALU_DEP_4)
	v_fma_f64 v[20:21], v[14:15], v[20:21], 1.0
	v_mul_f64 v[22:23], v[14:15], v[22:23]
	s_delay_alu instid0(VALU_DEP_4) | instskip(NEXT) | instid1(VALU_DEP_4)
	v_add_f64 v[34:35], v[26:27], -v[34:35]
	v_add_f64 v[32:33], v[26:27], v[30:31]
	v_add_f64 v[24:25], v[30:31], -v[24:25]
	s_delay_alu instid0(VALU_DEP_4) | instskip(NEXT) | instid1(VALU_DEP_4)
	v_div_scale_f64 v[36:37], null, v[20:21], v[20:21], v[22:23]
	v_add_f64 v[28:29], v[28:29], -v[34:35]
	s_delay_alu instid0(VALU_DEP_4) | instskip(NEXT) | instid1(VALU_DEP_4)
	v_add_f64 v[38:39], v[32:33], -v[26:27]
	v_add_f64 v[18:19], v[18:19], -v[24:25]
	s_delay_alu instid0(VALU_DEP_4) | instskip(NEXT) | instid1(VALU_DEP_2)
	v_rcp_f64_e32 v[48:49], v[36:37]
	v_add_f64 v[50:51], v[32:33], -v[38:39]
	v_add_f64 v[24:25], v[30:31], -v[38:39]
	s_delay_alu instid0(VALU_DEP_3) | instskip(SKIP_4) | instid1(VALU_DEP_3)
	v_add_f64 v[34:35], v[28:29], v[18:19]
	s_waitcnt_depctr 0xfff
	v_fma_f64 v[52:53], -v[36:37], v[48:49], 1.0
	v_add_f64 v[26:27], v[26:27], -v[50:51]
	v_add_f64 v[38:39], v[34:35], -v[28:29]
	v_fma_f64 v[30:31], v[48:49], v[52:53], v[48:49]
	v_div_scale_f64 v[48:49], vcc_lo, v[22:23], v[20:21], v[22:23]
	s_delay_alu instid0(VALU_DEP_4) | instskip(NEXT) | instid1(VALU_DEP_4)
	v_add_f64 v[24:25], v[24:25], v[26:27]
	v_add_f64 v[18:19], v[18:19], -v[38:39]
	s_delay_alu instid0(VALU_DEP_4) | instskip(NEXT) | instid1(VALU_DEP_3)
	v_fma_f64 v[26:27], -v[36:37], v[30:31], 1.0
	v_add_f64 v[24:25], v[34:35], v[24:25]
	s_delay_alu instid0(VALU_DEP_2) | instskip(SKIP_1) | instid1(VALU_DEP_3)
	v_fma_f64 v[26:27], v[30:31], v[26:27], v[30:31]
	v_add_f64 v[30:31], v[34:35], -v[38:39]
	v_add_f64 v[34:35], v[32:33], v[24:25]
	s_delay_alu instid0(VALU_DEP_3) | instskip(NEXT) | instid1(VALU_DEP_3)
	v_mul_f64 v[50:51], v[48:49], v[26:27]
	v_add_f64 v[28:29], v[28:29], -v[30:31]
	s_delay_alu instid0(VALU_DEP_3) | instskip(NEXT) | instid1(VALU_DEP_3)
	v_add_f64 v[30:31], v[34:35], -v[32:33]
	v_fma_f64 v[32:33], -v[36:37], v[50:51], v[48:49]
	s_delay_alu instid0(VALU_DEP_3) | instskip(NEXT) | instid1(VALU_DEP_3)
	v_add_f64 v[18:19], v[18:19], v[28:29]
	v_add_f64 v[24:25], v[24:25], -v[30:31]
	s_delay_alu instid0(VALU_DEP_3) | instskip(SKIP_1) | instid1(VALU_DEP_3)
	v_div_fmas_f64 v[26:27], v[32:33], v[26:27], v[50:51]
	v_cmp_class_f64_e64 vcc_lo, v[16:17], 0x204
	v_add_f64 v[18:19], v[18:19], v[24:25]
	s_delay_alu instid0(VALU_DEP_3) | instskip(NEXT) | instid1(VALU_DEP_2)
	v_div_fixup_f64 v[20:21], v[26:27], v[20:21], v[22:23]
	v_add_f64 v[18:19], v[34:35], v[18:19]
	s_delay_alu instid0(VALU_DEP_2) | instskip(NEXT) | instid1(VALU_DEP_2)
	v_fma_f64 v[14:15], v[14:15], 0.5, v[20:21]
	v_cndmask_b32_e32 v8, v18, v16, vcc_lo
	s_delay_alu instid0(VALU_DEP_3) | instskip(SKIP_1) | instid1(VALU_DEP_2)
	v_cndmask_b32_e32 v12, v19, v17, vcc_lo
	v_cmp_ngt_f64_e32 vcc_lo, 0, v[16:17]
	v_cndmask_b32_e32 v12, 0x7ff80000, v12, vcc_lo
	v_cmp_nge_f64_e32 vcc_lo, 0, v[16:17]
	v_cndmask_b32_e32 v18, 0, v8, vcc_lo
	v_cmp_neq_f64_e32 vcc_lo, 0, v[16:17]
	s_delay_alu instid0(VALU_DEP_4) | instskip(NEXT) | instid1(VALU_DEP_1)
	v_cndmask_b32_e32 v19, 0xfff00000, v12, vcc_lo
	v_add_f64 v[14:15], v[14:15], v[18:19]
.LBB2_46:
	s_or_b32 exec_lo, exec_lo, s3
.LBB2_47:
	s_and_not1_saveexec_b32 s3, s1
	s_cbranch_execz .LBB2_61
; %bb.48:
	s_mov_b32 s4, exec_lo
                                        ; implicit-def: $sgpr0_sgpr1
                                        ; implicit-def: $vgpr8
                                        ; implicit-def: $vgpr16_vgpr17
	v_cmpx_lt_u32_e32 0x3feccccc, v13
	s_xor_b32 s4, exec_lo, s4
	s_cbranch_execz .LBB2_50
; %bb.49:
	s_mov_b32 s0, 0x6356be3f
	s_mov_b32 s1, 0xbff762d8
	v_add_f64 v[14:15], -|v[0:1]|, 2.0
	v_add_f64 v[16:17], |v[0:1]|, s[0:1]
	v_add_f64 v[18:19], |v[0:1]|, -1.0
	v_cmp_gt_u32_e32 vcc_lo, 0x3ffbb4c3, v13
	v_cmp_gt_u32_e64 s0, 0x3ff3b4c4, v13
	s_delay_alu instid0(VALU_DEP_4) | instskip(SKIP_2) | instid1(VALU_DEP_3)
	v_cndmask_b32_e32 v8, v14, v16, vcc_lo
	v_cndmask_b32_e32 v12, v15, v17, vcc_lo
	v_cndmask_b32_e64 v14, 0, 1, vcc_lo
	v_cndmask_b32_e64 v16, v8, v18, s0
	s_delay_alu instid0(VALU_DEP_3) | instskip(NEXT) | instid1(VALU_DEP_3)
	v_cndmask_b32_e64 v17, v12, v19, s0
	v_cndmask_b32_e64 v8, v14, 2, s0
	s_mov_b64 s[0:1], 0
.LBB2_50:
	s_or_saveexec_b32 s4, s4
	v_dual_mov_b32 v15, s1 :: v_dual_mov_b32 v14, s0
	s_xor_b32 exec_lo, exec_lo, s4
	s_cbranch_execz .LBB2_52
; %bb.51:
	v_frexp_mant_f64_e64 v[14:15], |v[0:1]|
	s_mov_b32 s1, 0x3fe55555
	s_mov_b32 s0, 0x55555555
	v_mov_b32_e32 v16, 0
	s_mov_b32 s6, 0x6b47b09a
	s_mov_b32 s8, 0xbf559e2b
	;; [unrolled: 1-line block ×4, first 2 shown]
	v_frexp_exp_i32_f64_e32 v8, v[0:1]
	s_delay_alu instid0(VALU_DEP_3) | instskip(SKIP_2) | instid1(VALU_DEP_3)
	v_cmp_gt_f64_e32 vcc_lo, s[0:1], v[14:15]
	s_mov_b32 s0, 0x55555780
	v_cndmask_b32_e64 v17, 0x3ff00000, 2.0, vcc_lo
	v_subrev_co_ci_u32_e32 v8, vcc_lo, 0, v8, vcc_lo
	v_cmp_class_f64_e64 vcc_lo, v[0:1], 0x204
	s_delay_alu instid0(VALU_DEP_3) | instskip(NEXT) | instid1(VALU_DEP_1)
	v_mul_f64 v[14:15], v[14:15], v[16:17]
	v_add_f64 v[16:17], v[14:15], 1.0
	v_add_f64 v[22:23], v[14:15], -1.0
	s_delay_alu instid0(VALU_DEP_2) | instskip(SKIP_1) | instid1(VALU_DEP_1)
	v_rcp_f64_e32 v[18:19], v[16:17]
	v_add_f64 v[24:25], v[16:17], -1.0
	v_add_f64 v[14:15], v[14:15], -v[24:25]
	s_waitcnt_depctr 0xfff
	v_fma_f64 v[20:21], -v[16:17], v[18:19], 1.0
	s_delay_alu instid0(VALU_DEP_1) | instskip(NEXT) | instid1(VALU_DEP_1)
	v_fma_f64 v[18:19], v[20:21], v[18:19], v[18:19]
	v_fma_f64 v[20:21], -v[16:17], v[18:19], 1.0
	s_delay_alu instid0(VALU_DEP_1) | instskip(NEXT) | instid1(VALU_DEP_1)
	v_fma_f64 v[18:19], v[20:21], v[18:19], v[18:19]
	v_mul_f64 v[20:21], v[22:23], v[18:19]
	s_delay_alu instid0(VALU_DEP_1) | instskip(NEXT) | instid1(VALU_DEP_1)
	v_mul_f64 v[26:27], v[16:17], v[20:21]
	v_fma_f64 v[16:17], v[20:21], v[16:17], -v[26:27]
	s_delay_alu instid0(VALU_DEP_1) | instskip(NEXT) | instid1(VALU_DEP_1)
	v_fma_f64 v[14:15], v[20:21], v[14:15], v[16:17]
	v_add_f64 v[16:17], v[26:27], v[14:15]
	s_delay_alu instid0(VALU_DEP_1) | instskip(SKIP_1) | instid1(VALU_DEP_2)
	v_add_f64 v[24:25], v[22:23], -v[16:17]
	v_add_f64 v[26:27], v[16:17], -v[26:27]
	;; [unrolled: 1-line block ×3, first 2 shown]
	s_delay_alu instid0(VALU_DEP_2) | instskip(NEXT) | instid1(VALU_DEP_2)
	v_add_f64 v[14:15], v[26:27], -v[14:15]
	v_add_f64 v[16:17], v[22:23], -v[16:17]
	s_delay_alu instid0(VALU_DEP_1) | instskip(NEXT) | instid1(VALU_DEP_1)
	v_add_f64 v[14:15], v[14:15], v[16:17]
	v_add_f64 v[14:15], v[24:25], v[14:15]
	s_delay_alu instid0(VALU_DEP_1) | instskip(NEXT) | instid1(VALU_DEP_1)
	v_mul_f64 v[14:15], v[18:19], v[14:15]
	v_add_f64 v[16:17], v[20:21], v[14:15]
	s_delay_alu instid0(VALU_DEP_1) | instskip(NEXT) | instid1(VALU_DEP_1)
	v_mul_f64 v[18:19], v[16:17], v[16:17]
	v_fma_f64 v[22:23], v[18:19], s[8:9], s[6:7]
	s_mov_b32 s6, 0xd7f4df2e
	s_mov_b32 s7, 0x3fc7474d
	v_mul_f64 v[24:25], v[16:17], v[18:19]
	s_delay_alu instid0(VALU_DEP_2)
	v_fma_f64 v[22:23], v[18:19], v[22:23], s[6:7]
	s_mov_b32 s6, 0x16291751
	s_mov_b32 s7, 0x3fcc71c0
	s_delay_alu instid0(VALU_DEP_1) | instid1(SALU_CYCLE_1)
	v_fma_f64 v[22:23], v[18:19], v[22:23], s[6:7]
	s_mov_b32 s6, 0x9b27acf1
	s_mov_b32 s7, 0x3fd24924
	s_delay_alu instid0(VALU_DEP_1) | instid1(SALU_CYCLE_1)
	;; [unrolled: 4-line block ×3, first 2 shown]
	v_fma_f64 v[22:23], v[18:19], v[22:23], s[6:7]
	s_delay_alu instid0(VALU_DEP_1) | instskip(SKIP_4) | instid1(VALU_DEP_3)
	v_fma_f64 v[18:19], v[18:19], v[22:23], s[0:1]
	v_ldexp_f64 v[22:23], v[16:17], 1
	v_add_f64 v[16:17], v[16:17], -v[20:21]
	s_mov_b32 s0, 0xfefa39ef
	s_mov_b32 s1, 0x3fe62e42
	v_mul_f64 v[18:19], v[24:25], v[18:19]
	v_cvt_f64_i32_e32 v[24:25], v8
	s_delay_alu instid0(VALU_DEP_3) | instskip(NEXT) | instid1(VALU_DEP_3)
	v_add_f64 v[14:15], v[14:15], -v[16:17]
	v_add_f64 v[20:21], v[22:23], v[18:19]
	s_delay_alu instid0(VALU_DEP_3) | instskip(NEXT) | instid1(VALU_DEP_3)
	v_mul_f64 v[26:27], v[24:25], s[0:1]
	v_ldexp_f64 v[14:15], v[14:15], 1
	s_delay_alu instid0(VALU_DEP_3) | instskip(NEXT) | instid1(VALU_DEP_3)
	v_add_f64 v[16:17], v[20:21], -v[22:23]
	v_fma_f64 v[22:23], v[24:25], s[0:1], -v[26:27]
	s_mov_b32 s0, 0x3b39803f
	s_mov_b32 s1, 0x3c7abc9e
	s_delay_alu instid0(VALU_DEP_2) | instskip(NEXT) | instid1(VALU_DEP_2)
	v_add_f64 v[16:17], v[18:19], -v[16:17]
	v_fma_f64 v[18:19], v[24:25], s[0:1], v[22:23]
	s_mov_b32 s0, 0x8d5af8fc
	s_mov_b32 s1, 0xbfdd8b61
	s_delay_alu instid0(VALU_DEP_2) | instskip(NEXT) | instid1(VALU_DEP_2)
	v_add_f64 v[14:15], v[14:15], v[16:17]
	v_add_f64 v[16:17], v[26:27], v[18:19]
	s_delay_alu instid0(VALU_DEP_2) | instskip(NEXT) | instid1(VALU_DEP_2)
	v_add_f64 v[22:23], v[20:21], v[14:15]
	v_add_f64 v[26:27], v[16:17], -v[26:27]
	s_delay_alu instid0(VALU_DEP_2) | instskip(SKIP_1) | instid1(VALU_DEP_3)
	v_add_f64 v[24:25], v[16:17], v[22:23]
	v_add_f64 v[20:21], v[22:23], -v[20:21]
	v_add_f64 v[18:19], v[18:19], -v[26:27]
	s_delay_alu instid0(VALU_DEP_3) | instskip(NEXT) | instid1(VALU_DEP_3)
	v_add_f64 v[28:29], v[24:25], -v[16:17]
	v_add_f64 v[14:15], v[14:15], -v[20:21]
	s_delay_alu instid0(VALU_DEP_2) | instskip(SKIP_1) | instid1(VALU_DEP_3)
	v_add_f64 v[30:31], v[24:25], -v[28:29]
	v_add_f64 v[20:21], v[22:23], -v[28:29]
	v_add_f64 v[22:23], v[18:19], v[14:15]
	s_delay_alu instid0(VALU_DEP_3) | instskip(NEXT) | instid1(VALU_DEP_1)
	v_add_f64 v[16:17], v[16:17], -v[30:31]
	v_add_f64 v[16:17], v[20:21], v[16:17]
	s_delay_alu instid0(VALU_DEP_3) | instskip(NEXT) | instid1(VALU_DEP_2)
	v_add_f64 v[20:21], v[22:23], -v[18:19]
	v_add_f64 v[16:17], v[22:23], v[16:17]
	s_delay_alu instid0(VALU_DEP_2) | instskip(SKIP_1) | instid1(VALU_DEP_3)
	v_add_f64 v[22:23], v[22:23], -v[20:21]
	v_add_f64 v[14:15], v[14:15], -v[20:21]
	v_add_f64 v[26:27], v[24:25], v[16:17]
	s_delay_alu instid0(VALU_DEP_3) | instskip(NEXT) | instid1(VALU_DEP_2)
	v_add_f64 v[18:19], v[18:19], -v[22:23]
	v_add_f64 v[20:21], v[26:27], -v[24:25]
	s_delay_alu instid0(VALU_DEP_2) | instskip(SKIP_4) | instid1(VALU_DEP_1)
	v_add_f64 v[14:15], v[14:15], v[18:19]
	v_add_f64 v[18:19], |v[0:1]|, s[0:1]
	v_cmp_gt_u32_e64 s0, 0x3fe76944, v13
	v_cmp_gt_u32_e64 s1, 0x3fcda661, v13
	v_add_f64 v[16:17], v[16:17], -v[20:21]
	v_add_f64 v[14:15], v[14:15], v[16:17]
	v_add_f64 v[16:17], -|v[0:1]|, 1.0
	s_delay_alu instid0(VALU_DEP_2) | instskip(NEXT) | instid1(VALU_DEP_1)
	v_add_f64 v[14:15], v[26:27], v[14:15]
	v_cndmask_b32_e32 v8, v14, v0, vcc_lo
	s_delay_alu instid0(VALU_DEP_2) | instskip(SKIP_4) | instid1(VALU_DEP_3)
	v_cndmask_b32_e64 v12, -v15, -v13, vcc_lo
	v_cmp_neq_f64_e32 vcc_lo, 0, v[0:1]
	v_cndmask_b32_e64 v14, v16, v18, s0
	v_cndmask_b32_e64 v15, v17, v19, s0
	;; [unrolled: 1-line block ×4, first 2 shown]
	s_delay_alu instid0(VALU_DEP_3)
	v_cndmask_b32_e64 v17, v15, v13, s1
	v_cndmask_b32_e32 v15, 0x7ff00000, v12, vcc_lo
	v_cndmask_b32_e32 v14, 0, v8, vcc_lo
	v_cndmask_b32_e64 v8, v18, 2, s1
.LBB2_52:
	s_or_b32 exec_lo, exec_lo, s4
	s_delay_alu instid0(SALU_CYCLE_1) | instskip(NEXT) | instid1(VALU_DEP_1)
	s_mov_b32 s0, exec_lo
                                        ; implicit-def: $vgpr20_vgpr21
	v_cmpx_lt_i32_e32 1, v8
	s_xor_b32 s0, exec_lo, s0
	s_cbranch_execz .LBB2_54
; %bb.53:
	s_mov_b32 s4, 0xf6010924
	s_mov_b32 s6, 0xbf2bab09
	s_mov_b32 s5, 0x3fcd4eae
	s_mov_b32 s7, 0x3f8b678b
	s_mov_b32 s8, 0x44ea8450
	v_fma_f64 v[18:19], v[16:17], s[6:7], s[4:5]
	s_mov_b32 s4, 0xd6537c88
	s_mov_b32 s6, 0x57d0cf61
	;; [unrolled: 1-line block ×5, first 2 shown]
	v_fma_f64 v[20:21], v[16:17], s[6:7], s[4:5]
	s_mov_b32 s4, 0xe45050af
	s_mov_b32 s6, 0xd119bd6f
	;; [unrolled: 1-line block ×4, first 2 shown]
                                        ; implicit-def: $vgpr8
	s_delay_alu instid0(VALU_DEP_2) | instskip(NEXT) | instid1(VALU_DEP_2)
	v_fma_f64 v[18:19], v[16:17], v[18:19], s[8:9]
	v_fma_f64 v[20:21], v[16:17], v[20:21], s[4:5]
	s_mov_b32 s4, 0xa42b18f5
	s_mov_b32 s5, 0x40010725
	s_delay_alu instid0(VALU_DEP_2) | instskip(SKIP_2) | instid1(VALU_DEP_2)
	v_fma_f64 v[18:19], v[16:17], v[18:19], s[6:7]
	s_mov_b32 s6, 0x8b005dff
	s_mov_b32 s7, 0x3fe4401e
	v_fma_f64 v[20:21], v[16:17], v[20:21], s[4:5]
	s_mov_b32 s4, 0xc2bd619c
	s_mov_b32 s5, 0x4003a5d7
	s_delay_alu instid0(VALU_DEP_2) | instskip(SKIP_2) | instid1(VALU_DEP_2)
	v_fma_f64 v[18:19], v[16:17], v[18:19], s[6:7]
	s_mov_b32 s6, 0xe37db0c8
	s_mov_b32 s7, 0xbfb3c467
	v_fma_f64 v[20:21], v[16:17], v[20:21], s[4:5]
	s_delay_alu instid0(VALU_DEP_2) | instskip(NEXT) | instid1(VALU_DEP_2)
	v_fma_f64 v[18:19], v[16:17], v[18:19], s[6:7]
	v_fma_f64 v[20:21], v[16:17], v[20:21], 1.0
	s_delay_alu instid0(VALU_DEP_2) | instskip(NEXT) | instid1(VALU_DEP_1)
	v_mul_f64 v[18:19], v[16:17], v[18:19]
	v_div_scale_f64 v[22:23], null, v[20:21], v[20:21], v[18:19]
	s_delay_alu instid0(VALU_DEP_1) | instskip(SKIP_2) | instid1(VALU_DEP_1)
	v_rcp_f64_e32 v[24:25], v[22:23]
	s_waitcnt_depctr 0xfff
	v_fma_f64 v[26:27], -v[22:23], v[24:25], 1.0
	v_fma_f64 v[24:25], v[24:25], v[26:27], v[24:25]
	s_delay_alu instid0(VALU_DEP_1) | instskip(NEXT) | instid1(VALU_DEP_1)
	v_fma_f64 v[26:27], -v[22:23], v[24:25], 1.0
	v_fma_f64 v[24:25], v[24:25], v[26:27], v[24:25]
	v_div_scale_f64 v[26:27], vcc_lo, v[18:19], v[20:21], v[18:19]
	s_delay_alu instid0(VALU_DEP_1) | instskip(NEXT) | instid1(VALU_DEP_1)
	v_mul_f64 v[28:29], v[26:27], v[24:25]
	v_fma_f64 v[22:23], -v[22:23], v[28:29], v[26:27]
	s_delay_alu instid0(VALU_DEP_1) | instskip(NEXT) | instid1(VALU_DEP_1)
	v_div_fmas_f64 v[22:23], v[22:23], v[24:25], v[28:29]
	v_div_fixup_f64 v[18:19], v[22:23], v[20:21], v[18:19]
	s_delay_alu instid0(VALU_DEP_1)
	v_fma_f64 v[20:21], v[16:17], -0.5, v[18:19]
                                        ; implicit-def: $vgpr16_vgpr17
.LBB2_54:
	s_and_not1_saveexec_b32 s0, s0
	s_cbranch_execz .LBB2_60
; %bb.55:
	v_mul_f64 v[18:19], v[16:17], v[16:17]
	s_mov_b32 s1, exec_lo
                                        ; implicit-def: $vgpr20_vgpr21
	v_cmpx_ne_u32_e32 1, v8
	s_xor_b32 s1, exec_lo, s1
	s_cbranch_execz .LBB2_57
; %bb.56:
	s_mov_b32 s4, 0x987dfb07
	s_mov_b32 s6, 0x90a45837
	s_mov_b32 s5, 0x3f1c5088
	s_mov_b32 s7, 0x3f07858e
	s_mov_b32 s8, 0x89b99c00
	s_delay_alu instid0(VALU_DEP_2)
	v_fma_f64 v[20:21], v[18:19], s[6:7], s[4:5]
	s_mov_b32 s4, 0xed10e54d
	s_mov_b32 s6, 0x428cfa52
	;; [unrolled: 1-line block ×5, first 2 shown]
	v_fma_f64 v[22:23], v[18:19], s[6:7], s[4:5]
	s_mov_b32 s4, 0x116f3f5d
	s_mov_b32 s6, 0xccb7926b
	s_mov_b32 s5, 0x3f538a94
	s_mov_b32 s7, 0x3f67add8
	s_delay_alu instid0(VALU_DEP_2) | instskip(NEXT) | instid1(VALU_DEP_2)
	v_fma_f64 v[20:21], v[18:19], v[20:21], s[8:9]
	v_fma_f64 v[22:23], v[18:19], v[22:23], s[4:5]
	s_mov_b32 s4, 0xb68fefe8
	s_mov_b32 s5, 0x3f7e404f
	s_delay_alu instid0(VALU_DEP_2) | instskip(SKIP_2) | instid1(VALU_DEP_2)
	v_fma_f64 v[20:21], v[18:19], v[20:21], s[6:7]
	s_mov_b32 s6, 0xac92547b
	s_mov_b32 s7, 0x3f951322
	v_fma_f64 v[22:23], v[18:19], v[22:23], s[4:5]
	s_mov_b32 s4, 0x1a5562a7
	s_mov_b32 s5, 0x3fb13e00
	s_delay_alu instid0(VALU_DEP_2) | instskip(SKIP_2) | instid1(VALU_DEP_2)
	v_fma_f64 v[20:21], v[18:19], v[20:21], s[6:7]
	s_mov_b32 s6, 0xc4a60fad
	s_mov_b32 s7, 0x3fd4a34c
	v_fma_f64 v[22:23], v[18:19], v[22:23], s[4:5]
	s_mov_b32 s4, 0xe37db0c8
	s_mov_b32 s5, 0x3fb3c467
	s_delay_alu instid0(VALU_DEP_2) | instskip(NEXT) | instid1(VALU_DEP_2)
	v_fma_f64 v[20:21], v[18:19], v[20:21], s[6:7]
	v_fma_f64 v[22:23], v[18:19], v[22:23], s[4:5]
	s_delay_alu instid0(VALU_DEP_2) | instskip(NEXT) | instid1(VALU_DEP_1)
	v_mul_f64 v[18:19], v[18:19], v[20:21]
	v_fma_f64 v[18:19], v[16:17], v[22:23], v[18:19]
	s_delay_alu instid0(VALU_DEP_1)
	v_fma_f64 v[20:21], v[16:17], -0.5, v[18:19]
                                        ; implicit-def: $vgpr16_vgpr17
                                        ; implicit-def: $vgpr18_vgpr19
.LBB2_57:
	s_and_not1_saveexec_b32 s1, s1
	s_cbranch_execz .LBB2_59
; %bb.58:
	s_delay_alu instid0(VALU_DEP_2)
	v_mul_f64 v[20:21], v[16:17], v[18:19]
	s_mov_b32 s4, 0xef61a8e9
	s_mov_b32 s6, 0xecc38c38
	;; [unrolled: 1-line block ×8, first 2 shown]
	s_delay_alu instid0(VALU_DEP_1)
	v_fma_f64 v[22:23], v[20:21], s[6:7], s[4:5]
	v_fma_f64 v[24:25], v[20:21], s[10:11], s[8:9]
	s_mov_b32 s4, 0xb3e914d7
	s_mov_b32 s6, 0x2e15c915
	;; [unrolled: 1-line block ×8, first 2 shown]
	s_delay_alu instid0(VALU_DEP_2) | instskip(NEXT) | instid1(VALU_DEP_2)
	v_fma_f64 v[22:23], v[20:21], v[22:23], s[4:5]
	v_fma_f64 v[24:25], v[20:21], v[24:25], s[6:7]
	s_mov_b32 s4, 0xbf2d1af1
	s_mov_b32 s6, 0x6c0ebbf7
	;; [unrolled: 1-line block ×4, first 2 shown]
	s_delay_alu instid0(SALU_CYCLE_1) | instskip(SKIP_4) | instid1(VALU_DEP_3)
	v_fma_f64 v[26:27], v[20:21], s[6:7], s[4:5]
	s_mov_b32 s4, 0xe370e344
	s_mov_b32 s6, 0x8dc6c509
	s_mov_b32 s5, 0x3f78fce0
	s_mov_b32 s7, 0xbfc2e427
	v_fma_f64 v[22:23], v[20:21], v[22:23], s[8:9]
	s_delay_alu instid0(VALU_DEP_3) | instskip(SKIP_2) | instid1(VALU_DEP_3)
	v_fma_f64 v[24:25], v[20:21], v[24:25], s[10:11]
	s_mov_b32 s8, 0x94d5419b
	s_mov_b32 s9, 0x3fb08b42
	v_fma_f64 v[26:27], v[20:21], v[26:27], s[4:5]
	s_mov_b32 s4, 0xdf35b713
	s_mov_b32 s5, 0xbfa0c9a8
	s_delay_alu instid0(VALU_DEP_3) | instskip(NEXT) | instid1(VALU_DEP_3)
	v_fma_f64 v[22:23], v[20:21], v[22:23], s[6:7]
	v_fma_f64 v[24:25], v[20:21], v[24:25], s[8:9]
	s_mov_b32 s6, 0xa48a971f
	s_mov_b32 s7, 0xbc50c7ca
	s_delay_alu instid0(VALU_DEP_3) | instskip(SKIP_2) | instid1(VALU_DEP_2)
	v_fma_f64 v[26:27], v[20:21], v[26:27], s[4:5]
	s_mov_b32 s4, 0xc8ee38a2
	s_mov_b32 s5, 0x3fdef72b
	v_fma_f64 v[16:17], v[16:17], v[24:25], v[22:23]
	s_delay_alu instid0(VALU_DEP_2) | instskip(SKIP_2) | instid1(VALU_DEP_2)
	v_fma_f64 v[22:23], v[20:21], v[26:27], s[4:5]
	s_mov_b32 s4, 0xbcc38a42
	s_mov_b32 s5, 0xbfbf19b9
	v_fma_f64 v[16:17], v[20:21], -v[16:17], s[6:7]
	s_delay_alu instid0(VALU_DEP_1) | instskip(NEXT) | instid1(VALU_DEP_1)
	v_fma_f64 v[16:17], v[18:19], v[22:23], -v[16:17]
	v_add_f64 v[20:21], v[16:17], s[4:5]
.LBB2_59:
	s_or_b32 exec_lo, exec_lo, s1
.LBB2_60:
	s_delay_alu instid0(SALU_CYCLE_1) | instskip(NEXT) | instid1(VALU_DEP_1)
	s_or_b32 exec_lo, exec_lo, s0
	v_add_f64 v[14:15], v[14:15], v[20:21]
.LBB2_61:
	s_or_b32 exec_lo, exec_lo, s3
.LBB2_62:
	s_and_not1_saveexec_b32 s0, s2
	s_cbranch_execz .LBB2_64
; %bb.63:
	v_frexp_mant_f64_e64 v[14:15], |v[0:1]|
	s_mov_b32 s3, 0x3fe55555
	s_mov_b32 s2, 0x55555555
	v_mov_b32_e32 v16, 0
	s_mov_b32 s4, 0x6b47b09a
	s_mov_b32 s6, 0xbf559e2b
	;; [unrolled: 1-line block ×4, first 2 shown]
	v_frexp_exp_i32_f64_e32 v8, v[0:1]
	s_delay_alu instid0(VALU_DEP_3) | instskip(SKIP_2) | instid1(VALU_DEP_3)
	v_cmp_gt_f64_e32 vcc_lo, s[2:3], v[14:15]
	s_mov_b32 s2, 0x55555780
	v_cndmask_b32_e64 v17, 0x3ff00000, 2.0, vcc_lo
	v_subrev_co_ci_u32_e32 v8, vcc_lo, 0, v8, vcc_lo
	v_cmp_class_f64_e64 vcc_lo, v[0:1], 0x204
	s_delay_alu instid0(VALU_DEP_3) | instskip(NEXT) | instid1(VALU_DEP_1)
	v_mul_f64 v[14:15], v[14:15], v[16:17]
	v_add_f64 v[16:17], v[14:15], 1.0
	v_add_f64 v[22:23], v[14:15], -1.0
	s_delay_alu instid0(VALU_DEP_2) | instskip(SKIP_1) | instid1(VALU_DEP_1)
	v_rcp_f64_e32 v[18:19], v[16:17]
	v_add_f64 v[24:25], v[16:17], -1.0
	v_add_f64 v[14:15], v[14:15], -v[24:25]
	s_waitcnt_depctr 0xfff
	v_fma_f64 v[20:21], -v[16:17], v[18:19], 1.0
	s_delay_alu instid0(VALU_DEP_1) | instskip(NEXT) | instid1(VALU_DEP_1)
	v_fma_f64 v[18:19], v[20:21], v[18:19], v[18:19]
	v_fma_f64 v[20:21], -v[16:17], v[18:19], 1.0
	s_delay_alu instid0(VALU_DEP_1) | instskip(NEXT) | instid1(VALU_DEP_1)
	v_fma_f64 v[18:19], v[20:21], v[18:19], v[18:19]
	v_mul_f64 v[20:21], v[22:23], v[18:19]
	s_delay_alu instid0(VALU_DEP_1) | instskip(NEXT) | instid1(VALU_DEP_1)
	v_mul_f64 v[26:27], v[16:17], v[20:21]
	v_fma_f64 v[16:17], v[20:21], v[16:17], -v[26:27]
	s_delay_alu instid0(VALU_DEP_1) | instskip(NEXT) | instid1(VALU_DEP_1)
	v_fma_f64 v[14:15], v[20:21], v[14:15], v[16:17]
	v_add_f64 v[16:17], v[26:27], v[14:15]
	s_delay_alu instid0(VALU_DEP_1) | instskip(SKIP_1) | instid1(VALU_DEP_2)
	v_add_f64 v[24:25], v[22:23], -v[16:17]
	v_add_f64 v[26:27], v[16:17], -v[26:27]
	;; [unrolled: 1-line block ×3, first 2 shown]
	s_delay_alu instid0(VALU_DEP_2) | instskip(NEXT) | instid1(VALU_DEP_2)
	v_add_f64 v[14:15], v[26:27], -v[14:15]
	v_add_f64 v[16:17], v[22:23], -v[16:17]
	s_delay_alu instid0(VALU_DEP_1) | instskip(NEXT) | instid1(VALU_DEP_1)
	v_add_f64 v[14:15], v[14:15], v[16:17]
	v_add_f64 v[14:15], v[24:25], v[14:15]
	s_delay_alu instid0(VALU_DEP_1) | instskip(NEXT) | instid1(VALU_DEP_1)
	v_mul_f64 v[14:15], v[18:19], v[14:15]
	v_add_f64 v[16:17], v[20:21], v[14:15]
	s_delay_alu instid0(VALU_DEP_1) | instskip(NEXT) | instid1(VALU_DEP_1)
	v_mul_f64 v[18:19], v[16:17], v[16:17]
	v_fma_f64 v[22:23], v[18:19], s[6:7], s[4:5]
	s_mov_b32 s4, 0xd7f4df2e
	s_mov_b32 s5, 0x3fc7474d
	v_mul_f64 v[24:25], v[16:17], v[18:19]
	s_delay_alu instid0(VALU_DEP_2)
	v_fma_f64 v[22:23], v[18:19], v[22:23], s[4:5]
	s_mov_b32 s4, 0x16291751
	s_mov_b32 s5, 0x3fcc71c0
	s_delay_alu instid0(VALU_DEP_1) | instid1(SALU_CYCLE_1)
	v_fma_f64 v[22:23], v[18:19], v[22:23], s[4:5]
	s_mov_b32 s4, 0x9b27acf1
	s_mov_b32 s5, 0x3fd24924
	s_delay_alu instid0(VALU_DEP_1) | instid1(SALU_CYCLE_1)
	;; [unrolled: 4-line block ×3, first 2 shown]
	v_fma_f64 v[22:23], v[18:19], v[22:23], s[4:5]
	s_mov_b32 s4, 0x17aa6149
	s_mov_b32 s5, 0xbfca8b9c
	s_delay_alu instid0(VALU_DEP_1) | instskip(SKIP_4) | instid1(VALU_DEP_3)
	v_fma_f64 v[18:19], v[18:19], v[22:23], s[2:3]
	v_ldexp_f64 v[22:23], v[16:17], 1
	v_add_f64 v[16:17], v[16:17], -v[20:21]
	s_mov_b32 s2, 0xfefa39ef
	s_mov_b32 s3, 0x3fe62e42
	v_mul_f64 v[18:19], v[24:25], v[18:19]
	v_cvt_f64_i32_e32 v[24:25], v8
	s_delay_alu instid0(VALU_DEP_3) | instskip(NEXT) | instid1(VALU_DEP_3)
	v_add_f64 v[14:15], v[14:15], -v[16:17]
	v_add_f64 v[20:21], v[22:23], v[18:19]
	s_delay_alu instid0(VALU_DEP_3) | instskip(NEXT) | instid1(VALU_DEP_3)
	v_mul_f64 v[26:27], v[24:25], s[2:3]
	v_ldexp_f64 v[14:15], v[14:15], 1
	s_delay_alu instid0(VALU_DEP_3) | instskip(NEXT) | instid1(VALU_DEP_3)
	v_add_f64 v[16:17], v[20:21], -v[22:23]
	v_fma_f64 v[22:23], v[24:25], s[2:3], -v[26:27]
	s_mov_b32 s2, 0x3b39803f
	s_mov_b32 s3, 0x3c7abc9e
	s_delay_alu instid0(VALU_DEP_2) | instskip(NEXT) | instid1(VALU_DEP_2)
	v_add_f64 v[16:17], v[18:19], -v[16:17]
	v_fma_f64 v[18:19], v[24:25], s[2:3], v[22:23]
	s_mov_b32 s2, 0x2ac7d848
	s_mov_b32 s3, 0x3fd15132
	s_delay_alu instid0(VALU_DEP_2) | instskip(NEXT) | instid1(VALU_DEP_2)
	v_add_f64 v[14:15], v[14:15], v[16:17]
	v_add_f64 v[16:17], v[26:27], v[18:19]
	s_delay_alu instid0(VALU_DEP_2) | instskip(NEXT) | instid1(VALU_DEP_2)
	v_add_f64 v[22:23], v[20:21], v[14:15]
	v_add_f64 v[26:27], v[16:17], -v[26:27]
	s_delay_alu instid0(VALU_DEP_2) | instskip(SKIP_1) | instid1(VALU_DEP_3)
	v_add_f64 v[24:25], v[16:17], v[22:23]
	v_add_f64 v[20:21], v[22:23], -v[20:21]
	v_add_f64 v[18:19], v[18:19], -v[26:27]
	s_delay_alu instid0(VALU_DEP_3) | instskip(NEXT) | instid1(VALU_DEP_3)
	v_add_f64 v[28:29], v[24:25], -v[16:17]
	v_add_f64 v[14:15], v[14:15], -v[20:21]
	s_delay_alu instid0(VALU_DEP_2) | instskip(SKIP_1) | instid1(VALU_DEP_3)
	v_add_f64 v[30:31], v[24:25], -v[28:29]
	v_add_f64 v[20:21], v[22:23], -v[28:29]
	v_add_f64 v[22:23], v[18:19], v[14:15]
	s_delay_alu instid0(VALU_DEP_3) | instskip(NEXT) | instid1(VALU_DEP_1)
	v_add_f64 v[16:17], v[16:17], -v[30:31]
	v_add_f64 v[16:17], v[20:21], v[16:17]
	s_delay_alu instid0(VALU_DEP_3) | instskip(NEXT) | instid1(VALU_DEP_2)
	v_add_f64 v[20:21], v[22:23], -v[18:19]
	v_add_f64 v[16:17], v[22:23], v[16:17]
	s_delay_alu instid0(VALU_DEP_2) | instskip(SKIP_1) | instid1(VALU_DEP_3)
	v_add_f64 v[22:23], v[22:23], -v[20:21]
	v_add_f64 v[14:15], v[14:15], -v[20:21]
	v_add_f64 v[26:27], v[24:25], v[16:17]
	s_delay_alu instid0(VALU_DEP_3) | instskip(NEXT) | instid1(VALU_DEP_2)
	v_add_f64 v[18:19], v[18:19], -v[22:23]
	v_add_f64 v[20:21], v[26:27], -v[24:25]
	s_delay_alu instid0(VALU_DEP_2) | instskip(SKIP_3) | instid1(VALU_DEP_3)
	v_add_f64 v[14:15], v[14:15], v[18:19]
	v_fma_f64 v[18:19], |v[0:1]|, s[4:5], s[2:3]
	s_mov_b32 s2, 0x5beab2d7
	s_mov_b32 s3, 0xbfd9a4d5
	v_add_f64 v[16:17], v[16:17], -v[20:21]
	s_delay_alu instid0(VALU_DEP_1) | instskip(NEXT) | instid1(VALU_DEP_3)
	v_add_f64 v[14:15], v[14:15], v[16:17]
	v_fma_f64 v[16:17], |v[0:1]|, v[18:19], s[2:3]
	s_mov_b32 s2, 0x625307d3
	s_mov_b32 s3, 0x3fea51a6
	s_delay_alu instid0(VALU_DEP_2) | instskip(NEXT) | instid1(VALU_DEP_2)
	v_add_f64 v[14:15], v[26:27], v[14:15]
	v_fma_f64 v[16:17], |v[0:1]|, v[16:17], s[2:3]
	s_mov_b32 s2, 0xfc6fb619
	s_mov_b32 s3, 0xbfe2788c
	s_delay_alu instid0(VALU_DEP_2) | instskip(NEXT) | instid1(VALU_DEP_3)
	v_cndmask_b32_e32 v8, v14, v0, vcc_lo
	v_cndmask_b32_e64 v12, -v15, -v13, vcc_lo
	v_cmp_neq_f64_e32 vcc_lo, 0, v[0:1]
	s_delay_alu instid0(VALU_DEP_4) | instskip(NEXT) | instid1(VALU_DEP_3)
	v_fma_f64 v[14:15], |v[0:1]|, v[16:17], s[2:3]
	v_cndmask_b32_e32 v17, 0x7ff00000, v12, vcc_lo
	v_cndmask_b32_e32 v16, 0, v8, vcc_lo
	s_delay_alu instid0(VALU_DEP_1)
	v_fma_f64 v[14:15], |v[0:1]|, v[14:15], v[16:17]
.LBB2_64:
	s_or_b32 exec_lo, exec_lo, s0
	s_delay_alu instid0(SALU_CYCLE_1)
	s_mov_b32 s0, exec_lo
	v_cmpx_le_f64_e32 0, v[0:1]
	s_xor_b32 s1, exec_lo, s0
; %bb.65:
	v_cmp_eq_f64_e32 vcc_lo, 1.0, v[0:1]
	v_cmp_eq_f64_e64 s0, 2.0, v[0:1]
	s_delay_alu instid0(VALU_DEP_1)
	s_or_b32 s0, vcc_lo, s0
	s_delay_alu instid0(VALU_DEP_4) | instid1(SALU_CYCLE_1)
	v_cndmask_b32_e64 v15, v15, 0, s0
	v_cndmask_b32_e64 v14, v14, 0, s0
; %bb.66:
	s_and_not1_saveexec_b32 s1, s1
	s_cbranch_execz .LBB2_70
; %bb.67:
	v_add_nc_u32_e32 v8, 0xc32fffff, v13
	s_mov_b32 s2, exec_lo
	s_delay_alu instid0(VALU_DEP_1)
	v_cmpx_gt_u32_e32 0x65fffff, v8
	s_cbranch_execz .LBB2_69
; %bb.68:
	v_mul_f64 v[16:17], |v[0:1]|, 0.5
	s_mov_b32 s4, 0x6fdffd2b
	s_mov_b32 s6, 0xf99eb0bb
	;; [unrolled: 1-line block ×8, first 2 shown]
	v_cmp_class_f64_e64 s0, v[0:1], 0x1f8
	s_delay_alu instid0(VALU_DEP_2) | instskip(SKIP_1) | instid1(VALU_DEP_2)
	v_fract_f64_e32 v[18:19], v[16:17]
	v_cmp_neq_f64_e64 vcc_lo, 0x7ff00000, |v[16:17]|
	v_add_f64 v[18:19], v[18:19], v[18:19]
	s_delay_alu instid0(VALU_DEP_1) | instskip(NEXT) | instid1(VALU_DEP_2)
	v_cndmask_b32_e32 v12, 0, v19, vcc_lo
	v_cndmask_b32_e32 v8, 0, v18, vcc_lo
	v_cmp_gt_f64_e64 vcc_lo, |v[0:1]|, 1.0
	s_delay_alu instid0(VALU_DEP_3) | instskip(NEXT) | instid1(VALU_DEP_3)
	v_cndmask_b32_e32 v17, v13, v12, vcc_lo
	v_cndmask_b32_e32 v16, v0, v8, vcc_lo
	s_delay_alu instid0(VALU_DEP_1) | instskip(NEXT) | instid1(VALU_DEP_1)
	v_add_f64 v[18:19], v[16:17], v[16:17]
	v_rndne_f64_e32 v[18:19], v[18:19]
	s_delay_alu instid0(VALU_DEP_1) | instskip(SKIP_1) | instid1(VALU_DEP_2)
	v_fma_f64 v[16:17], v[18:19], -0.5, v[16:17]
	v_cvt_i32_f64_e32 v8, v[18:19]
	v_mul_f64 v[20:21], v[16:17], v[16:17]
	s_delay_alu instid0(VALU_DEP_2) | instskip(SKIP_1) | instid1(VALU_DEP_2)
	v_and_b32_e32 v12, 1, v8
	v_lshlrev_b32_e32 v8, 30, v8
	v_cmp_eq_u32_e32 vcc_lo, 0, v12
	s_delay_alu instid0(VALU_DEP_2) | instskip(NEXT) | instid1(VALU_DEP_1)
	v_xor_b32_e32 v8, v8, v1
	v_and_b32_e32 v8, 0x80000000, v8
	v_fma_f64 v[22:23], v[20:21], s[6:7], s[4:5]
	v_fma_f64 v[24:25], v[20:21], s[10:11], s[8:9]
	s_mov_b32 s4, 0xd5f14825
	s_mov_b32 s6, 0x7294bff9
	;; [unrolled: 1-line block ×4, first 2 shown]
	v_mul_f64 v[26:27], v[16:17], v[20:21]
	s_mov_b32 s8, 0xbf559e2b
	s_mov_b32 s9, 0x3fc3ab76
	s_delay_alu instid0(VALU_DEP_3) | instskip(NEXT) | instid1(VALU_DEP_3)
	v_fma_f64 v[22:23], v[20:21], v[22:23], s[4:5]
	v_fma_f64 v[24:25], v[20:21], v[24:25], s[6:7]
	s_mov_b32 s4, 0xcdfe9424
	s_mov_b32 s6, 0x67b90b37
	s_mov_b32 s5, 0xbfe32d2c
	s_mov_b32 s7, 0x3fce1f50
	s_delay_alu instid0(VALU_DEP_2) | instskip(NEXT) | instid1(VALU_DEP_2)
	v_fma_f64 v[22:23], v[20:21], v[22:23], s[4:5]
	v_fma_f64 v[24:25], v[20:21], v[24:25], s[6:7]
	s_mov_b32 s4, 0x67754fff
	s_mov_b32 s6, 0x7e3c325b
	s_mov_b32 s5, 0x400466bc
	s_mov_b32 s7, 0xbff55d3c
	s_delay_alu instid0(VALU_DEP_2) | instskip(NEXT) | instid1(VALU_DEP_2)
	;; [unrolled: 7-line block ×4, first 2 shown]
	v_mul_f64 v[22:23], v[26:27], v[22:23]
	v_fma_f64 v[24:25], v[20:21], v[24:25], s[4:5]
	s_mov_b32 s4, 0x54442d18
	s_mov_b32 s5, 0x400921fb
	s_delay_alu instid0(VALU_DEP_2) | instid1(SALU_CYCLE_1)
	v_fma_f64 v[16:17], v[16:17], s[4:5], v[22:23]
	s_delay_alu instid0(VALU_DEP_2) | instskip(NEXT) | instid1(VALU_DEP_1)
	v_fma_f64 v[18:19], v[20:21], v[24:25], 1.0
	v_cndmask_b32_e32 v12, v18, v16, vcc_lo
	s_delay_alu instid0(VALU_DEP_2) | instskip(NEXT) | instid1(VALU_DEP_1)
	v_cndmask_b32_e32 v16, v19, v17, vcc_lo
	v_xor_b32_e32 v8, v16, v8
	s_delay_alu instid0(VALU_DEP_3) | instskip(NEXT) | instid1(VALU_DEP_2)
	v_cndmask_b32_e64 v16, 0, v12, s0
	v_cndmask_b32_e64 v17, 0x7ff80000, v8, s0
	v_cmp_class_f64_e64 s0, v[0:1], 0x204
	s_delay_alu instid0(VALU_DEP_2) | instskip(NEXT) | instid1(VALU_DEP_1)
	v_mul_f64 v[16:17], v[16:17], v[0:1]
	v_dual_mov_b32 v18, v16 :: v_dual_and_b32 v19, 0x7fffffff, v17
	s_delay_alu instid0(VALU_DEP_1) | instskip(SKIP_1) | instid1(VALU_DEP_2)
	v_div_scale_f64 v[20:21], null, v[18:19], v[18:19], s[4:5]
	v_div_scale_f64 v[18:19], vcc_lo, s[4:5], v[18:19], s[4:5]
	v_rcp_f64_e32 v[22:23], v[20:21]
	s_waitcnt_depctr 0xfff
	v_fma_f64 v[24:25], -v[20:21], v[22:23], 1.0
	s_delay_alu instid0(VALU_DEP_1) | instskip(NEXT) | instid1(VALU_DEP_1)
	v_fma_f64 v[22:23], v[22:23], v[24:25], v[22:23]
	v_fma_f64 v[24:25], -v[20:21], v[22:23], 1.0
	s_delay_alu instid0(VALU_DEP_1) | instskip(NEXT) | instid1(VALU_DEP_1)
	v_fma_f64 v[22:23], v[22:23], v[24:25], v[22:23]
	v_mul_f64 v[24:25], v[18:19], v[22:23]
	s_delay_alu instid0(VALU_DEP_1) | instskip(SKIP_1) | instid1(VALU_DEP_2)
	v_fma_f64 v[18:19], -v[20:21], v[24:25], v[18:19]
	v_mov_b32_e32 v20, 0
	v_div_fmas_f64 v[18:19], v[18:19], v[22:23], v[24:25]
	s_delay_alu instid0(VALU_DEP_1) | instskip(SKIP_2) | instid1(VALU_DEP_1)
	v_div_fixup_f64 v[16:17], v[18:19], |v[16:17]|, s[4:5]
	s_mov_b32 s5, 0x3fe55555
	s_mov_b32 s4, 0x55555555
	v_frexp_mant_f64_e32 v[18:19], v[16:17]
	v_frexp_exp_i32_f64_e32 v8, v[16:17]
	s_delay_alu instid0(VALU_DEP_2) | instskip(SKIP_2) | instid1(VALU_DEP_3)
	v_cmp_gt_f64_e32 vcc_lo, s[4:5], v[18:19]
	s_mov_b32 s4, 0x55555780
	v_cndmask_b32_e64 v21, 0x3ff00000, 2.0, vcc_lo
	v_subrev_co_ci_u32_e32 v8, vcc_lo, 0, v8, vcc_lo
	v_cmp_class_f64_e64 vcc_lo, v[16:17], 0x204
	s_delay_alu instid0(VALU_DEP_3) | instskip(NEXT) | instid1(VALU_DEP_1)
	v_mul_f64 v[18:19], v[18:19], v[20:21]
	v_add_f64 v[20:21], v[18:19], 1.0
	v_add_f64 v[26:27], v[18:19], -1.0
	s_delay_alu instid0(VALU_DEP_2) | instskip(SKIP_1) | instid1(VALU_DEP_1)
	v_rcp_f64_e32 v[22:23], v[20:21]
	v_add_f64 v[28:29], v[20:21], -1.0
	v_add_f64 v[18:19], v[18:19], -v[28:29]
	s_waitcnt_depctr 0xfff
	v_fma_f64 v[24:25], -v[20:21], v[22:23], 1.0
	s_delay_alu instid0(VALU_DEP_1) | instskip(NEXT) | instid1(VALU_DEP_1)
	v_fma_f64 v[22:23], v[24:25], v[22:23], v[22:23]
	v_fma_f64 v[24:25], -v[20:21], v[22:23], 1.0
	s_delay_alu instid0(VALU_DEP_1) | instskip(NEXT) | instid1(VALU_DEP_1)
	v_fma_f64 v[22:23], v[24:25], v[22:23], v[22:23]
	v_mul_f64 v[24:25], v[26:27], v[22:23]
	s_delay_alu instid0(VALU_DEP_1) | instskip(NEXT) | instid1(VALU_DEP_1)
	v_mul_f64 v[30:31], v[20:21], v[24:25]
	v_fma_f64 v[20:21], v[24:25], v[20:21], -v[30:31]
	s_delay_alu instid0(VALU_DEP_1) | instskip(NEXT) | instid1(VALU_DEP_1)
	v_fma_f64 v[18:19], v[24:25], v[18:19], v[20:21]
	v_add_f64 v[20:21], v[30:31], v[18:19]
	s_delay_alu instid0(VALU_DEP_1) | instskip(SKIP_1) | instid1(VALU_DEP_2)
	v_add_f64 v[28:29], v[26:27], -v[20:21]
	v_add_f64 v[30:31], v[20:21], -v[30:31]
	;; [unrolled: 1-line block ×3, first 2 shown]
	s_delay_alu instid0(VALU_DEP_2) | instskip(NEXT) | instid1(VALU_DEP_2)
	v_add_f64 v[18:19], v[30:31], -v[18:19]
	v_add_f64 v[20:21], v[26:27], -v[20:21]
	s_delay_alu instid0(VALU_DEP_1) | instskip(NEXT) | instid1(VALU_DEP_1)
	v_add_f64 v[18:19], v[18:19], v[20:21]
	v_add_f64 v[18:19], v[28:29], v[18:19]
	s_delay_alu instid0(VALU_DEP_1) | instskip(NEXT) | instid1(VALU_DEP_1)
	v_mul_f64 v[18:19], v[22:23], v[18:19]
	v_add_f64 v[20:21], v[24:25], v[18:19]
	s_delay_alu instid0(VALU_DEP_1) | instskip(NEXT) | instid1(VALU_DEP_1)
	v_mul_f64 v[22:23], v[20:21], v[20:21]
	v_fma_f64 v[26:27], v[22:23], s[8:9], s[6:7]
	s_mov_b32 s6, 0xd7f4df2e
	s_mov_b32 s7, 0x3fc7474d
	v_mul_f64 v[28:29], v[20:21], v[22:23]
	s_delay_alu instid0(VALU_DEP_2)
	v_fma_f64 v[26:27], v[22:23], v[26:27], s[6:7]
	s_mov_b32 s6, 0x16291751
	s_mov_b32 s7, 0x3fcc71c0
	s_delay_alu instid0(VALU_DEP_1) | instid1(SALU_CYCLE_1)
	v_fma_f64 v[26:27], v[22:23], v[26:27], s[6:7]
	s_mov_b32 s6, 0x9b27acf1
	s_mov_b32 s7, 0x3fd24924
	s_delay_alu instid0(VALU_DEP_1) | instid1(SALU_CYCLE_1)
	;; [unrolled: 4-line block ×3, first 2 shown]
	v_fma_f64 v[26:27], v[22:23], v[26:27], s[6:7]
	s_delay_alu instid0(VALU_DEP_1) | instskip(SKIP_4) | instid1(VALU_DEP_3)
	v_fma_f64 v[22:23], v[22:23], v[26:27], s[4:5]
	v_ldexp_f64 v[26:27], v[20:21], 1
	v_add_f64 v[20:21], v[20:21], -v[24:25]
	s_mov_b32 s4, 0xfefa39ef
	s_mov_b32 s5, 0x3fe62e42
	v_mul_f64 v[22:23], v[28:29], v[22:23]
	v_cvt_f64_i32_e32 v[28:29], v8
	s_delay_alu instid0(VALU_DEP_3) | instskip(NEXT) | instid1(VALU_DEP_3)
	v_add_f64 v[18:19], v[18:19], -v[20:21]
	v_add_f64 v[24:25], v[26:27], v[22:23]
	s_delay_alu instid0(VALU_DEP_3) | instskip(NEXT) | instid1(VALU_DEP_3)
	v_mul_f64 v[30:31], v[28:29], s[4:5]
	v_ldexp_f64 v[18:19], v[18:19], 1
	s_delay_alu instid0(VALU_DEP_3) | instskip(NEXT) | instid1(VALU_DEP_3)
	v_add_f64 v[20:21], v[24:25], -v[26:27]
	v_fma_f64 v[26:27], v[28:29], s[4:5], -v[30:31]
	s_mov_b32 s4, 0x3b39803f
	s_mov_b32 s5, 0x3c7abc9e
	s_delay_alu instid0(VALU_DEP_2) | instskip(NEXT) | instid1(VALU_DEP_2)
	v_add_f64 v[20:21], v[22:23], -v[20:21]
	v_fma_f64 v[22:23], v[28:29], s[4:5], v[26:27]
	s_delay_alu instid0(VALU_DEP_2) | instskip(NEXT) | instid1(VALU_DEP_2)
	v_add_f64 v[18:19], v[18:19], v[20:21]
	v_add_f64 v[20:21], v[30:31], v[22:23]
	s_delay_alu instid0(VALU_DEP_2) | instskip(NEXT) | instid1(VALU_DEP_2)
	v_add_f64 v[26:27], v[24:25], v[18:19]
	v_add_f64 v[30:31], v[20:21], -v[30:31]
	s_delay_alu instid0(VALU_DEP_2) | instskip(SKIP_1) | instid1(VALU_DEP_3)
	v_add_f64 v[28:29], v[20:21], v[26:27]
	v_add_f64 v[24:25], v[26:27], -v[24:25]
	v_add_f64 v[22:23], v[22:23], -v[30:31]
	s_delay_alu instid0(VALU_DEP_3) | instskip(NEXT) | instid1(VALU_DEP_3)
	v_add_f64 v[32:33], v[28:29], -v[20:21]
	v_add_f64 v[18:19], v[18:19], -v[24:25]
	s_delay_alu instid0(VALU_DEP_2) | instskip(SKIP_1) | instid1(VALU_DEP_3)
	v_add_f64 v[34:35], v[28:29], -v[32:33]
	v_add_f64 v[24:25], v[26:27], -v[32:33]
	v_add_f64 v[26:27], v[22:23], v[18:19]
	s_delay_alu instid0(VALU_DEP_3) | instskip(NEXT) | instid1(VALU_DEP_1)
	v_add_f64 v[20:21], v[20:21], -v[34:35]
	v_add_f64 v[20:21], v[24:25], v[20:21]
	s_delay_alu instid0(VALU_DEP_3) | instskip(NEXT) | instid1(VALU_DEP_2)
	v_add_f64 v[24:25], v[26:27], -v[22:23]
	v_add_f64 v[20:21], v[26:27], v[20:21]
	s_delay_alu instid0(VALU_DEP_2) | instskip(SKIP_1) | instid1(VALU_DEP_3)
	v_add_f64 v[26:27], v[26:27], -v[24:25]
	v_add_f64 v[18:19], v[18:19], -v[24:25]
	v_add_f64 v[30:31], v[28:29], v[20:21]
	s_delay_alu instid0(VALU_DEP_3) | instskip(NEXT) | instid1(VALU_DEP_2)
	v_add_f64 v[22:23], v[22:23], -v[26:27]
	v_add_f64 v[24:25], v[30:31], -v[28:29]
	s_delay_alu instid0(VALU_DEP_2) | instskip(NEXT) | instid1(VALU_DEP_2)
	v_add_f64 v[18:19], v[18:19], v[22:23]
	v_add_f64 v[20:21], v[20:21], -v[24:25]
	s_delay_alu instid0(VALU_DEP_1) | instskip(NEXT) | instid1(VALU_DEP_1)
	v_add_f64 v[18:19], v[18:19], v[20:21]
	v_add_f64 v[18:19], v[30:31], v[18:19]
	s_delay_alu instid0(VALU_DEP_1) | instskip(NEXT) | instid1(VALU_DEP_2)
	v_cndmask_b32_e32 v8, v18, v16, vcc_lo
	v_cndmask_b32_e32 v12, v19, v17, vcc_lo
	v_cmp_neq_f64_e32 vcc_lo, 0, v[16:17]
	v_fract_f64_e32 v[16:17], v[0:1]
	s_delay_alu instid0(VALU_DEP_3) | instskip(SKIP_1) | instid1(VALU_DEP_3)
	v_cndmask_b32_e32 v19, 0xfff00000, v12, vcc_lo
	v_cndmask_b32_e32 v18, 0, v8, vcc_lo
	v_cmp_eq_f64_e32 vcc_lo, 0, v[16:17]
	s_delay_alu instid0(VALU_DEP_2)
	v_add_f64 v[14:15], v[18:19], -v[14:15]
	s_or_b32 s0, s0, vcc_lo
	s_delay_alu instid0(VALU_DEP_1) | instid1(SALU_CYCLE_1)
	v_cndmask_b32_e64 v15, v15, 0x7ff00000, s0
	s_delay_alu instid0(VALU_DEP_2)
	v_cndmask_b32_e64 v14, v14, 0, s0
.LBB2_69:
	s_or_b32 exec_lo, exec_lo, s2
.LBB2_70:
	s_delay_alu instid0(SALU_CYCLE_1)
	s_or_b32 exec_lo, exec_lo, s1
	v_frexp_mant_f64_e32 v[16:17], v[2:3]
	s_mov_b32 s1, 0x3fe55555
	s_mov_b32 s0, 0x55555555
	v_mov_b32_e32 v18, 0
	s_mov_b32 s2, 0x6b47b09a
	s_mov_b32 s4, 0xbf559e2b
	;; [unrolled: 1-line block ×4, first 2 shown]
	v_frexp_exp_i32_f64_e32 v8, v[2:3]
	s_mov_b32 s6, 0xa9d67f34
	s_mov_b32 s7, 0x3e21f32e
	s_delay_alu instid0(VALU_DEP_3) | instskip(SKIP_1) | instid1(VALU_DEP_3)
	v_cmp_gt_f64_e32 vcc_lo, s[0:1], v[16:17]
	v_cndmask_b32_e64 v19, 0x3ff00000, 2.0, vcc_lo
	v_subrev_co_ci_u32_e64 v8, s0, 0, v8, vcc_lo
	s_mov_b32 s0, 0x55555780
	v_cmp_gt_f64_e32 vcc_lo, 0, v[6:7]
	s_delay_alu instid0(VALU_DEP_3) | instskip(NEXT) | instid1(VALU_DEP_1)
	v_mul_f64 v[16:17], v[16:17], v[18:19]
	v_add_f64 v[18:19], v[16:17], 1.0
	v_add_f64 v[24:25], v[16:17], -1.0
	s_delay_alu instid0(VALU_DEP_2) | instskip(SKIP_1) | instid1(VALU_DEP_1)
	v_rcp_f64_e32 v[20:21], v[18:19]
	v_add_f64 v[26:27], v[18:19], -1.0
	v_add_f64 v[16:17], v[16:17], -v[26:27]
	s_waitcnt_depctr 0xfff
	v_fma_f64 v[22:23], -v[18:19], v[20:21], 1.0
	s_delay_alu instid0(VALU_DEP_1) | instskip(NEXT) | instid1(VALU_DEP_1)
	v_fma_f64 v[20:21], v[22:23], v[20:21], v[20:21]
	v_fma_f64 v[22:23], -v[18:19], v[20:21], 1.0
	s_delay_alu instid0(VALU_DEP_1) | instskip(NEXT) | instid1(VALU_DEP_1)
	v_fma_f64 v[20:21], v[22:23], v[20:21], v[20:21]
	v_mul_f64 v[22:23], v[24:25], v[20:21]
	s_delay_alu instid0(VALU_DEP_1) | instskip(NEXT) | instid1(VALU_DEP_1)
	v_mul_f64 v[28:29], v[18:19], v[22:23]
	v_fma_f64 v[18:19], v[22:23], v[18:19], -v[28:29]
	s_delay_alu instid0(VALU_DEP_1) | instskip(NEXT) | instid1(VALU_DEP_1)
	v_fma_f64 v[16:17], v[22:23], v[16:17], v[18:19]
	v_add_f64 v[18:19], v[28:29], v[16:17]
	s_delay_alu instid0(VALU_DEP_1) | instskip(SKIP_1) | instid1(VALU_DEP_2)
	v_add_f64 v[26:27], v[24:25], -v[18:19]
	v_add_f64 v[28:29], v[18:19], -v[28:29]
	;; [unrolled: 1-line block ×3, first 2 shown]
	s_delay_alu instid0(VALU_DEP_2) | instskip(NEXT) | instid1(VALU_DEP_2)
	v_add_f64 v[16:17], v[28:29], -v[16:17]
	v_add_f64 v[18:19], v[24:25], -v[18:19]
	s_delay_alu instid0(VALU_DEP_1) | instskip(NEXT) | instid1(VALU_DEP_1)
	v_add_f64 v[16:17], v[16:17], v[18:19]
	v_add_f64 v[16:17], v[26:27], v[16:17]
	s_delay_alu instid0(VALU_DEP_1) | instskip(NEXT) | instid1(VALU_DEP_1)
	v_mul_f64 v[16:17], v[20:21], v[16:17]
	v_add_f64 v[18:19], v[22:23], v[16:17]
	s_delay_alu instid0(VALU_DEP_1) | instskip(NEXT) | instid1(VALU_DEP_1)
	v_mul_f64 v[20:21], v[18:19], v[18:19]
	v_fma_f64 v[24:25], v[20:21], s[4:5], s[2:3]
	s_mov_b32 s2, 0xd7f4df2e
	s_mov_b32 s3, 0x3fc7474d
	v_mul_f64 v[26:27], v[18:19], v[20:21]
	s_mov_b32 s5, 0x3c7abc9e
	s_mov_b32 s4, 0x3b39803f
	s_delay_alu instid0(VALU_DEP_2)
	v_fma_f64 v[24:25], v[20:21], v[24:25], s[2:3]
	s_mov_b32 s2, 0x16291751
	s_mov_b32 s3, 0x3fcc71c0
	s_delay_alu instid0(VALU_DEP_1) | instid1(SALU_CYCLE_1)
	v_fma_f64 v[24:25], v[20:21], v[24:25], s[2:3]
	s_mov_b32 s2, 0x9b27acf1
	s_mov_b32 s3, 0x3fd24924
	s_delay_alu instid0(VALU_DEP_1) | instid1(SALU_CYCLE_1)
	;; [unrolled: 4-line block ×3, first 2 shown]
	v_fma_f64 v[24:25], v[20:21], v[24:25], s[2:3]
	s_mov_b32 s3, 0x3fe62e42
	s_mov_b32 s2, 0xfefa39ef
	s_delay_alu instid0(VALU_DEP_1) | instskip(SKIP_4) | instid1(VALU_DEP_2)
	v_fma_f64 v[20:21], v[20:21], v[24:25], s[0:1]
	v_ldexp_f64 v[24:25], v[18:19], 1
	v_add_f64 v[18:19], v[18:19], -v[22:23]
	v_cmp_lt_u32_e64 s0, 0x432fffff, v9
	v_cmp_class_f64_e64 s1, v[2:3], 0x204
	s_and_b32 s0, vcc_lo, s0
	v_cmp_u_f64_e32 vcc_lo, v[6:7], v[6:7]
	v_mul_f64 v[20:21], v[26:27], v[20:21]
	v_cvt_f64_i32_e32 v[26:27], v8
	v_add_f64 v[16:17], v[16:17], -v[18:19]
	s_delay_alu instid0(VALU_DEP_3) | instskip(NEXT) | instid1(VALU_DEP_3)
	v_add_f64 v[22:23], v[24:25], v[20:21]
	v_mul_f64 v[28:29], v[26:27], s[2:3]
	s_delay_alu instid0(VALU_DEP_3) | instskip(NEXT) | instid1(VALU_DEP_3)
	v_ldexp_f64 v[16:17], v[16:17], 1
	v_add_f64 v[18:19], v[22:23], -v[24:25]
	s_delay_alu instid0(VALU_DEP_3) | instskip(SKIP_1) | instid1(VALU_DEP_3)
	v_fma_f64 v[24:25], v[26:27], s[2:3], -v[28:29]
	v_cmp_class_f64_e64 s3, v[6:7], 0x244
	v_add_f64 v[18:19], v[20:21], -v[18:19]
	s_delay_alu instid0(VALU_DEP_3) | instskip(NEXT) | instid1(VALU_DEP_3)
	v_fma_f64 v[20:21], v[26:27], s[4:5], v[24:25]
	s_or_b32 s0, s3, s0
	v_cmp_class_f64_e64 s3, v[0:1], 0x264
	v_cndmask_b32_e64 v10, v10, 0, s0
	v_cndmask_b32_e64 v11, v11, 0x7ff00000, s0
	v_cmp_gt_f64_e64 s0, 0, v[0:1]
	s_mov_b32 s5, 0xbc7abc9e
	s_delay_alu instid0(VALU_DEP_2) | instskip(SKIP_3) | instid1(VALU_DEP_2)
	v_dual_cndmask_b32 v6, v10, v6 :: v_dual_cndmask_b32 v7, v11, v7
	v_cmp_nge_f64_e32 vcc_lo, 0, v[2:3]
	v_add_f64 v[16:17], v[16:17], v[18:19]
	v_add_f64 v[18:19], v[28:29], v[20:21]
	;; [unrolled: 1-line block ×3, first 2 shown]
	s_delay_alu instid0(VALU_DEP_2) | instskip(NEXT) | instid1(VALU_DEP_2)
	v_add_f64 v[28:29], v[18:19], -v[28:29]
	v_add_f64 v[26:27], v[18:19], v[24:25]
	v_add_f64 v[22:23], v[24:25], -v[22:23]
	s_delay_alu instid0(VALU_DEP_3) | instskip(NEXT) | instid1(VALU_DEP_3)
	v_add_f64 v[20:21], v[20:21], -v[28:29]
	v_add_f64 v[30:31], v[26:27], -v[18:19]
	s_delay_alu instid0(VALU_DEP_3) | instskip(NEXT) | instid1(VALU_DEP_2)
	v_add_f64 v[16:17], v[16:17], -v[22:23]
	v_add_f64 v[32:33], v[26:27], -v[30:31]
	;; [unrolled: 1-line block ×3, first 2 shown]
	s_delay_alu instid0(VALU_DEP_3) | instskip(NEXT) | instid1(VALU_DEP_3)
	v_add_f64 v[24:25], v[20:21], v[16:17]
	v_add_f64 v[18:19], v[18:19], -v[32:33]
	s_delay_alu instid0(VALU_DEP_1) | instskip(NEXT) | instid1(VALU_DEP_3)
	v_add_f64 v[18:19], v[22:23], v[18:19]
	v_add_f64 v[22:23], v[24:25], -v[20:21]
	s_delay_alu instid0(VALU_DEP_2) | instskip(NEXT) | instid1(VALU_DEP_2)
	v_add_f64 v[18:19], v[24:25], v[18:19]
	v_add_f64 v[24:25], v[24:25], -v[22:23]
	v_add_f64 v[16:17], v[16:17], -v[22:23]
	s_delay_alu instid0(VALU_DEP_3) | instskip(NEXT) | instid1(VALU_DEP_3)
	v_add_f64 v[28:29], v[26:27], v[18:19]
	v_add_f64 v[20:21], v[20:21], -v[24:25]
	s_delay_alu instid0(VALU_DEP_2) | instskip(NEXT) | instid1(VALU_DEP_2)
	v_add_f64 v[22:23], v[28:29], -v[26:27]
	v_add_f64 v[16:17], v[16:17], v[20:21]
	s_delay_alu instid0(VALU_DEP_2) | instskip(NEXT) | instid1(VALU_DEP_1)
	v_add_f64 v[18:19], v[18:19], -v[22:23]
	v_add_f64 v[16:17], v[16:17], v[18:19]
	s_delay_alu instid0(VALU_DEP_1) | instskip(NEXT) | instid1(VALU_DEP_1)
	v_add_f64 v[8:9], v[28:29], v[16:17]
	v_cndmask_b32_e64 v8, v8, v2, s1
	s_delay_alu instid0(VALU_DEP_2) | instskip(SKIP_1) | instid1(VALU_DEP_3)
	v_cndmask_b32_e64 v9, v9, v3, s1
	v_cmp_ngt_f64_e64 s1, 0, v[2:3]
	v_cndmask_b32_e32 v8, 0, v8, vcc_lo
	v_cmp_neq_f64_e32 vcc_lo, 0, v[2:3]
	s_delay_alu instid0(VALU_DEP_3) | instskip(NEXT) | instid1(VALU_DEP_1)
	v_cndmask_b32_e64 v9, 0x7ff80000, v9, s1
	v_cndmask_b32_e32 v9, 0xfff00000, v9, vcc_lo
	v_cmp_lt_u32_e32 vcc_lo, 0x432fffff, v13
	s_and_b32 s0, s0, vcc_lo
	v_cmp_u_f64_e32 vcc_lo, v[0:1], v[0:1]
	s_or_b32 s0, s3, s0
	s_mov_b32 s3, 0xbfe62e42
	v_cndmask_b32_e64 v11, v15, 0x7ff00000, s0
	v_cndmask_b32_e64 v10, v14, 0, s0
	s_mov_b32 s0, 0x652b82fe
	s_mov_b32 s1, 0x3ff71547
	s_delay_alu instid0(VALU_DEP_2) | instskip(SKIP_2) | instid1(VALU_DEP_1)
	v_cndmask_b32_e32 v11, v11, v1, vcc_lo
	v_fma_f64 v[2:3], v[8:9], v[0:1], -v[6:7]
	v_cndmask_b32_e32 v10, v10, v0, vcc_lo
	v_fma_f64 v[0:1], v[8:9], v[0:1], -v[10:11]
	s_delay_alu instid0(VALU_DEP_3) | instskip(NEXT) | instid1(VALU_DEP_2)
	v_mul_f64 v[6:7], v[2:3], s[0:1]
	v_mul_f64 v[10:11], v[0:1], s[0:1]
	s_mov_b32 s0, 0x2a1b768b
	s_mov_b32 s1, 0x3e5af4eb
	s_delay_alu instid0(VALU_DEP_2) | instskip(NEXT) | instid1(VALU_DEP_2)
	v_rndne_f64_e32 v[6:7], v[6:7]
	v_rndne_f64_e32 v[10:11], v[10:11]
	s_delay_alu instid0(VALU_DEP_2) | instskip(SKIP_2) | instid1(VALU_DEP_4)
	v_fma_f64 v[8:9], v[6:7], s[2:3], v[2:3]
	v_cvt_i32_f64_e32 v18, v[6:7]
	v_cmp_eq_f64_e32 vcc_lo, 0x40900000, v[6:7]
	v_fma_f64 v[14:15], v[10:11], s[2:3], v[0:1]
	s_mov_b32 s3, 0x40862e42
	s_delay_alu instid0(SALU_CYCLE_1)
	v_cmp_nlt_f64_e64 s2, s[2:3], v[2:3]
	v_cmp_ngt_f64_e64 s3, 0xc0428000, v[2:3]
	v_fma_f64 v[8:9], v[6:7], s[4:5], v[8:9]
	v_cndmask_b32_e64 v6, v18, 0x3ff, vcc_lo
	v_fma_f64 v[14:15], v[10:11], s[4:5], v[14:15]
	s_mov_b32 s4, 0xfca7ab0c
	s_mov_b32 s5, 0x3e928af3
	s_delay_alu instid0(VALU_DEP_2) | instskip(NEXT) | instid1(VALU_DEP_4)
	v_ldexp_f64 v[6:7], 1.0, v6
	v_fma_f64 v[12:13], v[8:9], s[6:7], s[0:1]
	s_mov_b32 s0, 0xe0ac05b
	s_mov_b32 s1, 0x3e927e50
	;; [unrolled: 1-line block ×4, first 2 shown]
	s_delay_alu instid0(VALU_DEP_3) | instid1(SALU_CYCLE_1)
	v_fma_f64 v[16:17], v[14:15], s[6:7], s[4:5]
	s_mov_b32 s4, 0x623fde64
	s_mov_b32 s5, 0x3ec71dee
	s_delay_alu instid0(VALU_DEP_3) | instskip(NEXT) | instid1(VALU_DEP_3)
	v_add_f64 v[18:19], v[6:7], -1.0
	v_fma_f64 v[12:13], v[8:9], v[12:13], s[0:1]
	s_mov_b32 s0, 0x1b889c29
	s_mov_b32 s1, 0x3ec71de0
	s_delay_alu instid0(VALU_DEP_3) | instskip(SKIP_2) | instid1(VALU_DEP_2)
	v_fma_f64 v[16:17], v[14:15], v[16:17], s[4:5]
	s_mov_b32 s4, 0x7c89e6b0
	s_mov_b32 s5, 0x3efa0199
	v_fma_f64 v[12:13], v[8:9], v[12:13], s[0:1]
	s_mov_b32 s0, 0x197bcfd8
	s_mov_b32 s1, 0x3efa01a0
	s_delay_alu instid0(VALU_DEP_2) | instskip(SKIP_2) | instid1(VALU_DEP_2)
	v_fma_f64 v[16:17], v[14:15], v[16:17], s[4:5]
	s_mov_b32 s5, 0x3f56c16c
	s_mov_b32 s4, 0x16c18931
	v_fma_f64 v[12:13], v[8:9], v[12:13], s[0:1]
	s_mov_b32 s1, 0x3f2a01a0
	s_mov_b32 s0, 0x1ac1a723
	s_delay_alu instid0(VALU_DEP_1) | instid1(SALU_CYCLE_1)
	v_fma_f64 v[12:13], v[8:9], v[12:13], s[0:1]
	s_mov_b32 s0, 0x14761f6e
	s_delay_alu instid0(VALU_DEP_3) | instid1(SALU_CYCLE_1)
	v_fma_f64 v[16:17], v[14:15], v[16:17], s[0:1]
	s_mov_b32 s1, 0x3f811111
	s_mov_b32 s0, 0x11110056
	s_delay_alu instid0(VALU_DEP_2)
	v_fma_f64 v[12:13], v[8:9], v[12:13], s[4:5]
	s_mov_b32 s4, 0x1852b7b0
	s_delay_alu instid0(VALU_DEP_2) | instid1(SALU_CYCLE_1)
	v_fma_f64 v[16:17], v[14:15], v[16:17], s[4:5]
	s_mov_b32 s5, 0x3fa55555
	s_mov_b32 s4, 0x55555552
	s_delay_alu instid0(VALU_DEP_2)
	v_fma_f64 v[12:13], v[8:9], v[12:13], s[0:1]
	s_mov_b32 s0, 0x11122322
	s_delay_alu instid0(VALU_DEP_2) | instid1(SALU_CYCLE_1)
	v_fma_f64 v[16:17], v[14:15], v[16:17], s[0:1]
	s_mov_b32 s1, 0x3fc55555
	s_mov_b32 s0, 0x55555557
	s_delay_alu instid0(VALU_DEP_2)
	v_fma_f64 v[12:13], v[8:9], v[12:13], s[4:5]
	s_mov_b32 s4, 0x555502a1
	s_delay_alu instid0(VALU_DEP_2) | instid1(SALU_CYCLE_1)
	v_fma_f64 v[16:17], v[14:15], v[16:17], s[4:5]
	s_delay_alu instid0(VALU_DEP_2)
	v_fma_f64 v[12:13], v[8:9], v[12:13], s[0:1]
	s_mov_b32 s0, 0x55555511
	s_delay_alu instid0(VALU_DEP_2) | instid1(SALU_CYCLE_1)
	v_fma_f64 v[16:17], v[14:15], v[16:17], s[0:1]
	s_mov_b32 s0, 11
	s_mov_b32 s1, 0x3fe00000
	s_delay_alu instid0(VALU_DEP_2) | instskip(NEXT) | instid1(VALU_DEP_2)
	v_fma_f64 v[12:13], v[8:9], v[12:13], 0.5
	v_fma_f64 v[16:17], v[14:15], v[16:17], s[0:1]
	v_cmp_nlt_f64_e64 s0, 0x40900000, v[0:1]
	v_cmp_ngt_f64_e64 s1, 0xc090cc00, v[0:1]
	s_delay_alu instid0(VALU_DEP_4) | instskip(NEXT) | instid1(VALU_DEP_1)
	v_mul_f64 v[12:13], v[8:9], v[12:13]
	v_fma_f64 v[8:9], v[8:9], v[12:13], v[8:9]
	v_fma_f64 v[12:13], v[14:15], v[16:17], 1.0
	v_cvt_i32_f64_e32 v16, v[10:11]
	s_delay_alu instid0(VALU_DEP_3) | instskip(NEXT) | instid1(VALU_DEP_3)
	v_fma_f64 v[6:7], v[6:7], v[8:9], v[18:19]
	v_fma_f64 v[8:9], v[14:15], v[12:13], 1.0
	s_delay_alu instid0(VALU_DEP_2) | instskip(NEXT) | instid1(VALU_DEP_2)
	v_add_f64 v[10:11], v[6:7], v[6:7]
	v_ldexp_f64 v[8:9], v[8:9], v16
	s_delay_alu instid0(VALU_DEP_2) | instskip(NEXT) | instid1(VALU_DEP_2)
	v_cndmask_b32_e64 v7, -v7, -v11, vcc_lo
	v_cndmask_b32_e64 v9, 0x7ff00000, v9, s0
	s_delay_alu instid0(VALU_DEP_4) | instskip(SKIP_1) | instid1(VALU_DEP_3)
	v_cndmask_b32_e32 v2, v6, v10, vcc_lo
	s_and_b32 vcc_lo, s1, s0
	v_cndmask_b32_e64 v7, 0xfff00000, v7, s2
	v_cndmask_b32_e32 v0, 0, v8, vcc_lo
	s_and_b32 vcc_lo, s3, s2
	v_cndmask_b32_e64 v1, 0, v9, s1
	v_cndmask_b32_e32 v2, 0, v2, vcc_lo
	v_cndmask_b32_e64 v3, 0x3ff00000, v7, s3
	s_delay_alu instid0(VALU_DEP_1)
	v_fma_f64 v[0:1], -v[4:5], v[0:1], v[2:3]
	s_setpc_b64 s[30:31]
.Lfunc_end2:
	.size	_ZN12_GLOBAL__N_120_igamc_helper_seriesIdEET_S1_S1_, .Lfunc_end2-_ZN12_GLOBAL__N_120_igamc_helper_seriesIdEET_S1_S1_
                                        ; -- End function
	.section	.AMDGPU.csdata,"",@progbits
; Function info:
; codeLenInByte = 20488
; NumSgprs: 34
; NumVgprs: 54
; ScratchSize: 0
; MemoryBound: 0
	.text
	.p2align	2                               ; -- Begin function _ZN12_GLOBAL__N_112calc_igammacIdEET_S1_S1_
	.type	_ZN12_GLOBAL__N_112calc_igammacIdEET_S1_S1_,@function
_ZN12_GLOBAL__N_112calc_igammacIdEET_S1_S1_: ; @_ZN12_GLOBAL__N_112calc_igammacIdEET_S1_S1_
; %bb.0:
	s_waitcnt vmcnt(0) expcnt(0) lgkmcnt(0)
	s_mov_b32 s0, s33
	s_mov_b32 s33, s32
	s_or_saveexec_b32 s1, -1
	s_clause 0x1
	scratch_store_b32 off, v40, s33
	; meta instruction
	scratch_store_b32 off, v41, s33 offset:4
	s_mov_b32 exec_lo, s1
	v_writelane_b32 v40, s0, 2
	v_writelane_b32 v40, s30, 0
	s_add_i32 s32, s32, 16
	v_writelane_b32 v40, s31, 1
	v_dual_mov_b32 v97, v3 :: v_dual_mov_b32 v96, v2
	v_dual_mov_b32 v99, v1 :: v_dual_mov_b32 v98, v0
	s_delay_alu instid0(VALU_DEP_2) | instskip(NEXT) | instid1(VALU_DEP_2)
	v_max_f64 v[0:1], v[96:97], v[96:97]
	v_max_f64 v[2:3], v[98:99], v[98:99]
	s_delay_alu instid0(VALU_DEP_1) | instskip(NEXT) | instid1(VALU_DEP_1)
	v_min_f64 v[0:1], v[2:3], v[0:1]
	v_cmp_ngt_f64_e32 vcc_lo, 0, v[0:1]
	v_mov_b32_e32 v0, 0
	v_mov_b32_e32 v1, 0x7ff80000
	s_and_saveexec_b32 s22, vcc_lo
	s_cbranch_execz .LBB3_58
; %bb.1:
                                        ; implicit-def: $vgpr0_vgpr1
	s_mov_b32 s0, exec_lo
	v_cmpx_neq_f64_e32 0, v[98:99]
	s_xor_b32 s23, exec_lo, s0
	s_cbranch_execz .LBB3_53
; %bb.2:
	v_mov_b32_e32 v0, 0
	v_mov_b32_e32 v1, 0x3ff00000
	s_mov_b32 s24, exec_lo
	v_cmpx_neq_f64_e32 0, v[96:97]
	s_cbranch_execz .LBB3_52
; %bb.3:
	v_cmp_neq_f64_e64 s0, 0x7ff00000, |v[96:97]|
                                        ; implicit-def: $vgpr0_vgpr1
	s_mov_b32 s2, exec_lo
	v_cmpx_neq_f64_e64 0x7ff00000, |v[98:99]|
	s_xor_b32 s25, exec_lo, s2
	s_cbranch_execz .LBB3_47
; %bb.4:
	v_mov_b32_e32 v0, 0
	v_mov_b32_e32 v1, 0
	s_delay_alu instid0(VALU_DEP_4)
	s_and_saveexec_b32 s26, s0
	s_cbranch_execz .LBB3_46
; %bb.5:
	v_add_f64 v[0:1], v[96:97], -v[98:99]
	s_mov_b32 s0, 0x33333333
	s_mov_b32 s1, 0x3fd33333
	s_delay_alu instid0(VALU_DEP_1) | instskip(NEXT) | instid1(VALU_DEP_1)
	v_dual_mov_b32 v2, v0 :: v_dual_and_b32 v3, 0x7fffffff, v1
	v_div_scale_f64 v[4:5], null, v[98:99], v[98:99], v[2:3]
	v_div_scale_f64 v[2:3], vcc_lo, v[2:3], v[98:99], v[2:3]
	s_delay_alu instid0(VALU_DEP_2) | instskip(SKIP_2) | instid1(VALU_DEP_1)
	v_rcp_f64_e32 v[6:7], v[4:5]
	s_waitcnt_depctr 0xfff
	v_fma_f64 v[8:9], -v[4:5], v[6:7], 1.0
	v_fma_f64 v[6:7], v[6:7], v[8:9], v[6:7]
	s_delay_alu instid0(VALU_DEP_1) | instskip(NEXT) | instid1(VALU_DEP_1)
	v_fma_f64 v[8:9], -v[4:5], v[6:7], 1.0
	v_fma_f64 v[6:7], v[6:7], v[8:9], v[6:7]
	s_delay_alu instid0(VALU_DEP_1) | instskip(NEXT) | instid1(VALU_DEP_1)
	v_mul_f64 v[8:9], v[2:3], v[6:7]
	v_fma_f64 v[2:3], -v[4:5], v[8:9], v[2:3]
	s_delay_alu instid0(VALU_DEP_1) | instskip(SKIP_1) | instid1(VALU_DEP_2)
	v_div_fmas_f64 v[2:3], v[2:3], v[6:7], v[8:9]
	v_cmp_ngt_f64_e32 vcc_lo, 0x40690000, v[98:99]
	v_div_fixup_f64 v[2:3], v[2:3], v[98:99], |v[0:1]|
                                        ; implicit-def: $vgpr0_vgpr1
	s_delay_alu instid0(VALU_DEP_1) | instskip(SKIP_1) | instid1(VALU_DEP_2)
	v_cmp_ngt_f64_e64 s0, s[0:1], v[2:3]
	v_cmp_nlt_f64_e64 s1, 0x40340000, v[98:99]
	s_or_b32 s0, vcc_lo, s0
	s_delay_alu instid0(VALU_DEP_1) | instid1(SALU_CYCLE_1)
	s_or_b32 s0, s0, s1
	s_delay_alu instid0(SALU_CYCLE_1) | instskip(NEXT) | instid1(SALU_CYCLE_1)
	s_and_saveexec_b32 s1, s0
	s_xor_b32 s27, exec_lo, s1
	s_cbranch_execz .LBB3_43
; %bb.6:
	s_mov_b32 s1, -1
	s_mov_b32 s21, 0
	s_mov_b32 s0, exec_lo
	v_cmpx_lt_f64_e32 0x40690000, v[98:99]
	s_cbranch_execz .LBB3_8
; %bb.7:
	v_cmp_gt_f64_e32 vcc_lo, 0x10000000, v[98:99]
	s_mov_b32 s21, exec_lo
	v_cndmask_b32_e64 v0, 0, 1, vcc_lo
	s_delay_alu instid0(VALU_DEP_1) | instskip(NEXT) | instid1(VALU_DEP_1)
	v_lshlrev_b32_e32 v0, 8, v0
	v_ldexp_f64 v[0:1], v[98:99], v0
	s_delay_alu instid0(VALU_DEP_1) | instskip(SKIP_3) | instid1(VALU_DEP_1)
	v_rsq_f64_e32 v[4:5], v[0:1]
	s_waitcnt_depctr 0xfff
	v_mul_f64 v[6:7], v[0:1], v[4:5]
	v_mul_f64 v[4:5], v[4:5], 0.5
	v_fma_f64 v[8:9], -v[4:5], v[6:7], 0.5
	s_delay_alu instid0(VALU_DEP_1) | instskip(SKIP_1) | instid1(VALU_DEP_2)
	v_fma_f64 v[6:7], v[6:7], v[8:9], v[6:7]
	v_fma_f64 v[4:5], v[4:5], v[8:9], v[4:5]
	v_fma_f64 v[8:9], -v[6:7], v[6:7], v[0:1]
	s_delay_alu instid0(VALU_DEP_1) | instskip(NEXT) | instid1(VALU_DEP_1)
	v_fma_f64 v[6:7], v[8:9], v[4:5], v[6:7]
	v_fma_f64 v[8:9], -v[6:7], v[6:7], v[0:1]
	s_delay_alu instid0(VALU_DEP_1) | instskip(SKIP_2) | instid1(VALU_DEP_2)
	v_fma_f64 v[4:5], v[8:9], v[4:5], v[6:7]
	v_cndmask_b32_e64 v6, 0, 0xffffff80, vcc_lo
	v_cmp_class_f64_e64 vcc_lo, v[0:1], 0x260
	v_ldexp_f64 v[4:5], v[4:5], v6
	s_delay_alu instid0(VALU_DEP_1) | instskip(NEXT) | instid1(VALU_DEP_1)
	v_dual_cndmask_b32 v1, v5, v1 :: v_dual_cndmask_b32 v0, v4, v0
	v_div_scale_f64 v[4:5], null, v[0:1], v[0:1], 0x40120000
	s_delay_alu instid0(VALU_DEP_1) | instskip(SKIP_2) | instid1(VALU_DEP_1)
	v_rcp_f64_e32 v[6:7], v[4:5]
	s_waitcnt_depctr 0xfff
	v_fma_f64 v[8:9], -v[4:5], v[6:7], 1.0
	v_fma_f64 v[6:7], v[6:7], v[8:9], v[6:7]
	s_delay_alu instid0(VALU_DEP_1) | instskip(NEXT) | instid1(VALU_DEP_1)
	v_fma_f64 v[8:9], -v[4:5], v[6:7], 1.0
	v_fma_f64 v[6:7], v[6:7], v[8:9], v[6:7]
	v_div_scale_f64 v[8:9], vcc_lo, 0x40120000, v[0:1], 0x40120000
	s_delay_alu instid0(VALU_DEP_1) | instskip(NEXT) | instid1(VALU_DEP_1)
	v_mul_f64 v[10:11], v[8:9], v[6:7]
	v_fma_f64 v[4:5], -v[4:5], v[10:11], v[8:9]
	s_delay_alu instid0(VALU_DEP_1) | instskip(NEXT) | instid1(VALU_DEP_1)
	v_div_fmas_f64 v[4:5], v[4:5], v[6:7], v[10:11]
	v_div_fixup_f64 v[0:1], v[4:5], v[0:1], 0x40120000
	s_delay_alu instid0(VALU_DEP_1)
	v_cmp_nlt_f64_e32 vcc_lo, v[2:3], v[0:1]
	s_or_not1_b32 s1, vcc_lo, exec_lo
.LBB3_8:
	s_or_b32 exec_lo, exec_lo, s0
                                        ; implicit-def: $vgpr0_vgpr1
	s_and_saveexec_b32 s0, s1
	s_delay_alu instid0(SALU_CYCLE_1)
	s_xor_b32 s28, exec_lo, s0
	s_cbranch_execz .LBB3_40
; %bb.9:
	s_mov_b32 s0, 0x9999999a
	s_mov_b32 s1, 0x3ff19999
                                        ; implicit-def: $vgpr0_vgpr1
	s_delay_alu instid0(SALU_CYCLE_1) | instskip(SKIP_1) | instid1(SALU_CYCLE_1)
	v_cmp_nlt_f64_e32 vcc_lo, s[0:1], v[96:97]
	s_and_saveexec_b32 s0, vcc_lo
	s_xor_b32 s20, exec_lo, s0
	s_cbranch_execz .LBB3_31
; %bb.10:
                                        ; implicit-def: $vgpr0_vgpr1
	s_mov_b32 s0, exec_lo
	v_cmpx_ge_f64_e32 0.5, v[96:97]
	s_xor_b32 s29, exec_lo, s0
                                        ; implicit-def: $vgpr41 : SGPR spill to VGPR lane
	s_cbranch_execz .LBB3_20
; %bb.11:
	v_frexp_mant_f64_e32 v[0:1], v[96:97]
	s_mov_b32 s1, 0x3fe55555
	s_mov_b32 s0, 0x55555555
	v_mov_b32_e32 v2, 0
	s_mov_b32 s2, 0x6b47b09a
	s_mov_b32 s4, 0xbf559e2b
	;; [unrolled: 1-line block ×4, first 2 shown]
	s_delay_alu instid0(VALU_DEP_2) | instskip(SKIP_2) | instid1(VALU_DEP_1)
	v_cmp_gt_f64_e32 vcc_lo, s[0:1], v[0:1]
	s_mov_b32 s0, 0x55555780
	v_cndmask_b32_e64 v3, 0x3ff00000, 2.0, vcc_lo
	v_mul_f64 v[0:1], v[0:1], v[2:3]
	s_delay_alu instid0(VALU_DEP_1) | instskip(SKIP_1) | instid1(VALU_DEP_2)
	v_add_f64 v[2:3], v[0:1], 1.0
	v_add_f64 v[8:9], v[0:1], -1.0
	v_rcp_f64_e32 v[4:5], v[2:3]
	v_add_f64 v[10:11], v[2:3], -1.0
	s_delay_alu instid0(VALU_DEP_1) | instskip(SKIP_2) | instid1(VALU_DEP_1)
	v_add_f64 v[0:1], v[0:1], -v[10:11]
	s_waitcnt_depctr 0xfff
	v_fma_f64 v[6:7], -v[2:3], v[4:5], 1.0
	v_fma_f64 v[4:5], v[6:7], v[4:5], v[4:5]
	s_delay_alu instid0(VALU_DEP_1) | instskip(NEXT) | instid1(VALU_DEP_1)
	v_fma_f64 v[6:7], -v[2:3], v[4:5], 1.0
	v_fma_f64 v[4:5], v[6:7], v[4:5], v[4:5]
	s_delay_alu instid0(VALU_DEP_1) | instskip(NEXT) | instid1(VALU_DEP_1)
	v_mul_f64 v[6:7], v[8:9], v[4:5]
	v_mul_f64 v[12:13], v[2:3], v[6:7]
	s_delay_alu instid0(VALU_DEP_1) | instskip(NEXT) | instid1(VALU_DEP_1)
	v_fma_f64 v[2:3], v[6:7], v[2:3], -v[12:13]
	v_fma_f64 v[0:1], v[6:7], v[0:1], v[2:3]
	s_delay_alu instid0(VALU_DEP_1) | instskip(NEXT) | instid1(VALU_DEP_1)
	v_add_f64 v[2:3], v[12:13], v[0:1]
	v_add_f64 v[10:11], v[8:9], -v[2:3]
	v_add_f64 v[12:13], v[2:3], -v[12:13]
	s_delay_alu instid0(VALU_DEP_2) | instskip(NEXT) | instid1(VALU_DEP_2)
	v_add_f64 v[8:9], v[8:9], -v[10:11]
	v_add_f64 v[0:1], v[12:13], -v[0:1]
	v_frexp_exp_i32_f64_e32 v12, v[96:97]
	s_delay_alu instid0(VALU_DEP_3) | instskip(NEXT) | instid1(VALU_DEP_1)
	v_add_f64 v[2:3], v[8:9], -v[2:3]
	v_add_f64 v[0:1], v[0:1], v[2:3]
	s_delay_alu instid0(VALU_DEP_1) | instskip(NEXT) | instid1(VALU_DEP_1)
	v_add_f64 v[0:1], v[10:11], v[0:1]
	v_mul_f64 v[0:1], v[4:5], v[0:1]
	s_delay_alu instid0(VALU_DEP_1) | instskip(NEXT) | instid1(VALU_DEP_1)
	v_add_f64 v[2:3], v[6:7], v[0:1]
	v_mul_f64 v[4:5], v[2:3], v[2:3]
	s_delay_alu instid0(VALU_DEP_1) | instskip(SKIP_3) | instid1(VALU_DEP_2)
	v_fma_f64 v[8:9], v[4:5], s[4:5], s[2:3]
	s_mov_b32 s2, 0xd7f4df2e
	s_mov_b32 s3, 0x3fc7474d
	v_mul_f64 v[10:11], v[2:3], v[4:5]
	v_fma_f64 v[8:9], v[4:5], v[8:9], s[2:3]
	s_mov_b32 s2, 0x16291751
	s_mov_b32 s3, 0x3fcc71c0
	s_delay_alu instid0(VALU_DEP_1) | instid1(SALU_CYCLE_1)
	v_fma_f64 v[8:9], v[4:5], v[8:9], s[2:3]
	s_mov_b32 s2, 0x9b27acf1
	s_mov_b32 s3, 0x3fd24924
	s_delay_alu instid0(VALU_DEP_1) | instid1(SALU_CYCLE_1)
	;; [unrolled: 4-line block ×3, first 2 shown]
	v_fma_f64 v[8:9], v[4:5], v[8:9], s[2:3]
	s_delay_alu instid0(VALU_DEP_1) | instskip(SKIP_4) | instid1(VALU_DEP_3)
	v_fma_f64 v[4:5], v[4:5], v[8:9], s[0:1]
	v_ldexp_f64 v[8:9], v[2:3], 1
	v_add_f64 v[2:3], v[2:3], -v[6:7]
	s_mov_b32 s0, 0xfefa39ef
	s_mov_b32 s1, 0x3fe62e42
	v_mul_f64 v[4:5], v[10:11], v[4:5]
	v_subrev_co_ci_u32_e32 v10, vcc_lo, 0, v12, vcc_lo
	s_delay_alu instid0(VALU_DEP_3) | instskip(NEXT) | instid1(VALU_DEP_2)
	v_add_f64 v[0:1], v[0:1], -v[2:3]
	v_cvt_f64_i32_e32 v[10:11], v10
	s_delay_alu instid0(VALU_DEP_4) | instskip(NEXT) | instid1(VALU_DEP_3)
	v_add_f64 v[6:7], v[8:9], v[4:5]
	v_ldexp_f64 v[0:1], v[0:1], 1
	s_delay_alu instid0(VALU_DEP_3) | instskip(NEXT) | instid1(VALU_DEP_3)
	v_mul_f64 v[12:13], v[10:11], s[0:1]
	v_add_f64 v[2:3], v[6:7], -v[8:9]
	s_delay_alu instid0(VALU_DEP_2) | instskip(SKIP_2) | instid1(VALU_DEP_2)
	v_fma_f64 v[8:9], v[10:11], s[0:1], -v[12:13]
	s_mov_b32 s0, 0x3b39803f
	s_mov_b32 s1, 0x3c7abc9e
	v_add_f64 v[2:3], v[4:5], -v[2:3]
	s_delay_alu instid0(VALU_DEP_2) | instskip(SKIP_2) | instid1(VALU_DEP_2)
	v_fma_f64 v[4:5], v[10:11], s[0:1], v[8:9]
	s_mov_b32 s0, 0x9999999a
	s_mov_b32 s1, 0xbfd99999
	v_add_f64 v[0:1], v[0:1], v[2:3]
	s_delay_alu instid0(VALU_DEP_2) | instskip(NEXT) | instid1(VALU_DEP_2)
	v_add_f64 v[2:3], v[12:13], v[4:5]
	v_add_f64 v[8:9], v[6:7], v[0:1]
	s_delay_alu instid0(VALU_DEP_2) | instskip(NEXT) | instid1(VALU_DEP_2)
	v_add_f64 v[12:13], v[2:3], -v[12:13]
	v_add_f64 v[10:11], v[2:3], v[8:9]
	v_add_f64 v[6:7], v[8:9], -v[6:7]
	s_delay_alu instid0(VALU_DEP_3) | instskip(NEXT) | instid1(VALU_DEP_3)
	v_add_f64 v[4:5], v[4:5], -v[12:13]
	v_add_f64 v[14:15], v[10:11], -v[2:3]
	s_delay_alu instid0(VALU_DEP_3) | instskip(NEXT) | instid1(VALU_DEP_2)
	v_add_f64 v[0:1], v[0:1], -v[6:7]
	v_add_f64 v[16:17], v[10:11], -v[14:15]
	;; [unrolled: 1-line block ×3, first 2 shown]
	s_delay_alu instid0(VALU_DEP_3) | instskip(NEXT) | instid1(VALU_DEP_3)
	v_add_f64 v[8:9], v[4:5], v[0:1]
	v_add_f64 v[2:3], v[2:3], -v[16:17]
	s_delay_alu instid0(VALU_DEP_1) | instskip(NEXT) | instid1(VALU_DEP_3)
	v_add_f64 v[2:3], v[6:7], v[2:3]
	v_add_f64 v[6:7], v[8:9], -v[4:5]
	s_delay_alu instid0(VALU_DEP_2) | instskip(NEXT) | instid1(VALU_DEP_2)
	v_add_f64 v[2:3], v[8:9], v[2:3]
	v_add_f64 v[8:9], v[8:9], -v[6:7]
	v_add_f64 v[0:1], v[0:1], -v[6:7]
	s_delay_alu instid0(VALU_DEP_3) | instskip(NEXT) | instid1(VALU_DEP_3)
	v_add_f64 v[12:13], v[10:11], v[2:3]
	v_add_f64 v[4:5], v[4:5], -v[8:9]
	s_delay_alu instid0(VALU_DEP_2) | instskip(NEXT) | instid1(VALU_DEP_2)
	v_add_f64 v[6:7], v[12:13], -v[10:11]
	v_add_f64 v[0:1], v[0:1], v[4:5]
	s_delay_alu instid0(VALU_DEP_2) | instskip(NEXT) | instid1(VALU_DEP_1)
	v_add_f64 v[2:3], v[2:3], -v[6:7]
	v_add_f64 v[0:1], v[0:1], v[2:3]
	s_delay_alu instid0(VALU_DEP_1) | instskip(NEXT) | instid1(VALU_DEP_1)
	v_add_f64 v[0:1], v[12:13], v[0:1]
	v_div_scale_f64 v[2:3], null, v[0:1], v[0:1], s[0:1]
	s_delay_alu instid0(VALU_DEP_1) | instskip(SKIP_2) | instid1(VALU_DEP_1)
	v_rcp_f64_e32 v[4:5], v[2:3]
	s_waitcnt_depctr 0xfff
	v_fma_f64 v[6:7], -v[2:3], v[4:5], 1.0
	v_fma_f64 v[4:5], v[4:5], v[6:7], v[4:5]
	s_delay_alu instid0(VALU_DEP_1) | instskip(NEXT) | instid1(VALU_DEP_1)
	v_fma_f64 v[6:7], -v[2:3], v[4:5], 1.0
	v_fma_f64 v[4:5], v[4:5], v[6:7], v[4:5]
	v_div_scale_f64 v[6:7], vcc_lo, s[0:1], v[0:1], s[0:1]
	s_delay_alu instid0(VALU_DEP_1) | instskip(NEXT) | instid1(VALU_DEP_1)
	v_mul_f64 v[8:9], v[6:7], v[4:5]
	v_fma_f64 v[2:3], -v[2:3], v[8:9], v[6:7]
	s_delay_alu instid0(VALU_DEP_1) | instskip(NEXT) | instid1(VALU_DEP_1)
	v_div_fmas_f64 v[2:3], v[2:3], v[4:5], v[8:9]
	v_div_fixup_f64 v[0:1], v[2:3], v[0:1], s[0:1]
	s_delay_alu instid0(VALU_DEP_1) | instskip(SKIP_1) | instid1(SALU_CYCLE_1)
	v_cmp_nlt_f64_e32 vcc_lo, v[0:1], v[98:99]
                                        ; implicit-def: $vgpr0_vgpr1
	s_and_saveexec_b32 s0, vcc_lo
	s_xor_b32 s12, exec_lo, s0
	s_cbranch_execz .LBB3_13
; %bb.12:
	v_dual_mov_b32 v0, v98 :: v_dual_mov_b32 v1, v99
	v_dual_mov_b32 v2, v96 :: v_dual_mov_b32 v3, v97
	s_getpc_b64 s[0:1]
	s_add_u32 s0, s0, _ZN12_GLOBAL__N_120_igamc_helper_seriesIdEET_S1_S1_@rel32@lo+4
	s_addc_u32 s1, s1, _ZN12_GLOBAL__N_120_igamc_helper_seriesIdEET_S1_S1_@rel32@hi+12
	s_delay_alu instid0(SALU_CYCLE_1)
	s_swappc_b64 s[30:31], s[0:1]
.LBB3_13:
	s_and_not1_saveexec_b32 s0, s12
	s_cbranch_execz .LBB3_19
; %bb.14:
	v_dual_mov_b32 v0, v98 :: v_dual_mov_b32 v1, v99
	v_dual_mov_b32 v2, v96 :: v_dual_mov_b32 v3, v97
	v_writelane_b32 v41, s0, 0
	s_getpc_b64 s[0:1]
	s_add_u32 s0, s0, _ZN12_GLOBAL__N_116_igam_helper_facIdEET_S1_S1_@rel32@lo+4
	s_addc_u32 s1, s1, _ZN12_GLOBAL__N_116_igam_helper_facIdEET_S1_S1_@rel32@hi+12
	s_delay_alu instid0(SALU_CYCLE_1)
	s_swappc_b64 s[30:31], s[0:1]
	v_mov_b32_e32 v2, 0
	v_mov_b32_e32 v3, 0
	s_mov_b32 s0, exec_lo
	v_cmpx_neq_f64_e32 0, v[0:1]
	s_cbranch_execz .LBB3_18
; %bb.15:
	v_mov_b32_e32 v6, 0
	v_dual_mov_b32 v7, 0x3ff00000 :: v_dual_mov_b32 v4, v98
	s_delay_alu instid0(VALU_DEP_2) | instskip(SKIP_1) | instid1(VALU_DEP_2)
	v_dual_mov_b32 v5, v99 :: v_dual_mov_b32 v2, v6
	s_movk_i32 s2, 0x7cf
	v_mov_b32_e32 v3, v7
	s_mov_b32 s1, 0
	s_set_inst_prefetch_distance 0x1
.LBB3_16:                               ; =>This Inner Loop Header: Depth=1
	v_add_f64 v[4:5], v[4:5], 1.0
	s_cmp_eq_u32 s2, 0
	s_cselect_b32 s3, -1, 0
	s_add_i32 s2, s2, -1
	s_delay_alu instid0(VALU_DEP_1) | instskip(SKIP_1) | instid1(VALU_DEP_2)
	v_div_scale_f64 v[8:9], null, v[4:5], v[4:5], v[96:97]
	v_div_scale_f64 v[14:15], vcc_lo, v[96:97], v[4:5], v[96:97]
	v_rcp_f64_e32 v[10:11], v[8:9]
	s_waitcnt_depctr 0xfff
	v_fma_f64 v[12:13], -v[8:9], v[10:11], 1.0
	s_delay_alu instid0(VALU_DEP_1) | instskip(NEXT) | instid1(VALU_DEP_1)
	v_fma_f64 v[10:11], v[10:11], v[12:13], v[10:11]
	v_fma_f64 v[12:13], -v[8:9], v[10:11], 1.0
	s_delay_alu instid0(VALU_DEP_1) | instskip(NEXT) | instid1(VALU_DEP_1)
	v_fma_f64 v[10:11], v[10:11], v[12:13], v[10:11]
	v_mul_f64 v[12:13], v[14:15], v[10:11]
	s_delay_alu instid0(VALU_DEP_1) | instskip(NEXT) | instid1(VALU_DEP_1)
	v_fma_f64 v[8:9], -v[8:9], v[12:13], v[14:15]
	v_div_fmas_f64 v[8:9], v[8:9], v[10:11], v[12:13]
	s_delay_alu instid0(VALU_DEP_1) | instskip(NEXT) | instid1(VALU_DEP_1)
	v_div_fixup_f64 v[8:9], v[8:9], v[4:5], v[96:97]
	v_fma_f64 v[2:3], v[6:7], v[8:9], v[2:3]
	v_mul_f64 v[6:7], v[6:7], v[8:9]
	s_delay_alu instid0(VALU_DEP_2) | instskip(NEXT) | instid1(VALU_DEP_1)
	v_ldexp_f64 v[8:9], v[2:3], 0xffffffcb
	v_cmp_le_f64_e32 vcc_lo, v[6:7], v[8:9]
	s_or_b32 s3, vcc_lo, s3
	s_delay_alu instid0(SALU_CYCLE_1) | instskip(NEXT) | instid1(SALU_CYCLE_1)
	s_and_b32 s3, exec_lo, s3
	s_or_b32 s1, s3, s1
	s_delay_alu instid0(SALU_CYCLE_1)
	s_and_not1_b32 exec_lo, exec_lo, s1
	s_cbranch_execnz .LBB3_16
; %bb.17:
	s_set_inst_prefetch_distance 0x2
	s_or_b32 exec_lo, exec_lo, s1
	v_mul_f64 v[0:1], v[0:1], v[2:3]
	s_delay_alu instid0(VALU_DEP_1) | instskip(NEXT) | instid1(VALU_DEP_1)
	v_div_scale_f64 v[2:3], null, v[98:99], v[98:99], v[0:1]
	v_rcp_f64_e32 v[4:5], v[2:3]
	s_waitcnt_depctr 0xfff
	v_fma_f64 v[6:7], -v[2:3], v[4:5], 1.0
	s_delay_alu instid0(VALU_DEP_1) | instskip(NEXT) | instid1(VALU_DEP_1)
	v_fma_f64 v[4:5], v[4:5], v[6:7], v[4:5]
	v_fma_f64 v[6:7], -v[2:3], v[4:5], 1.0
	s_delay_alu instid0(VALU_DEP_1) | instskip(SKIP_1) | instid1(VALU_DEP_1)
	v_fma_f64 v[4:5], v[4:5], v[6:7], v[4:5]
	v_div_scale_f64 v[6:7], vcc_lo, v[0:1], v[98:99], v[0:1]
	v_mul_f64 v[8:9], v[6:7], v[4:5]
	s_delay_alu instid0(VALU_DEP_1) | instskip(NEXT) | instid1(VALU_DEP_1)
	v_fma_f64 v[2:3], -v[2:3], v[8:9], v[6:7]
	v_div_fmas_f64 v[2:3], v[2:3], v[4:5], v[8:9]
	s_delay_alu instid0(VALU_DEP_1)
	v_div_fixup_f64 v[2:3], v[2:3], v[98:99], v[0:1]
.LBB3_18:
	s_or_b32 exec_lo, exec_lo, s0
	s_delay_alu instid0(VALU_DEP_1)
	v_add_f64 v[0:1], -v[2:3], 1.0
	v_readlane_b32 s0, v41, 0
.LBB3_19:
	s_delay_alu instid0(VALU_DEP_1)
	s_or_b32 exec_lo, exec_lo, s0
.LBB3_20:
	s_and_not1_saveexec_b32 s29, s29
	s_cbranch_execz .LBB3_30
; %bb.21:
	s_mov_b32 s0, 0x9999999a
	s_mov_b32 s1, 0x3ff19999
	s_delay_alu instid0(SALU_CYCLE_1) | instskip(NEXT) | instid1(VALU_DEP_1)
	v_mul_f64 v[0:1], v[96:97], s[0:1]
	v_cmp_nlt_f64_e32 vcc_lo, v[0:1], v[98:99]
                                        ; implicit-def: $vgpr0_vgpr1
	s_and_saveexec_b32 s0, vcc_lo
	s_delay_alu instid0(SALU_CYCLE_1)
	s_xor_b32 s12, exec_lo, s0
	s_cbranch_execz .LBB3_23
; %bb.22:
	v_dual_mov_b32 v0, v98 :: v_dual_mov_b32 v1, v99
	v_dual_mov_b32 v2, v96 :: v_dual_mov_b32 v3, v97
	s_getpc_b64 s[0:1]
	s_add_u32 s0, s0, _ZN12_GLOBAL__N_120_igamc_helper_seriesIdEET_S1_S1_@rel32@lo+4
	s_addc_u32 s1, s1, _ZN12_GLOBAL__N_120_igamc_helper_seriesIdEET_S1_S1_@rel32@hi+12
	s_delay_alu instid0(SALU_CYCLE_1)
	s_swappc_b64 s[30:31], s[0:1]
.LBB3_23:
	s_and_not1_saveexec_b32 s0, s12
	s_cbranch_execz .LBB3_29
; %bb.24:
	v_dual_mov_b32 v0, v98 :: v_dual_mov_b32 v1, v99
	v_dual_mov_b32 v2, v96 :: v_dual_mov_b32 v3, v97
	v_writelane_b32 v41, s0, 1
	s_getpc_b64 s[0:1]
	s_add_u32 s0, s0, _ZN12_GLOBAL__N_116_igam_helper_facIdEET_S1_S1_@rel32@lo+4
	s_addc_u32 s1, s1, _ZN12_GLOBAL__N_116_igam_helper_facIdEET_S1_S1_@rel32@hi+12
	s_delay_alu instid0(SALU_CYCLE_1)
	s_swappc_b64 s[30:31], s[0:1]
	v_mov_b32_e32 v2, 0
	v_mov_b32_e32 v3, 0
	s_mov_b32 s0, exec_lo
	v_cmpx_neq_f64_e32 0, v[0:1]
	s_cbranch_execz .LBB3_28
; %bb.25:
	v_mov_b32_e32 v6, 0
	v_dual_mov_b32 v7, 0x3ff00000 :: v_dual_mov_b32 v4, v98
	s_delay_alu instid0(VALU_DEP_2) | instskip(SKIP_1) | instid1(VALU_DEP_2)
	v_dual_mov_b32 v5, v99 :: v_dual_mov_b32 v2, v6
	s_movk_i32 s2, 0x7cf
	v_mov_b32_e32 v3, v7
	s_mov_b32 s1, 0
	s_set_inst_prefetch_distance 0x1
.LBB3_26:                               ; =>This Inner Loop Header: Depth=1
	v_add_f64 v[4:5], v[4:5], 1.0
	s_cmp_eq_u32 s2, 0
	s_cselect_b32 s3, -1, 0
	s_add_i32 s2, s2, -1
	s_delay_alu instid0(VALU_DEP_1) | instskip(SKIP_1) | instid1(VALU_DEP_2)
	v_div_scale_f64 v[8:9], null, v[4:5], v[4:5], v[96:97]
	v_div_scale_f64 v[14:15], vcc_lo, v[96:97], v[4:5], v[96:97]
	v_rcp_f64_e32 v[10:11], v[8:9]
	s_waitcnt_depctr 0xfff
	v_fma_f64 v[12:13], -v[8:9], v[10:11], 1.0
	s_delay_alu instid0(VALU_DEP_1) | instskip(NEXT) | instid1(VALU_DEP_1)
	v_fma_f64 v[10:11], v[10:11], v[12:13], v[10:11]
	v_fma_f64 v[12:13], -v[8:9], v[10:11], 1.0
	s_delay_alu instid0(VALU_DEP_1) | instskip(NEXT) | instid1(VALU_DEP_1)
	v_fma_f64 v[10:11], v[10:11], v[12:13], v[10:11]
	v_mul_f64 v[12:13], v[14:15], v[10:11]
	s_delay_alu instid0(VALU_DEP_1) | instskip(NEXT) | instid1(VALU_DEP_1)
	v_fma_f64 v[8:9], -v[8:9], v[12:13], v[14:15]
	v_div_fmas_f64 v[8:9], v[8:9], v[10:11], v[12:13]
	s_delay_alu instid0(VALU_DEP_1) | instskip(NEXT) | instid1(VALU_DEP_1)
	v_div_fixup_f64 v[8:9], v[8:9], v[4:5], v[96:97]
	v_fma_f64 v[2:3], v[6:7], v[8:9], v[2:3]
	v_mul_f64 v[6:7], v[6:7], v[8:9]
	s_delay_alu instid0(VALU_DEP_2) | instskip(NEXT) | instid1(VALU_DEP_1)
	v_ldexp_f64 v[8:9], v[2:3], 0xffffffcb
	v_cmp_le_f64_e32 vcc_lo, v[6:7], v[8:9]
	s_or_b32 s3, vcc_lo, s3
	s_delay_alu instid0(SALU_CYCLE_1) | instskip(NEXT) | instid1(SALU_CYCLE_1)
	s_and_b32 s3, exec_lo, s3
	s_or_b32 s1, s3, s1
	s_delay_alu instid0(SALU_CYCLE_1)
	s_and_not1_b32 exec_lo, exec_lo, s1
	s_cbranch_execnz .LBB3_26
; %bb.27:
	s_set_inst_prefetch_distance 0x2
	s_or_b32 exec_lo, exec_lo, s1
	v_mul_f64 v[0:1], v[0:1], v[2:3]
	s_delay_alu instid0(VALU_DEP_1) | instskip(NEXT) | instid1(VALU_DEP_1)
	v_div_scale_f64 v[2:3], null, v[98:99], v[98:99], v[0:1]
	v_rcp_f64_e32 v[4:5], v[2:3]
	s_waitcnt_depctr 0xfff
	v_fma_f64 v[6:7], -v[2:3], v[4:5], 1.0
	s_delay_alu instid0(VALU_DEP_1) | instskip(NEXT) | instid1(VALU_DEP_1)
	v_fma_f64 v[4:5], v[4:5], v[6:7], v[4:5]
	v_fma_f64 v[6:7], -v[2:3], v[4:5], 1.0
	s_delay_alu instid0(VALU_DEP_1) | instskip(SKIP_1) | instid1(VALU_DEP_1)
	v_fma_f64 v[4:5], v[4:5], v[6:7], v[4:5]
	v_div_scale_f64 v[6:7], vcc_lo, v[0:1], v[98:99], v[0:1]
	v_mul_f64 v[8:9], v[6:7], v[4:5]
	s_delay_alu instid0(VALU_DEP_1) | instskip(NEXT) | instid1(VALU_DEP_1)
	v_fma_f64 v[2:3], -v[2:3], v[8:9], v[6:7]
	v_div_fmas_f64 v[2:3], v[2:3], v[4:5], v[8:9]
	s_delay_alu instid0(VALU_DEP_1)
	v_div_fixup_f64 v[2:3], v[2:3], v[98:99], v[0:1]
.LBB3_28:
	s_or_b32 exec_lo, exec_lo, s0
	s_delay_alu instid0(VALU_DEP_1)
	v_add_f64 v[0:1], -v[2:3], 1.0
	v_readlane_b32 s0, v41, 1
.LBB3_29:
	s_delay_alu instid0(VALU_DEP_1)
	s_or_b32 exec_lo, exec_lo, s0
.LBB3_30:
	s_delay_alu instid0(SALU_CYCLE_1)
	s_or_b32 exec_lo, exec_lo, s29
.LBB3_31:
	s_and_not1_saveexec_b32 s29, s20
	s_cbranch_execz .LBB3_68
; %bb.32:
	v_dual_mov_b32 v0, v98 :: v_dual_mov_b32 v1, v99
	v_dual_mov_b32 v2, v96 :: v_dual_mov_b32 v3, v97
	v_cmp_nlt_f64_e64 s20, v[96:97], v[98:99]
	s_getpc_b64 s[0:1]
	s_add_u32 s0, s0, _ZN12_GLOBAL__N_116_igam_helper_facIdEET_S1_S1_@rel32@lo+4
	s_addc_u32 s1, s1, _ZN12_GLOBAL__N_116_igam_helper_facIdEET_S1_S1_@rel32@hi+12
	s_delay_alu instid0(SALU_CYCLE_1) | instskip(SKIP_1) | instid1(VALU_DEP_1)
	s_swappc_b64 s[30:31], s[0:1]
	v_dual_mov_b32 v2, v0 :: v_dual_mov_b32 v3, v1
                                        ; implicit-def: $vgpr0_vgpr1
	v_cmp_neq_f64_e64 s0, 0, v[2:3]
	s_delay_alu instid0(VALU_DEP_3) | instskip(NEXT) | instid1(SALU_CYCLE_1)
	s_and_saveexec_b32 s1, s20
	s_xor_b32 s1, exec_lo, s1
	s_cbranch_execz .LBB3_61
; %bb.33:
	v_mov_b32_e32 v0, 0
	v_mov_b32_e32 v1, 0
	s_delay_alu instid0(VALU_DEP_3)
	s_and_saveexec_b32 s2, s0
	s_cbranch_execz .LBB3_60
; %bb.34:
	v_add_f64 v[0:1], -v[98:99], 1.0
	v_add_f64 v[8:9], v[96:97], 1.0
	v_dual_mov_b32 v20, v96 :: v_dual_mov_b32 v21, v97
	s_movk_i32 s4, 0x7cf
	s_mov_b32 s3, 0
	s_delay_alu instid0(VALU_DEP_3) | instskip(NEXT) | instid1(VALU_DEP_1)
	v_add_f64 v[4:5], v[0:1], v[96:97]
	v_add_f64 v[4:5], v[4:5], 1.0
	s_delay_alu instid0(VALU_DEP_1) | instskip(NEXT) | instid1(VALU_DEP_1)
	v_mul_f64 v[6:7], v[4:5], v[96:97]
	v_div_scale_f64 v[10:11], null, v[6:7], v[6:7], v[8:9]
	s_delay_alu instid0(VALU_DEP_1) | instskip(SKIP_2) | instid1(VALU_DEP_1)
	v_rcp_f64_e32 v[12:13], v[10:11]
	s_waitcnt_depctr 0xfff
	v_fma_f64 v[14:15], -v[10:11], v[12:13], 1.0
	v_fma_f64 v[12:13], v[12:13], v[14:15], v[12:13]
	s_delay_alu instid0(VALU_DEP_1) | instskip(NEXT) | instid1(VALU_DEP_1)
	v_fma_f64 v[14:15], -v[10:11], v[12:13], 1.0
	v_fma_f64 v[12:13], v[12:13], v[14:15], v[12:13]
	v_div_scale_f64 v[14:15], vcc_lo, v[8:9], v[6:7], v[8:9]
	s_delay_alu instid0(VALU_DEP_1) | instskip(NEXT) | instid1(VALU_DEP_1)
	v_mul_f64 v[16:17], v[14:15], v[12:13]
	v_fma_f64 v[10:11], -v[10:11], v[16:17], v[14:15]
	s_delay_alu instid0(VALU_DEP_1) | instskip(SKIP_2) | instid1(VALU_DEP_3)
	v_div_fmas_f64 v[10:11], v[10:11], v[12:13], v[16:17]
	v_mov_b32_e32 v12, 0
	v_mov_b32_e32 v13, 0
	v_div_fixup_f64 v[14:15], v[10:11], v[6:7], v[8:9]
	v_mov_b32_e32 v10, 0
	v_mov_b32_e32 v11, 0x3ff00000
	s_delay_alu instid0(VALU_DEP_1)
	v_dual_mov_b32 v19, v11 :: v_dual_mov_b32 v18, v10
	s_branch .LBB3_36
.LBB3_35:                               ;   in Loop: Header=BB3_36 Depth=1
	s_or_b32 exec_lo, exec_lo, s5
	s_delay_alu instid0(VALU_DEP_3) | instskip(SKIP_1) | instid1(VALU_DEP_3)
	v_cmp_ge_f64_e32 vcc_lo, 0x3ca00000, v[20:21]
	s_cmp_eq_u32 s4, 0
	v_dual_mov_b32 v21, v7 :: v_dual_mov_b32 v20, v6
	s_cselect_b32 s5, -1, 0
	s_delay_alu instid0(VALU_DEP_3) | instskip(SKIP_4) | instid1(SALU_CYCLE_1)
	v_dual_mov_b32 v6, v18 :: v_dual_mov_b32 v7, v19
	v_dual_mov_b32 v19, v9 :: v_dual_mov_b32 v18, v8
	s_add_i32 s4, s4, -1
	v_dual_mov_b32 v8, v16 :: v_dual_mov_b32 v9, v17
	s_or_b32 s5, vcc_lo, s5
	s_and_b32 s5, exec_lo, s5
	s_delay_alu instid0(SALU_CYCLE_1) | instskip(NEXT) | instid1(SALU_CYCLE_1)
	s_or_b32 s3, s5, s3
	s_and_not1_b32 exec_lo, exec_lo, s3
	s_cbranch_execz .LBB3_59
.LBB3_36:                               ; =>This Inner Loop Header: Depth=1
	v_add_f64 v[12:13], v[12:13], 1.0
	v_add_f64 v[0:1], v[0:1], 1.0
	;; [unrolled: 1-line block ×3, first 2 shown]
	s_mov_b32 s5, exec_lo
	s_delay_alu instid0(VALU_DEP_2) | instskip(NEXT) | instid1(VALU_DEP_1)
	v_mul_f64 v[16:17], v[12:13], v[0:1]
	v_mul_f64 v[20:21], v[20:21], v[16:17]
	;; [unrolled: 1-line block ×3, first 2 shown]
	s_delay_alu instid0(VALU_DEP_2) | instskip(NEXT) | instid1(VALU_DEP_2)
	v_fma_f64 v[18:19], v[6:7], v[4:5], -v[20:21]
	v_fma_f64 v[16:17], v[8:9], v[4:5], -v[16:17]
	v_dual_mov_b32 v21, v11 :: v_dual_mov_b32 v20, v10
	s_delay_alu instid0(VALU_DEP_3)
	v_cmpx_neq_f64_e32 0, v[18:19]
	s_cbranch_execz .LBB3_38
; %bb.37:                               ;   in Loop: Header=BB3_36 Depth=1
	s_delay_alu instid0(VALU_DEP_3) | instskip(SKIP_1) | instid1(VALU_DEP_2)
	v_div_scale_f64 v[20:21], null, v[18:19], v[18:19], v[16:17]
	v_div_scale_f64 v[26:27], vcc_lo, v[16:17], v[18:19], v[16:17]
	v_rcp_f64_e32 v[22:23], v[20:21]
	s_waitcnt_depctr 0xfff
	v_fma_f64 v[24:25], -v[20:21], v[22:23], 1.0
	s_delay_alu instid0(VALU_DEP_1) | instskip(NEXT) | instid1(VALU_DEP_1)
	v_fma_f64 v[22:23], v[22:23], v[24:25], v[22:23]
	v_fma_f64 v[24:25], -v[20:21], v[22:23], 1.0
	s_delay_alu instid0(VALU_DEP_1) | instskip(NEXT) | instid1(VALU_DEP_1)
	v_fma_f64 v[22:23], v[22:23], v[24:25], v[22:23]
	v_mul_f64 v[24:25], v[26:27], v[22:23]
	s_delay_alu instid0(VALU_DEP_1) | instskip(NEXT) | instid1(VALU_DEP_1)
	v_fma_f64 v[20:21], -v[20:21], v[24:25], v[26:27]
	v_div_fmas_f64 v[20:21], v[20:21], v[22:23], v[24:25]
	s_delay_alu instid0(VALU_DEP_1) | instskip(NEXT) | instid1(VALU_DEP_1)
	v_div_fixup_f64 v[22:23], v[20:21], v[18:19], v[16:17]
	v_add_f64 v[14:15], v[14:15], -v[22:23]
	s_delay_alu instid0(VALU_DEP_1) | instskip(SKIP_1) | instid1(VALU_DEP_2)
	v_div_scale_f64 v[20:21], null, v[22:23], v[22:23], v[14:15]
	v_div_scale_f64 v[28:29], vcc_lo, v[14:15], v[22:23], v[14:15]
	v_rcp_f64_e32 v[24:25], v[20:21]
	s_waitcnt_depctr 0xfff
	v_fma_f64 v[26:27], -v[20:21], v[24:25], 1.0
	s_delay_alu instid0(VALU_DEP_1) | instskip(NEXT) | instid1(VALU_DEP_1)
	v_fma_f64 v[24:25], v[24:25], v[26:27], v[24:25]
	v_fma_f64 v[26:27], -v[20:21], v[24:25], 1.0
	s_delay_alu instid0(VALU_DEP_1) | instskip(NEXT) | instid1(VALU_DEP_1)
	v_fma_f64 v[24:25], v[24:25], v[26:27], v[24:25]
	v_mul_f64 v[26:27], v[28:29], v[24:25]
	s_delay_alu instid0(VALU_DEP_1) | instskip(NEXT) | instid1(VALU_DEP_1)
	v_fma_f64 v[20:21], -v[20:21], v[26:27], v[28:29]
	v_div_fmas_f64 v[20:21], v[20:21], v[24:25], v[26:27]
	s_delay_alu instid0(VALU_DEP_1) | instskip(SKIP_1) | instid1(VALU_DEP_2)
	v_div_fixup_f64 v[20:21], v[20:21], v[22:23], v[14:15]
	v_dual_mov_b32 v14, v22 :: v_dual_mov_b32 v15, v23
	v_and_b32_e32 v21, 0x7fffffff, v21
.LBB3_38:                               ;   in Loop: Header=BB3_36 Depth=1
	s_or_b32 exec_lo, exec_lo, s5
	s_delay_alu instid0(SALU_CYCLE_1) | instskip(NEXT) | instid1(VALU_DEP_3)
	s_mov_b32 s5, exec_lo
	v_cmpx_lt_f64_e64 0x43300000, |v[16:17]|
	s_cbranch_execz .LBB3_35
; %bb.39:                               ;   in Loop: Header=BB3_36 Depth=1
	v_ldexp_f64 v[8:9], v[8:9], 0xffffffcc
	v_ldexp_f64 v[16:17], v[16:17], 0xffffffcc
	v_ldexp_f64 v[6:7], v[6:7], 0xffffffcc
	v_ldexp_f64 v[18:19], v[18:19], 0xffffffcc
	s_branch .LBB3_35
.LBB3_40:
	s_or_b32 exec_lo, exec_lo, s28
	s_and_saveexec_b32 s28, s21
	s_cbranch_execz .LBB3_42
.LBB3_41:
	v_dual_mov_b32 v0, v98 :: v_dual_mov_b32 v1, v99
	v_dual_mov_b32 v2, v96 :: v_dual_mov_b32 v3, v97
	v_mov_b32_e32 v4, 0
	s_getpc_b64 s[0:1]
	s_add_u32 s0, s0, _ZN12_GLOBAL__N_130_igam_helper_asymptotic_seriesIdEET_S1_S1_b@rel32@lo+4
	s_addc_u32 s1, s1, _ZN12_GLOBAL__N_130_igam_helper_asymptotic_seriesIdEET_S1_S1_b@rel32@hi+12
	s_delay_alu instid0(SALU_CYCLE_1)
	s_swappc_b64 s[30:31], s[0:1]
.LBB3_42:
	s_or_b32 exec_lo, exec_lo, s28
                                        ; implicit-def: $vgpr98_vgpr99
                                        ; implicit-def: $vgpr96_vgpr97
.LBB3_43:
	s_and_not1_saveexec_b32 s27, s27
	s_cbranch_execz .LBB3_45
; %bb.44:
	v_dual_mov_b32 v0, v98 :: v_dual_mov_b32 v1, v99
	v_dual_mov_b32 v2, v96 :: v_dual_mov_b32 v3, v97
	v_mov_b32_e32 v4, 0
	s_getpc_b64 s[0:1]
	s_add_u32 s0, s0, _ZN12_GLOBAL__N_130_igam_helper_asymptotic_seriesIdEET_S1_S1_b@rel32@lo+4
	s_addc_u32 s1, s1, _ZN12_GLOBAL__N_130_igam_helper_asymptotic_seriesIdEET_S1_S1_b@rel32@hi+12
	s_delay_alu instid0(SALU_CYCLE_1)
	s_swappc_b64 s[30:31], s[0:1]
.LBB3_45:
	s_or_b32 exec_lo, exec_lo, s27
.LBB3_46:
	s_delay_alu instid0(SALU_CYCLE_1)
	s_or_b32 exec_lo, exec_lo, s26
                                        ; implicit-def: $vgpr96_vgpr97
.LBB3_47:
	s_and_not1_saveexec_b32 s0, s25
	s_cbranch_execz .LBB3_51
; %bb.48:
	v_cmp_class_f64_e64 s2, v[96:97], 0x204
	v_mov_b32_e32 v0, 0
	v_mov_b32_e32 v1, 0x3ff00000
	s_delay_alu instid0(VALU_DEP_3)
	s_and_saveexec_b32 s1, s2
; %bb.49:
	v_mov_b32_e32 v0, 0
	v_mov_b32_e32 v1, 0x7ff80000
; %bb.50:
	s_or_b32 exec_lo, exec_lo, s1
.LBB3_51:
	s_delay_alu instid0(SALU_CYCLE_1)
	s_or_b32 exec_lo, exec_lo, s0
.LBB3_52:
	s_delay_alu instid0(SALU_CYCLE_1)
	s_or_b32 exec_lo, exec_lo, s24
                                        ; implicit-def: $vgpr96_vgpr97
.LBB3_53:
	s_and_not1_saveexec_b32 s0, s23
	s_cbranch_execz .LBB3_57
; %bb.54:
	v_mov_b32_e32 v0, 0
	v_mov_b32_e32 v1, 0
	s_mov_b32 s1, exec_lo
	v_cmpx_nlt_f64_e32 0, v[96:97]
; %bb.55:
	v_mov_b32_e32 v0, 0
	v_mov_b32_e32 v1, 0x7ff80000
; %bb.56:
	s_or_b32 exec_lo, exec_lo, s1
.LBB3_57:
	s_delay_alu instid0(SALU_CYCLE_1)
	s_or_b32 exec_lo, exec_lo, s0
.LBB3_58:
	s_delay_alu instid0(SALU_CYCLE_1)
	s_or_b32 exec_lo, exec_lo, s22
	v_readlane_b32 s30, v40, 0
	v_readlane_b32 s31, v40, 1
	;; [unrolled: 1-line block ×3, first 2 shown]
	s_or_saveexec_b32 s1, -1
	s_clause 0x1
	scratch_load_b32 v40, off, s33
	scratch_load_b32 v41, off, s33 offset:4
	s_mov_b32 exec_lo, s1
	s_add_i32 s32, s32, -16
	s_mov_b32 s33, s0
	s_waitcnt vmcnt(0)
	s_setpc_b64 s[30:31]
.LBB3_59:
	s_or_b32 exec_lo, exec_lo, s3
	v_mul_f64 v[0:1], v[2:3], v[14:15]
.LBB3_60:
	s_or_b32 exec_lo, exec_lo, s2
                                        ; implicit-def: $vgpr2_vgpr3
.LBB3_61:
	s_and_not1_saveexec_b32 s1, s1
	s_cbranch_execz .LBB3_67
; %bb.62:
	v_mov_b32_e32 v0, 0
	v_mov_b32_e32 v1, 0
	s_delay_alu instid0(VALU_DEP_3)
	s_and_saveexec_b32 s2, s0
	s_cbranch_execz .LBB3_66
; %bb.63:
	v_mov_b32_e32 v6, 0
	v_dual_mov_b32 v7, 0x3ff00000 :: v_dual_mov_b32 v4, v98
	s_delay_alu instid0(VALU_DEP_2) | instskip(SKIP_1) | instid1(VALU_DEP_2)
	v_dual_mov_b32 v5, v99 :: v_dual_mov_b32 v0, v6
	s_movk_i32 s3, 0x7cf
	v_mov_b32_e32 v1, v7
	s_mov_b32 s0, 0
	s_set_inst_prefetch_distance 0x1
.LBB3_64:                               ; =>This Inner Loop Header: Depth=1
	v_add_f64 v[4:5], v[4:5], 1.0
	s_cmp_eq_u32 s3, 0
	s_cselect_b32 s4, -1, 0
	s_add_i32 s3, s3, -1
	s_delay_alu instid0(VALU_DEP_1) | instskip(SKIP_1) | instid1(VALU_DEP_2)
	v_div_scale_f64 v[8:9], null, v[4:5], v[4:5], v[96:97]
	v_div_scale_f64 v[14:15], vcc_lo, v[96:97], v[4:5], v[96:97]
	v_rcp_f64_e32 v[10:11], v[8:9]
	s_waitcnt_depctr 0xfff
	v_fma_f64 v[12:13], -v[8:9], v[10:11], 1.0
	s_delay_alu instid0(VALU_DEP_1) | instskip(NEXT) | instid1(VALU_DEP_1)
	v_fma_f64 v[10:11], v[10:11], v[12:13], v[10:11]
	v_fma_f64 v[12:13], -v[8:9], v[10:11], 1.0
	s_delay_alu instid0(VALU_DEP_1) | instskip(NEXT) | instid1(VALU_DEP_1)
	v_fma_f64 v[10:11], v[10:11], v[12:13], v[10:11]
	v_mul_f64 v[12:13], v[14:15], v[10:11]
	s_delay_alu instid0(VALU_DEP_1) | instskip(NEXT) | instid1(VALU_DEP_1)
	v_fma_f64 v[8:9], -v[8:9], v[12:13], v[14:15]
	v_div_fmas_f64 v[8:9], v[8:9], v[10:11], v[12:13]
	s_delay_alu instid0(VALU_DEP_1) | instskip(NEXT) | instid1(VALU_DEP_1)
	v_div_fixup_f64 v[8:9], v[8:9], v[4:5], v[96:97]
	v_fma_f64 v[0:1], v[6:7], v[8:9], v[0:1]
	v_mul_f64 v[6:7], v[6:7], v[8:9]
	s_delay_alu instid0(VALU_DEP_2) | instskip(NEXT) | instid1(VALU_DEP_1)
	v_ldexp_f64 v[8:9], v[0:1], 0xffffffcb
	v_cmp_le_f64_e32 vcc_lo, v[6:7], v[8:9]
	s_or_b32 s4, vcc_lo, s4
	s_delay_alu instid0(SALU_CYCLE_1) | instskip(NEXT) | instid1(SALU_CYCLE_1)
	s_and_b32 s4, exec_lo, s4
	s_or_b32 s0, s4, s0
	s_delay_alu instid0(SALU_CYCLE_1)
	s_and_not1_b32 exec_lo, exec_lo, s0
	s_cbranch_execnz .LBB3_64
; %bb.65:
	s_set_inst_prefetch_distance 0x2
	s_or_b32 exec_lo, exec_lo, s0
	v_mul_f64 v[0:1], v[2:3], v[0:1]
	s_delay_alu instid0(VALU_DEP_1) | instskip(NEXT) | instid1(VALU_DEP_1)
	v_div_scale_f64 v[2:3], null, v[98:99], v[98:99], v[0:1]
	v_rcp_f64_e32 v[4:5], v[2:3]
	s_waitcnt_depctr 0xfff
	v_fma_f64 v[6:7], -v[2:3], v[4:5], 1.0
	s_delay_alu instid0(VALU_DEP_1) | instskip(NEXT) | instid1(VALU_DEP_1)
	v_fma_f64 v[4:5], v[4:5], v[6:7], v[4:5]
	v_fma_f64 v[6:7], -v[2:3], v[4:5], 1.0
	s_delay_alu instid0(VALU_DEP_1) | instskip(SKIP_1) | instid1(VALU_DEP_1)
	v_fma_f64 v[4:5], v[4:5], v[6:7], v[4:5]
	v_div_scale_f64 v[6:7], vcc_lo, v[0:1], v[98:99], v[0:1]
	v_mul_f64 v[8:9], v[6:7], v[4:5]
	s_delay_alu instid0(VALU_DEP_1) | instskip(NEXT) | instid1(VALU_DEP_1)
	v_fma_f64 v[2:3], -v[2:3], v[8:9], v[6:7]
	v_div_fmas_f64 v[2:3], v[2:3], v[4:5], v[8:9]
	s_delay_alu instid0(VALU_DEP_1)
	v_div_fixup_f64 v[0:1], v[2:3], v[98:99], v[0:1]
.LBB3_66:
	s_or_b32 exec_lo, exec_lo, s2
	s_delay_alu instid0(VALU_DEP_1)
	v_add_f64 v[0:1], -v[0:1], 1.0
.LBB3_67:
	s_or_b32 exec_lo, exec_lo, s1
.LBB3_68:
	s_delay_alu instid0(SALU_CYCLE_1) | instskip(NEXT) | instid1(SALU_CYCLE_1)
	s_or_b32 exec_lo, exec_lo, s29
	s_and_not1_b32 s21, s21, exec_lo
	s_or_b32 exec_lo, exec_lo, s28
	s_and_saveexec_b32 s28, s21
	s_cbranch_execnz .LBB3_41
	s_branch .LBB3_42
.Lfunc_end3:
	.size	_ZN12_GLOBAL__N_112calc_igammacIdEET_S1_S1_, .Lfunc_end3-_ZN12_GLOBAL__N_112calc_igammacIdEET_S1_S1_
                                        ; -- End function
	.section	.AMDGPU.csdata,"",@progbits
; Function info:
; codeLenInByte = 4536
; NumSgprs: 36
; NumVgprs: 100
; ScratchSize: 224
; MemoryBound: 0
	.text
	.p2align	2                               ; -- Begin function _ZN12_GLOBAL__N_111calc_igammaIdEET_S1_S1_
	.type	_ZN12_GLOBAL__N_111calc_igammaIdEET_S1_S1_,@function
_ZN12_GLOBAL__N_111calc_igammaIdEET_S1_S1_: ; @_ZN12_GLOBAL__N_111calc_igammaIdEET_S1_S1_
; %bb.0:
	s_waitcnt vmcnt(0) expcnt(0) lgkmcnt(0)
	s_mov_b32 s0, s33
	s_mov_b32 s33, s32
	s_or_saveexec_b32 s1, -1
	scratch_store_b32 off, v42, s33 offset:8 ; 4-byte Folded Spill
	s_mov_b32 exec_lo, s1
	v_writelane_b32 v42, s0, 11
	s_add_i32 s32, s32, 16
	s_clause 0x1
	scratch_store_b32 off, v40, s33 offset:4
	; meta instruction
	scratch_store_b32 off, v41, s33
	v_writelane_b32 v42, s34, 0
	v_writelane_b32 v42, s35, 1
	;; [unrolled: 1-line block ×11, first 2 shown]
	v_dual_mov_b32 v101, v3 :: v_dual_mov_b32 v100, v2
	v_dual_mov_b32 v103, v1 :: v_dual_mov_b32 v102, v0
	s_delay_alu instid0(VALU_DEP_2) | instskip(NEXT) | instid1(VALU_DEP_2)
	v_max_f64 v[0:1], v[100:101], v[100:101]
	v_max_f64 v[2:3], v[102:103], v[102:103]
	s_delay_alu instid0(VALU_DEP_1) | instskip(NEXT) | instid1(VALU_DEP_1)
	v_min_f64 v[0:1], v[2:3], v[0:1]
	v_cmp_ngt_f64_e32 vcc_lo, 0, v[0:1]
	v_mov_b32_e32 v0, 0
	v_mov_b32_e32 v1, 0x7ff80000
	s_and_saveexec_b32 s34, vcc_lo
	s_cbranch_execz .LBB4_36
; %bb.1:
                                        ; implicit-def: $vgpr0_vgpr1
	s_mov_b32 s0, exec_lo
	v_cmpx_neq_f64_e32 0, v[102:103]
	s_xor_b32 s35, exec_lo, s0
	s_cbranch_execz .LBB4_31
; %bb.2:
	v_mov_b32_e32 v0, 0
	v_mov_b32_e32 v1, 0
	s_mov_b32 s36, exec_lo
	v_cmpx_neq_f64_e32 0, v[100:101]
	s_cbranch_execz .LBB4_30
; %bb.3:
	v_cmp_neq_f64_e64 s0, 0x7ff00000, |v[100:101]|
                                        ; implicit-def: $vgpr0_vgpr1
	s_mov_b32 s2, exec_lo
	v_cmpx_neq_f64_e64 0x7ff00000, |v[102:103]|
	s_xor_b32 s37, exec_lo, s2
	s_cbranch_execz .LBB4_25
; %bb.4:
	v_mov_b32_e32 v0, 0
	v_mov_b32_e32 v1, 0x3ff00000
	s_delay_alu instid0(VALU_DEP_4)
	s_and_saveexec_b32 s38, s0
	s_cbranch_execz .LBB4_24
; %bb.5:
	v_add_f64 v[0:1], v[100:101], -v[102:103]
	s_mov_b32 s0, 0x33333333
	s_mov_b32 s1, 0x3fd33333
	s_delay_alu instid0(VALU_DEP_1) | instskip(NEXT) | instid1(VALU_DEP_1)
	v_dual_mov_b32 v2, v0 :: v_dual_and_b32 v3, 0x7fffffff, v1
	v_div_scale_f64 v[4:5], null, v[102:103], v[102:103], v[2:3]
	v_div_scale_f64 v[2:3], vcc_lo, v[2:3], v[102:103], v[2:3]
	s_delay_alu instid0(VALU_DEP_2) | instskip(SKIP_2) | instid1(VALU_DEP_1)
	v_rcp_f64_e32 v[6:7], v[4:5]
	s_waitcnt_depctr 0xfff
	v_fma_f64 v[8:9], -v[4:5], v[6:7], 1.0
	v_fma_f64 v[6:7], v[6:7], v[8:9], v[6:7]
	s_delay_alu instid0(VALU_DEP_1) | instskip(NEXT) | instid1(VALU_DEP_1)
	v_fma_f64 v[8:9], -v[4:5], v[6:7], 1.0
	v_fma_f64 v[6:7], v[6:7], v[8:9], v[6:7]
	s_delay_alu instid0(VALU_DEP_1) | instskip(NEXT) | instid1(VALU_DEP_1)
	v_mul_f64 v[8:9], v[2:3], v[6:7]
	v_fma_f64 v[2:3], -v[4:5], v[8:9], v[2:3]
	s_delay_alu instid0(VALU_DEP_1) | instskip(SKIP_1) | instid1(VALU_DEP_2)
	v_div_fmas_f64 v[2:3], v[2:3], v[6:7], v[8:9]
	v_cmp_ngt_f64_e32 vcc_lo, 0x40690000, v[102:103]
	v_div_fixup_f64 v[2:3], v[2:3], v[102:103], |v[0:1]|
                                        ; implicit-def: $vgpr0_vgpr1
	s_delay_alu instid0(VALU_DEP_1) | instskip(SKIP_1) | instid1(VALU_DEP_2)
	v_cmp_ngt_f64_e64 s0, s[0:1], v[2:3]
	v_cmp_nlt_f64_e64 s1, 0x40340000, v[102:103]
	s_or_b32 s0, vcc_lo, s0
	s_delay_alu instid0(VALU_DEP_1) | instid1(SALU_CYCLE_1)
	s_or_b32 s0, s0, s1
	s_delay_alu instid0(SALU_CYCLE_1) | instskip(NEXT) | instid1(SALU_CYCLE_1)
	s_and_saveexec_b32 s1, s0
	s_xor_b32 s39, exec_lo, s1
	s_cbranch_execz .LBB4_21
; %bb.6:
	s_mov_b32 s1, -1
	s_mov_b32 s40, 0
	s_mov_b32 s0, exec_lo
	v_cmpx_lt_f64_e32 0x40690000, v[102:103]
	s_cbranch_execz .LBB4_8
; %bb.7:
	v_cmp_gt_f64_e32 vcc_lo, 0x10000000, v[102:103]
	s_mov_b32 s40, exec_lo
	v_cndmask_b32_e64 v0, 0, 1, vcc_lo
	s_delay_alu instid0(VALU_DEP_1) | instskip(NEXT) | instid1(VALU_DEP_1)
	v_lshlrev_b32_e32 v0, 8, v0
	v_ldexp_f64 v[0:1], v[102:103], v0
	s_delay_alu instid0(VALU_DEP_1) | instskip(SKIP_3) | instid1(VALU_DEP_1)
	v_rsq_f64_e32 v[4:5], v[0:1]
	s_waitcnt_depctr 0xfff
	v_mul_f64 v[6:7], v[0:1], v[4:5]
	v_mul_f64 v[4:5], v[4:5], 0.5
	v_fma_f64 v[8:9], -v[4:5], v[6:7], 0.5
	s_delay_alu instid0(VALU_DEP_1) | instskip(SKIP_1) | instid1(VALU_DEP_2)
	v_fma_f64 v[6:7], v[6:7], v[8:9], v[6:7]
	v_fma_f64 v[4:5], v[4:5], v[8:9], v[4:5]
	v_fma_f64 v[8:9], -v[6:7], v[6:7], v[0:1]
	s_delay_alu instid0(VALU_DEP_1) | instskip(NEXT) | instid1(VALU_DEP_1)
	v_fma_f64 v[6:7], v[8:9], v[4:5], v[6:7]
	v_fma_f64 v[8:9], -v[6:7], v[6:7], v[0:1]
	s_delay_alu instid0(VALU_DEP_1) | instskip(SKIP_2) | instid1(VALU_DEP_2)
	v_fma_f64 v[4:5], v[8:9], v[4:5], v[6:7]
	v_cndmask_b32_e64 v6, 0, 0xffffff80, vcc_lo
	v_cmp_class_f64_e64 vcc_lo, v[0:1], 0x260
	v_ldexp_f64 v[4:5], v[4:5], v6
	s_delay_alu instid0(VALU_DEP_1) | instskip(NEXT) | instid1(VALU_DEP_1)
	v_dual_cndmask_b32 v1, v5, v1 :: v_dual_cndmask_b32 v0, v4, v0
	v_div_scale_f64 v[4:5], null, v[0:1], v[0:1], 0x40120000
	s_delay_alu instid0(VALU_DEP_1) | instskip(SKIP_2) | instid1(VALU_DEP_1)
	v_rcp_f64_e32 v[6:7], v[4:5]
	s_waitcnt_depctr 0xfff
	v_fma_f64 v[8:9], -v[4:5], v[6:7], 1.0
	v_fma_f64 v[6:7], v[6:7], v[8:9], v[6:7]
	s_delay_alu instid0(VALU_DEP_1) | instskip(NEXT) | instid1(VALU_DEP_1)
	v_fma_f64 v[8:9], -v[4:5], v[6:7], 1.0
	v_fma_f64 v[6:7], v[6:7], v[8:9], v[6:7]
	v_div_scale_f64 v[8:9], vcc_lo, 0x40120000, v[0:1], 0x40120000
	s_delay_alu instid0(VALU_DEP_1) | instskip(NEXT) | instid1(VALU_DEP_1)
	v_mul_f64 v[10:11], v[8:9], v[6:7]
	v_fma_f64 v[4:5], -v[4:5], v[10:11], v[8:9]
	s_delay_alu instid0(VALU_DEP_1) | instskip(NEXT) | instid1(VALU_DEP_1)
	v_div_fmas_f64 v[4:5], v[4:5], v[6:7], v[10:11]
	v_div_fixup_f64 v[0:1], v[4:5], v[0:1], 0x40120000
	s_delay_alu instid0(VALU_DEP_1)
	v_cmp_nlt_f64_e32 vcc_lo, v[2:3], v[0:1]
	s_or_not1_b32 s1, vcc_lo, exec_lo
.LBB4_8:
	s_or_b32 exec_lo, exec_lo, s0
                                        ; implicit-def: $vgpr0_vgpr1
	s_and_saveexec_b32 s0, s1
	s_delay_alu instid0(SALU_CYCLE_1)
	s_xor_b32 s41, exec_lo, s0
	s_cbranch_execz .LBB4_18
; %bb.9:
	v_cmp_nlt_f64_e32 vcc_lo, 1.0, v[100:101]
	v_cmp_ngt_f64_e64 s0, v[100:101], v[102:103]
                                        ; implicit-def: $vgpr0_vgpr1
	s_delay_alu instid0(VALU_DEP_1) | instskip(NEXT) | instid1(SALU_CYCLE_1)
	s_or_b32 s0, vcc_lo, s0
	s_and_saveexec_b32 s1, s0
	s_delay_alu instid0(SALU_CYCLE_1)
	s_xor_b32 s20, exec_lo, s1
	s_cbranch_execz .LBB4_15
; %bb.10:
	v_dual_mov_b32 v0, v102 :: v_dual_mov_b32 v1, v103
	v_dual_mov_b32 v2, v100 :: v_dual_mov_b32 v3, v101
	s_getpc_b64 s[0:1]
	s_add_u32 s0, s0, _ZN12_GLOBAL__N_116_igam_helper_facIdEET_S1_S1_@rel32@lo+4
	s_addc_u32 s1, s1, _ZN12_GLOBAL__N_116_igam_helper_facIdEET_S1_S1_@rel32@hi+12
	s_delay_alu instid0(SALU_CYCLE_1) | instskip(SKIP_4) | instid1(VALU_DEP_3)
	s_swappc_b64 s[30:31], s[0:1]
	v_dual_mov_b32 v2, v0 :: v_dual_mov_b32 v3, v1
	v_mov_b32_e32 v0, 0
	v_mov_b32_e32 v1, 0
	s_mov_b32 s0, exec_lo
	v_cmpx_neq_f64_e32 0, v[2:3]
	s_cbranch_execz .LBB4_14
; %bb.11:
	v_mov_b32_e32 v6, 0
	v_dual_mov_b32 v7, 0x3ff00000 :: v_dual_mov_b32 v4, v102
	s_delay_alu instid0(VALU_DEP_2) | instskip(SKIP_1) | instid1(VALU_DEP_2)
	v_dual_mov_b32 v5, v103 :: v_dual_mov_b32 v0, v6
	s_movk_i32 s2, 0x7cf
	v_mov_b32_e32 v1, v7
	s_mov_b32 s1, 0
	s_set_inst_prefetch_distance 0x1
.LBB4_12:                               ; =>This Inner Loop Header: Depth=1
	v_add_f64 v[4:5], v[4:5], 1.0
	s_cmp_eq_u32 s2, 0
	s_cselect_b32 s3, -1, 0
	s_add_i32 s2, s2, -1
	s_delay_alu instid0(VALU_DEP_1) | instskip(SKIP_1) | instid1(VALU_DEP_2)
	v_div_scale_f64 v[8:9], null, v[4:5], v[4:5], v[100:101]
	v_div_scale_f64 v[14:15], vcc_lo, v[100:101], v[4:5], v[100:101]
	v_rcp_f64_e32 v[10:11], v[8:9]
	s_waitcnt_depctr 0xfff
	v_fma_f64 v[12:13], -v[8:9], v[10:11], 1.0
	s_delay_alu instid0(VALU_DEP_1) | instskip(NEXT) | instid1(VALU_DEP_1)
	v_fma_f64 v[10:11], v[10:11], v[12:13], v[10:11]
	v_fma_f64 v[12:13], -v[8:9], v[10:11], 1.0
	s_delay_alu instid0(VALU_DEP_1) | instskip(NEXT) | instid1(VALU_DEP_1)
	v_fma_f64 v[10:11], v[10:11], v[12:13], v[10:11]
	v_mul_f64 v[12:13], v[14:15], v[10:11]
	s_delay_alu instid0(VALU_DEP_1) | instskip(NEXT) | instid1(VALU_DEP_1)
	v_fma_f64 v[8:9], -v[8:9], v[12:13], v[14:15]
	v_div_fmas_f64 v[8:9], v[8:9], v[10:11], v[12:13]
	s_delay_alu instid0(VALU_DEP_1) | instskip(NEXT) | instid1(VALU_DEP_1)
	v_div_fixup_f64 v[8:9], v[8:9], v[4:5], v[100:101]
	v_fma_f64 v[0:1], v[6:7], v[8:9], v[0:1]
	v_mul_f64 v[6:7], v[6:7], v[8:9]
	s_delay_alu instid0(VALU_DEP_2) | instskip(NEXT) | instid1(VALU_DEP_1)
	v_ldexp_f64 v[8:9], v[0:1], 0xffffffcb
	v_cmp_le_f64_e32 vcc_lo, v[6:7], v[8:9]
	s_or_b32 s3, vcc_lo, s3
	s_delay_alu instid0(SALU_CYCLE_1) | instskip(NEXT) | instid1(SALU_CYCLE_1)
	s_and_b32 s3, exec_lo, s3
	s_or_b32 s1, s3, s1
	s_delay_alu instid0(SALU_CYCLE_1)
	s_and_not1_b32 exec_lo, exec_lo, s1
	s_cbranch_execnz .LBB4_12
; %bb.13:
	s_set_inst_prefetch_distance 0x2
	s_or_b32 exec_lo, exec_lo, s1
	v_mul_f64 v[0:1], v[2:3], v[0:1]
	s_delay_alu instid0(VALU_DEP_1) | instskip(NEXT) | instid1(VALU_DEP_1)
	v_div_scale_f64 v[2:3], null, v[102:103], v[102:103], v[0:1]
	v_rcp_f64_e32 v[4:5], v[2:3]
	s_waitcnt_depctr 0xfff
	v_fma_f64 v[6:7], -v[2:3], v[4:5], 1.0
	s_delay_alu instid0(VALU_DEP_1) | instskip(NEXT) | instid1(VALU_DEP_1)
	v_fma_f64 v[4:5], v[4:5], v[6:7], v[4:5]
	v_fma_f64 v[6:7], -v[2:3], v[4:5], 1.0
	s_delay_alu instid0(VALU_DEP_1) | instskip(SKIP_1) | instid1(VALU_DEP_1)
	v_fma_f64 v[4:5], v[4:5], v[6:7], v[4:5]
	v_div_scale_f64 v[6:7], vcc_lo, v[0:1], v[102:103], v[0:1]
	v_mul_f64 v[8:9], v[6:7], v[4:5]
	s_delay_alu instid0(VALU_DEP_1) | instskip(NEXT) | instid1(VALU_DEP_1)
	v_fma_f64 v[2:3], -v[2:3], v[8:9], v[6:7]
	v_div_fmas_f64 v[2:3], v[2:3], v[4:5], v[8:9]
	s_delay_alu instid0(VALU_DEP_1)
	v_div_fixup_f64 v[0:1], v[2:3], v[102:103], v[0:1]
.LBB4_14:
	s_or_b32 exec_lo, exec_lo, s0
.LBB4_15:
	s_and_not1_saveexec_b32 s42, s20
	s_cbranch_execz .LBB4_17
; %bb.16:
	v_dual_mov_b32 v0, v102 :: v_dual_mov_b32 v1, v103
	v_dual_mov_b32 v2, v100 :: v_dual_mov_b32 v3, v101
	s_getpc_b64 s[0:1]
	s_add_u32 s0, s0, _ZN12_GLOBAL__N_112calc_igammacIdEET_S1_S1_@rel32@lo+4
	s_addc_u32 s1, s1, _ZN12_GLOBAL__N_112calc_igammacIdEET_S1_S1_@rel32@hi+12
	s_delay_alu instid0(SALU_CYCLE_1)
	s_swappc_b64 s[30:31], s[0:1]
	v_add_f64 v[0:1], -v[0:1], 1.0
.LBB4_17:
	s_or_b32 exec_lo, exec_lo, s42
	s_delay_alu instid0(SALU_CYCLE_1)
	s_and_not1_b32 s40, s40, exec_lo
	s_or_b32 exec_lo, exec_lo, s41
	s_and_saveexec_b32 s22, s40
	s_cbranch_execnz .LBB4_19
	s_branch .LBB4_20
.LBB4_18:
	s_or_b32 exec_lo, exec_lo, s41
	s_and_saveexec_b32 s22, s40
	s_cbranch_execz .LBB4_20
.LBB4_19:
	v_dual_mov_b32 v0, v102 :: v_dual_mov_b32 v1, v103
	v_dual_mov_b32 v2, v100 :: v_dual_mov_b32 v3, v101
	v_mov_b32_e32 v4, 1
	s_getpc_b64 s[0:1]
	s_add_u32 s0, s0, _ZN12_GLOBAL__N_130_igam_helper_asymptotic_seriesIdEET_S1_S1_b@rel32@lo+4
	s_addc_u32 s1, s1, _ZN12_GLOBAL__N_130_igam_helper_asymptotic_seriesIdEET_S1_S1_b@rel32@hi+12
	s_delay_alu instid0(SALU_CYCLE_1)
	s_swappc_b64 s[30:31], s[0:1]
.LBB4_20:
	s_or_b32 exec_lo, exec_lo, s22
                                        ; implicit-def: $vgpr102_vgpr103
                                        ; implicit-def: $vgpr100_vgpr101
.LBB4_21:
	s_and_not1_saveexec_b32 s22, s39
	s_cbranch_execz .LBB4_23
; %bb.22:
	v_dual_mov_b32 v0, v102 :: v_dual_mov_b32 v1, v103
	v_dual_mov_b32 v2, v100 :: v_dual_mov_b32 v3, v101
	v_mov_b32_e32 v4, 1
	s_getpc_b64 s[0:1]
	s_add_u32 s0, s0, _ZN12_GLOBAL__N_130_igam_helper_asymptotic_seriesIdEET_S1_S1_b@rel32@lo+4
	s_addc_u32 s1, s1, _ZN12_GLOBAL__N_130_igam_helper_asymptotic_seriesIdEET_S1_S1_b@rel32@hi+12
	s_delay_alu instid0(SALU_CYCLE_1)
	s_swappc_b64 s[30:31], s[0:1]
.LBB4_23:
	s_or_b32 exec_lo, exec_lo, s22
.LBB4_24:
	s_delay_alu instid0(SALU_CYCLE_1)
	s_or_b32 exec_lo, exec_lo, s38
                                        ; implicit-def: $vgpr100_vgpr101
.LBB4_25:
	s_and_not1_saveexec_b32 s0, s37
	s_cbranch_execz .LBB4_29
; %bb.26:
	v_cmp_class_f64_e64 s2, v[100:101], 0x204
	v_mov_b32_e32 v0, 0
	v_mov_b32_e32 v1, 0
	s_delay_alu instid0(VALU_DEP_3)
	s_and_saveexec_b32 s1, s2
; %bb.27:
	v_mov_b32_e32 v0, 0
	v_mov_b32_e32 v1, 0x7ff80000
; %bb.28:
	s_or_b32 exec_lo, exec_lo, s1
.LBB4_29:
	s_delay_alu instid0(SALU_CYCLE_1)
	s_or_b32 exec_lo, exec_lo, s0
.LBB4_30:
	s_delay_alu instid0(SALU_CYCLE_1)
	s_or_b32 exec_lo, exec_lo, s36
                                        ; implicit-def: $vgpr100_vgpr101
.LBB4_31:
	s_and_not1_saveexec_b32 s0, s35
	s_cbranch_execz .LBB4_35
; %bb.32:
	v_mov_b32_e32 v0, 0
	v_mov_b32_e32 v1, 0x3ff00000
	s_mov_b32 s1, exec_lo
	v_cmpx_nlt_f64_e32 0, v[100:101]
; %bb.33:
	v_mov_b32_e32 v0, 0
	v_mov_b32_e32 v1, 0x7ff80000
; %bb.34:
	s_or_b32 exec_lo, exec_lo, s1
.LBB4_35:
	s_delay_alu instid0(SALU_CYCLE_1)
	s_or_b32 exec_lo, exec_lo, s0
.LBB4_36:
	s_delay_alu instid0(SALU_CYCLE_1)
	s_or_b32 exec_lo, exec_lo, s34
	s_clause 0x1
	scratch_load_b32 v41, off, s33
	scratch_load_b32 v40, off, s33 offset:4
	v_readlane_b32 s30, v42, 9
	v_readlane_b32 s31, v42, 10
	;; [unrolled: 1-line block ×12, first 2 shown]
	s_or_saveexec_b32 s1, -1
	scratch_load_b32 v42, off, s33 offset:8 ; 4-byte Folded Reload
	s_mov_b32 exec_lo, s1
	s_add_i32 s32, s32, -16
	s_mov_b32 s33, s0
	s_waitcnt vmcnt(0)
	s_setpc_b64 s[30:31]
.Lfunc_end4:
	.size	_ZN12_GLOBAL__N_111calc_igammaIdEET_S1_S1_, .Lfunc_end4-_ZN12_GLOBAL__N_111calc_igammaIdEET_S1_S1_
                                        ; -- End function
	.section	.AMDGPU.csdata,"",@progbits
; Function info:
; codeLenInByte = 1836
; NumSgprs: 45
; NumVgprs: 104
; ScratchSize: 240
; MemoryBound: 0
	.section	.text._ZN2at6native29vectorized_elementwise_kernelILi16EN12_GLOBAL__N_110CalcIgammaIdEESt5arrayIPcLm3EEEEviT0_T1_,"axG",@progbits,_ZN2at6native29vectorized_elementwise_kernelILi16EN12_GLOBAL__N_110CalcIgammaIdEESt5arrayIPcLm3EEEEviT0_T1_,comdat
	.globl	_ZN2at6native29vectorized_elementwise_kernelILi16EN12_GLOBAL__N_110CalcIgammaIdEESt5arrayIPcLm3EEEEviT0_T1_ ; -- Begin function _ZN2at6native29vectorized_elementwise_kernelILi16EN12_GLOBAL__N_110CalcIgammaIdEESt5arrayIPcLm3EEEEviT0_T1_
	.p2align	8
	.type	_ZN2at6native29vectorized_elementwise_kernelILi16EN12_GLOBAL__N_110CalcIgammaIdEESt5arrayIPcLm3EEEEviT0_T1_,@function
_ZN2at6native29vectorized_elementwise_kernelILi16EN12_GLOBAL__N_110CalcIgammaIdEESt5arrayIPcLm3EEEEviT0_T1_: ; @_ZN2at6native29vectorized_elementwise_kernelILi16EN12_GLOBAL__N_110CalcIgammaIdEESt5arrayIPcLm3EEEEviT0_T1_
; %bb.0:
	s_clause 0x2
	s_load_b64 s[2:3], s[0:1], 0x0
	s_load_b128 s[44:47], s[0:1], 0x8
	s_load_b64 s[50:51], s[0:1], 0x18
	v_mov_b32_e32 v47, v0
	s_mov_b32 s32, 0
	s_waitcnt lgkmcnt(0)
	s_bitcmp1_b32 s3, 0
	s_cselect_b32 s0, -1, 0
	s_lshl_b32 s48, s15, 10
	s_xor_b32 s55, s0, -1
	s_sub_i32 s54, s2, s48
	s_mov_b32 s0, -1
	s_cmpk_gt_i32 s54, 0x3ff
	s_cbranch_scc0 .LBB5_18
; %bb.1:
	s_ashr_i32 s49, s48, 31
	v_lshlrev_b32_e32 v87, 5, v47
	s_lshl_b64 s[52:53], s[48:49], 3
	s_delay_alu instid0(SALU_CYCLE_1)
	s_add_u32 s0, s46, s52
	s_addc_u32 s1, s47, s53
	s_add_u32 s2, s50, s52
	s_addc_u32 s3, s51, s53
	s_clause 0x3
	global_load_b128 v[56:59], v87, s[0:1] offset:16
	global_load_b128 v[72:75], v87, s[0:1]
	global_load_b128 v[60:63], v87, s[2:3] offset:16
	global_load_b128 v[76:79], v87, s[2:3]
	s_and_b32 vcc_lo, exec_lo, s55
	s_cbranch_vccz .LBB5_3
; %bb.2:
	s_waitcnt vmcnt(2)
	v_dual_mov_b32 v0, v72 :: v_dual_mov_b32 v1, v73
	s_waitcnt vmcnt(0)
	v_dual_mov_b32 v2, v76 :: v_dual_mov_b32 v3, v77
	s_getpc_b64 s[0:1]
	s_add_u32 s0, s0, _ZN12_GLOBAL__N_111calc_igammaIdEET_S1_S1_@rel32@lo+4
	s_addc_u32 s1, s1, _ZN12_GLOBAL__N_111calc_igammaIdEET_S1_S1_@rel32@hi+12
	s_delay_alu instid0(SALU_CYCLE_1)
	s_swappc_b64 s[30:31], s[0:1]
	v_dual_mov_b32 v43, v0 :: v_dual_mov_b32 v44, v1
	s_cbranch_execz .LBB5_4
	s_branch .LBB5_5
.LBB5_3:
                                        ; implicit-def: $vgpr43_vgpr44
.LBB5_4:
	s_waitcnt vmcnt(2)
	v_dual_mov_b32 v0, v72 :: v_dual_mov_b32 v1, v73
	s_waitcnt vmcnt(0)
	v_dual_mov_b32 v2, v76 :: v_dual_mov_b32 v3, v77
	s_getpc_b64 s[0:1]
	s_add_u32 s0, s0, _ZN12_GLOBAL__N_112calc_igammacIdEET_S1_S1_@rel32@lo+4
	s_addc_u32 s1, s1, _ZN12_GLOBAL__N_112calc_igammacIdEET_S1_S1_@rel32@hi+12
	s_delay_alu instid0(SALU_CYCLE_1)
	s_swappc_b64 s[30:31], s[0:1]
	v_dual_mov_b32 v43, v0 :: v_dual_mov_b32 v44, v1
.LBB5_5:
	s_and_not1_b32 vcc_lo, exec_lo, s55
	s_cbranch_vccnz .LBB5_7
; %bb.6:
	s_waitcnt vmcnt(2)
	v_dual_mov_b32 v0, v74 :: v_dual_mov_b32 v1, v75
	s_waitcnt vmcnt(0)
	v_dual_mov_b32 v2, v78 :: v_dual_mov_b32 v3, v79
	s_getpc_b64 s[0:1]
	s_add_u32 s0, s0, _ZN12_GLOBAL__N_111calc_igammaIdEET_S1_S1_@rel32@lo+4
	s_addc_u32 s1, s1, _ZN12_GLOBAL__N_111calc_igammaIdEET_S1_S1_@rel32@hi+12
	s_delay_alu instid0(SALU_CYCLE_1)
	s_swappc_b64 s[30:31], s[0:1]
	v_dual_mov_b32 v45, v0 :: v_dual_mov_b32 v46, v1
	s_cbranch_execz .LBB5_8
	s_branch .LBB5_9
.LBB5_7:
.LBB5_8:
	s_waitcnt vmcnt(2)
	v_dual_mov_b32 v0, v74 :: v_dual_mov_b32 v1, v75
	s_waitcnt vmcnt(0)
	v_dual_mov_b32 v2, v78 :: v_dual_mov_b32 v3, v79
	s_getpc_b64 s[0:1]
	s_add_u32 s0, s0, _ZN12_GLOBAL__N_112calc_igammacIdEET_S1_S1_@rel32@lo+4
	s_addc_u32 s1, s1, _ZN12_GLOBAL__N_112calc_igammacIdEET_S1_S1_@rel32@hi+12
	s_delay_alu instid0(SALU_CYCLE_1)
	s_swappc_b64 s[30:31], s[0:1]
	v_dual_mov_b32 v45, v0 :: v_dual_mov_b32 v46, v1
.LBB5_9:
	s_and_not1_b32 vcc_lo, exec_lo, s55
	s_cbranch_vccnz .LBB5_11
; %bb.10:
	s_waitcnt vmcnt(3)
	v_dual_mov_b32 v0, v56 :: v_dual_mov_b32 v1, v57
	s_waitcnt vmcnt(1)
	v_dual_mov_b32 v2, v60 :: v_dual_mov_b32 v3, v61
	s_getpc_b64 s[0:1]
	s_add_u32 s0, s0, _ZN12_GLOBAL__N_111calc_igammaIdEET_S1_S1_@rel32@lo+4
	s_addc_u32 s1, s1, _ZN12_GLOBAL__N_111calc_igammaIdEET_S1_S1_@rel32@hi+12
	s_delay_alu instid0(SALU_CYCLE_1)
	s_swappc_b64 s[30:31], s[0:1]
	v_dual_mov_b32 v72, v0 :: v_dual_mov_b32 v73, v1
	s_cbranch_execz .LBB5_12
	s_branch .LBB5_13
.LBB5_11:
                                        ; implicit-def: $vgpr72_vgpr73
.LBB5_12:
	s_waitcnt vmcnt(3)
	v_dual_mov_b32 v0, v56 :: v_dual_mov_b32 v1, v57
	s_waitcnt vmcnt(1)
	v_dual_mov_b32 v2, v60 :: v_dual_mov_b32 v3, v61
	s_getpc_b64 s[0:1]
	s_add_u32 s0, s0, _ZN12_GLOBAL__N_112calc_igammacIdEET_S1_S1_@rel32@lo+4
	s_addc_u32 s1, s1, _ZN12_GLOBAL__N_112calc_igammacIdEET_S1_S1_@rel32@hi+12
	s_delay_alu instid0(SALU_CYCLE_1)
	s_swappc_b64 s[30:31], s[0:1]
	v_dual_mov_b32 v72, v0 :: v_dual_mov_b32 v73, v1
.LBB5_13:
	s_and_not1_b32 vcc_lo, exec_lo, s55
	s_cbranch_vccnz .LBB5_15
; %bb.14:
	s_waitcnt vmcnt(3)
	v_dual_mov_b32 v0, v58 :: v_dual_mov_b32 v1, v59
	s_waitcnt vmcnt(1)
	v_dual_mov_b32 v2, v62 :: v_dual_mov_b32 v3, v63
	s_getpc_b64 s[0:1]
	s_add_u32 s0, s0, _ZN12_GLOBAL__N_111calc_igammaIdEET_S1_S1_@rel32@lo+4
	s_addc_u32 s1, s1, _ZN12_GLOBAL__N_111calc_igammaIdEET_S1_S1_@rel32@hi+12
	s_delay_alu instid0(SALU_CYCLE_1)
	s_swappc_b64 s[30:31], s[0:1]
	v_dual_mov_b32 v74, v0 :: v_dual_mov_b32 v75, v1
	s_cbranch_execz .LBB5_16
	s_branch .LBB5_17
.LBB5_15:
.LBB5_16:
	s_waitcnt vmcnt(3)
	v_dual_mov_b32 v0, v58 :: v_dual_mov_b32 v1, v59
	s_waitcnt vmcnt(1)
	v_dual_mov_b32 v2, v62 :: v_dual_mov_b32 v3, v63
	s_getpc_b64 s[0:1]
	s_add_u32 s0, s0, _ZN12_GLOBAL__N_112calc_igammacIdEET_S1_S1_@rel32@lo+4
	s_addc_u32 s1, s1, _ZN12_GLOBAL__N_112calc_igammacIdEET_S1_S1_@rel32@hi+12
	s_delay_alu instid0(SALU_CYCLE_1)
	s_swappc_b64 s[30:31], s[0:1]
	v_dual_mov_b32 v74, v0 :: v_dual_mov_b32 v75, v1
.LBB5_17:
	s_add_u32 s2, s44, s52
	s_addc_u32 s3, s45, s53
	s_mov_b32 s0, 0
	global_store_b128 v87, v[43:46], s[2:3]
	s_waitcnt vmcnt(2)
	global_store_b128 v87, v[72:75], s[2:3] offset:16
.LBB5_18:
	s_and_b32 vcc_lo, exec_lo, s0
	s_cbranch_vccz .LBB5_55
; %bb.19:
	s_waitcnt vmcnt(0)
	v_mov_b32_e32 v76, 0
	v_dual_mov_b32 v77, 0 :: v_dual_mov_b32 v0, v47
	v_cmp_gt_i32_e64 s43, s54, v47
	v_or_b32_e32 v91, s48, v47
	v_or_b32_e32 v93, 0x100, v47
	s_delay_alu instid0(VALU_DEP_4)
	v_dual_mov_b32 v88, v77 :: v_dual_mov_b32 v87, v76
	v_dual_mov_b32 v90, v77 :: v_dual_mov_b32 v89, v76
	s_and_saveexec_b32 s0, s43
	s_cbranch_execz .LBB5_21
; %bb.20:
	v_mov_b32_e32 v92, 0
	s_delay_alu instid0(VALU_DEP_1) | instskip(NEXT) | instid1(VALU_DEP_1)
	v_lshlrev_b64 v[0:1], 3, v[91:92]
	v_add_co_u32 v2, vcc_lo, s46, v0
	s_delay_alu instid0(VALU_DEP_2)
	v_add_co_ci_u32_e32 v3, vcc_lo, s47, v1, vcc_lo
	v_add_co_u32 v0, vcc_lo, s50, v0
	v_add_co_ci_u32_e32 v1, vcc_lo, s51, v1, vcc_lo
	global_load_b64 v[87:88], v[2:3], off
	global_load_b64 v[89:90], v[0:1], off
	v_or_b32_e32 v0, 0x100, v47
.LBB5_21:
	s_or_b32 exec_lo, exec_lo, s0
	v_dual_mov_b32 v79, v77 :: v_dual_mov_b32 v78, v76
	s_mov_b32 s0, exec_lo
	s_delay_alu instid0(VALU_DEP_2)
	v_cmpx_gt_i32_e64 s54, v0
	s_cbranch_execz .LBB5_23
; %bb.22:
	v_dual_mov_b32 v2, 0 :: v_dual_add_nc_u32 v1, s48, v0
	v_add_nc_u32_e32 v0, 0x100, v0
	s_delay_alu instid0(VALU_DEP_2) | instskip(NEXT) | instid1(VALU_DEP_1)
	v_lshlrev_b64 v[1:2], 3, v[1:2]
	v_add_co_u32 v3, vcc_lo, s46, v1
	s_delay_alu instid0(VALU_DEP_2)
	v_add_co_ci_u32_e32 v4, vcc_lo, s47, v2, vcc_lo
	v_add_co_u32 v1, vcc_lo, s50, v1
	v_add_co_ci_u32_e32 v2, vcc_lo, s51, v2, vcc_lo
	global_load_b64 v[76:77], v[3:4], off
	global_load_b64 v[78:79], v[1:2], off
.LBB5_23:
	s_or_b32 exec_lo, exec_lo, s0
	v_mov_b32_e32 v43, 0
	v_mov_b32_e32 v44, 0
	s_mov_b32 s0, exec_lo
	s_delay_alu instid0(VALU_DEP_1)
	v_dual_mov_b32 v73, v44 :: v_dual_mov_b32 v72, v43
	v_dual_mov_b32 v75, v44 :: v_dual_mov_b32 v74, v43
	v_cmpx_gt_i32_e64 s54, v0
	s_cbranch_execz .LBB5_25
; %bb.24:
	v_dual_mov_b32 v2, 0 :: v_dual_add_nc_u32 v1, s48, v0
	v_add_nc_u32_e32 v0, 0x100, v0
	s_delay_alu instid0(VALU_DEP_2) | instskip(NEXT) | instid1(VALU_DEP_1)
	v_lshlrev_b64 v[1:2], 3, v[1:2]
	v_add_co_u32 v3, vcc_lo, s46, v1
	s_delay_alu instid0(VALU_DEP_2)
	v_add_co_ci_u32_e32 v4, vcc_lo, s47, v2, vcc_lo
	v_add_co_u32 v1, vcc_lo, s50, v1
	v_add_co_ci_u32_e32 v2, vcc_lo, s51, v2, vcc_lo
	global_load_b64 v[72:73], v[3:4], off
	global_load_b64 v[74:75], v[1:2], off
.LBB5_25:
	s_or_b32 exec_lo, exec_lo, s0
	v_dual_mov_b32 v46, v44 :: v_dual_mov_b32 v45, v43
	s_mov_b32 s0, exec_lo
	v_cmpx_gt_i32_e64 s54, v0
	s_cbranch_execz .LBB5_27
; %bb.26:
	v_dual_mov_b32 v1, 0 :: v_dual_add_nc_u32 v0, s48, v0
	s_delay_alu instid0(VALU_DEP_1) | instskip(NEXT) | instid1(VALU_DEP_1)
	v_lshlrev_b64 v[0:1], 3, v[0:1]
	v_add_co_u32 v2, vcc_lo, s46, v0
	s_delay_alu instid0(VALU_DEP_2)
	v_add_co_ci_u32_e32 v3, vcc_lo, s47, v1, vcc_lo
	v_add_co_u32 v0, vcc_lo, s50, v0
	v_add_co_ci_u32_e32 v1, vcc_lo, s51, v1, vcc_lo
	global_load_b64 v[43:44], v[2:3], off
	global_load_b64 v[45:46], v[0:1], off
.LBB5_27:
	s_or_b32 exec_lo, exec_lo, s0
                                        ; implicit-def: $vgpr56_vgpr57_vgpr58_vgpr59_vgpr60_vgpr61_vgpr62_vgpr63
	s_and_saveexec_b32 s46, s43
	s_cbranch_execz .LBB5_32
; %bb.28:
	s_and_b32 vcc_lo, exec_lo, s55
	s_cbranch_vccz .LBB5_30
; %bb.29:
	s_waitcnt vmcnt(1)
	v_dual_mov_b32 v0, v87 :: v_dual_mov_b32 v1, v88
	s_waitcnt vmcnt(0)
	v_dual_mov_b32 v2, v89 :: v_dual_mov_b32 v3, v90
	s_getpc_b64 s[0:1]
	s_add_u32 s0, s0, _ZN12_GLOBAL__N_111calc_igammaIdEET_S1_S1_@rel32@lo+4
	s_addc_u32 s1, s1, _ZN12_GLOBAL__N_111calc_igammaIdEET_S1_S1_@rel32@hi+12
	s_delay_alu instid0(SALU_CYCLE_1)
	s_swappc_b64 s[30:31], s[0:1]
	v_dual_mov_b32 v56, v0 :: v_dual_mov_b32 v57, v1
	s_cbranch_execz .LBB5_31
	s_branch .LBB5_32
.LBB5_30:
                                        ; implicit-def: $vgpr56_vgpr57
.LBB5_31:
	s_waitcnt vmcnt(1)
	v_dual_mov_b32 v0, v87 :: v_dual_mov_b32 v1, v88
	s_waitcnt vmcnt(0)
	v_dual_mov_b32 v2, v89 :: v_dual_mov_b32 v3, v90
	s_getpc_b64 s[0:1]
	s_add_u32 s0, s0, _ZN12_GLOBAL__N_112calc_igammacIdEET_S1_S1_@rel32@lo+4
	s_addc_u32 s1, s1, _ZN12_GLOBAL__N_112calc_igammacIdEET_S1_S1_@rel32@hi+12
	s_delay_alu instid0(SALU_CYCLE_1)
	s_swappc_b64 s[30:31], s[0:1]
	v_dual_mov_b32 v56, v0 :: v_dual_mov_b32 v57, v1
.LBB5_32:
	s_or_b32 exec_lo, exec_lo, s46
	s_waitcnt vmcnt(1)
	v_cndmask_b32_e64 v87, 0, 1, s55
	s_mov_b32 s46, exec_lo
	v_cmpx_gt_i32_e64 s54, v93
	s_cbranch_execz .LBB5_37
; %bb.33:
	s_and_not1_b32 vcc_lo, exec_lo, s55
	s_cbranch_vccnz .LBB5_35
; %bb.34:
	v_dual_mov_b32 v0, v76 :: v_dual_mov_b32 v1, v77
	s_waitcnt vmcnt(0)
	v_dual_mov_b32 v2, v78 :: v_dual_mov_b32 v3, v79
	s_getpc_b64 s[0:1]
	s_add_u32 s0, s0, _ZN12_GLOBAL__N_111calc_igammaIdEET_S1_S1_@rel32@lo+4
	s_addc_u32 s1, s1, _ZN12_GLOBAL__N_111calc_igammaIdEET_S1_S1_@rel32@hi+12
	s_delay_alu instid0(SALU_CYCLE_1)
	s_swappc_b64 s[30:31], s[0:1]
	v_dual_mov_b32 v58, v0 :: v_dual_mov_b32 v59, v1
	s_cbranch_execz .LBB5_36
	s_branch .LBB5_37
.LBB5_35:
.LBB5_36:
	v_dual_mov_b32 v0, v76 :: v_dual_mov_b32 v1, v77
	s_waitcnt vmcnt(0)
	v_dual_mov_b32 v2, v78 :: v_dual_mov_b32 v3, v79
	s_getpc_b64 s[0:1]
	s_add_u32 s0, s0, _ZN12_GLOBAL__N_112calc_igammacIdEET_S1_S1_@rel32@lo+4
	s_addc_u32 s1, s1, _ZN12_GLOBAL__N_112calc_igammacIdEET_S1_S1_@rel32@hi+12
	s_delay_alu instid0(SALU_CYCLE_1)
	s_swappc_b64 s[30:31], s[0:1]
	v_dual_mov_b32 v58, v0 :: v_dual_mov_b32 v59, v1
.LBB5_37:
	s_or_b32 exec_lo, exec_lo, s46
	v_or_b32_e32 v0, 0x200, v47
	s_mov_b32 s46, exec_lo
	s_delay_alu instid0(VALU_DEP_1)
	v_cmpx_gt_i32_e64 s54, v0
	s_cbranch_execz .LBB5_42
; %bb.38:
	v_cmp_ne_u32_e32 vcc_lo, 1, v87
	s_cbranch_vccnz .LBB5_40
; %bb.39:
	v_dual_mov_b32 v0, v72 :: v_dual_mov_b32 v1, v73
	s_waitcnt vmcnt(0)
	v_dual_mov_b32 v2, v74 :: v_dual_mov_b32 v3, v75
	s_getpc_b64 s[0:1]
	s_add_u32 s0, s0, _ZN12_GLOBAL__N_111calc_igammaIdEET_S1_S1_@rel32@lo+4
	s_addc_u32 s1, s1, _ZN12_GLOBAL__N_111calc_igammaIdEET_S1_S1_@rel32@hi+12
	s_delay_alu instid0(SALU_CYCLE_1)
	s_swappc_b64 s[30:31], s[0:1]
	v_dual_mov_b32 v60, v0 :: v_dual_mov_b32 v61, v1
	s_cbranch_execz .LBB5_41
	s_branch .LBB5_42
.LBB5_40:
.LBB5_41:
	v_dual_mov_b32 v0, v72 :: v_dual_mov_b32 v1, v73
	s_waitcnt vmcnt(0)
	v_dual_mov_b32 v2, v74 :: v_dual_mov_b32 v3, v75
	s_getpc_b64 s[0:1]
	s_add_u32 s0, s0, _ZN12_GLOBAL__N_112calc_igammacIdEET_S1_S1_@rel32@lo+4
	s_addc_u32 s1, s1, _ZN12_GLOBAL__N_112calc_igammacIdEET_S1_S1_@rel32@hi+12
	s_delay_alu instid0(SALU_CYCLE_1)
	s_swappc_b64 s[30:31], s[0:1]
	v_dual_mov_b32 v60, v0 :: v_dual_mov_b32 v61, v1
.LBB5_42:
	s_or_b32 exec_lo, exec_lo, s46
	v_or_b32_e32 v0, 0x300, v47
	s_mov_b32 s46, exec_lo
	s_delay_alu instid0(VALU_DEP_1)
	v_cmpx_gt_i32_e64 s54, v0
	s_cbranch_execz .LBB5_47
; %bb.43:
	v_cmp_ne_u32_e32 vcc_lo, 1, v87
	s_cbranch_vccnz .LBB5_45
; %bb.44:
	v_dual_mov_b32 v0, v43 :: v_dual_mov_b32 v1, v44
	s_waitcnt vmcnt(0)
	v_dual_mov_b32 v2, v45 :: v_dual_mov_b32 v3, v46
	s_getpc_b64 s[0:1]
	s_add_u32 s0, s0, _ZN12_GLOBAL__N_111calc_igammaIdEET_S1_S1_@rel32@lo+4
	s_addc_u32 s1, s1, _ZN12_GLOBAL__N_111calc_igammaIdEET_S1_S1_@rel32@hi+12
	s_delay_alu instid0(SALU_CYCLE_1)
	s_swappc_b64 s[30:31], s[0:1]
	v_dual_mov_b32 v62, v0 :: v_dual_mov_b32 v63, v1
	s_cbranch_execz .LBB5_46
	s_branch .LBB5_47
.LBB5_45:
.LBB5_46:
	v_dual_mov_b32 v0, v43 :: v_dual_mov_b32 v1, v44
	s_waitcnt vmcnt(0)
	v_dual_mov_b32 v2, v45 :: v_dual_mov_b32 v3, v46
	s_getpc_b64 s[0:1]
	s_add_u32 s0, s0, _ZN12_GLOBAL__N_112calc_igammacIdEET_S1_S1_@rel32@lo+4
	s_addc_u32 s1, s1, _ZN12_GLOBAL__N_112calc_igammacIdEET_S1_S1_@rel32@hi+12
	s_delay_alu instid0(SALU_CYCLE_1)
	s_swappc_b64 s[30:31], s[0:1]
	v_dual_mov_b32 v62, v0 :: v_dual_mov_b32 v63, v1
.LBB5_47:
	s_or_b32 exec_lo, exec_lo, s46
	s_and_saveexec_b32 s0, s43
	s_delay_alu instid0(SALU_CYCLE_1)
	s_xor_b32 s0, exec_lo, s0
	s_cbranch_execz .LBB5_49
; %bb.48:
	v_dual_mov_b32 v92, 0 :: v_dual_mov_b32 v47, v93
	s_delay_alu instid0(VALU_DEP_1) | instskip(NEXT) | instid1(VALU_DEP_1)
	v_lshlrev_b64 v[0:1], 3, v[91:92]
	v_add_co_u32 v0, vcc_lo, s44, v0
	s_delay_alu instid0(VALU_DEP_2)
	v_add_co_ci_u32_e32 v1, vcc_lo, s45, v1, vcc_lo
	global_store_b64 v[0:1], v[56:57], off
.LBB5_49:
	s_or_b32 exec_lo, exec_lo, s0
	s_delay_alu instid0(SALU_CYCLE_1)
	s_mov_b32 s0, exec_lo
	v_cmpx_gt_i32_e64 s54, v47
	s_cbranch_execnz .LBB5_53
; %bb.50:
	s_or_b32 exec_lo, exec_lo, s0
	s_delay_alu instid0(SALU_CYCLE_1)
	s_mov_b32 s0, exec_lo
	v_cmpx_gt_i32_e64 s54, v47
	s_cbranch_execnz .LBB5_54
.LBB5_51:
	s_or_b32 exec_lo, exec_lo, s0
	s_delay_alu instid0(SALU_CYCLE_1)
	s_mov_b32 s0, exec_lo
	v_cmpx_gt_i32_e64 s54, v47
	s_cbranch_execz .LBB5_55
.LBB5_52:
	v_dual_mov_b32 v1, 0 :: v_dual_add_nc_u32 v0, s48, v47
	s_delay_alu instid0(VALU_DEP_1) | instskip(NEXT) | instid1(VALU_DEP_1)
	v_lshlrev_b64 v[0:1], 3, v[0:1]
	v_add_co_u32 v0, vcc_lo, s44, v0
	s_delay_alu instid0(VALU_DEP_2)
	v_add_co_ci_u32_e32 v1, vcc_lo, s45, v1, vcc_lo
	global_store_b64 v[0:1], v[62:63], off
	s_endpgm
.LBB5_53:
	v_dual_mov_b32 v1, 0 :: v_dual_add_nc_u32 v0, s48, v47
	v_add_nc_u32_e32 v47, 0x100, v47
	s_delay_alu instid0(VALU_DEP_2) | instskip(NEXT) | instid1(VALU_DEP_1)
	v_lshlrev_b64 v[0:1], 3, v[0:1]
	v_add_co_u32 v0, vcc_lo, s44, v0
	s_delay_alu instid0(VALU_DEP_2) | instskip(SKIP_2) | instid1(SALU_CYCLE_1)
	v_add_co_ci_u32_e32 v1, vcc_lo, s45, v1, vcc_lo
	global_store_b64 v[0:1], v[58:59], off
	s_or_b32 exec_lo, exec_lo, s0
	s_mov_b32 s0, exec_lo
	v_cmpx_gt_i32_e64 s54, v47
	s_cbranch_execz .LBB5_51
.LBB5_54:
	v_dual_mov_b32 v1, 0 :: v_dual_add_nc_u32 v0, s48, v47
	v_add_nc_u32_e32 v47, 0x100, v47
	s_delay_alu instid0(VALU_DEP_2) | instskip(NEXT) | instid1(VALU_DEP_1)
	v_lshlrev_b64 v[0:1], 3, v[0:1]
	v_add_co_u32 v0, vcc_lo, s44, v0
	s_delay_alu instid0(VALU_DEP_2) | instskip(SKIP_2) | instid1(SALU_CYCLE_1)
	v_add_co_ci_u32_e32 v1, vcc_lo, s45, v1, vcc_lo
	global_store_b64 v[0:1], v[60:61], off
	s_or_b32 exec_lo, exec_lo, s0
	s_mov_b32 s0, exec_lo
	v_cmpx_gt_i32_e64 s54, v47
	s_cbranch_execnz .LBB5_52
.LBB5_55:
	s_endpgm
	.section	.rodata,"a",@progbits
	.p2align	6, 0x0
	.amdhsa_kernel _ZN2at6native29vectorized_elementwise_kernelILi16EN12_GLOBAL__N_110CalcIgammaIdEESt5arrayIPcLm3EEEEviT0_T1_
		.amdhsa_group_segment_fixed_size 0
		.amdhsa_private_segment_fixed_size 240
		.amdhsa_kernarg_size 32
		.amdhsa_user_sgpr_count 15
		.amdhsa_user_sgpr_dispatch_ptr 0
		.amdhsa_user_sgpr_queue_ptr 0
		.amdhsa_user_sgpr_kernarg_segment_ptr 1
		.amdhsa_user_sgpr_dispatch_id 0
		.amdhsa_user_sgpr_private_segment_size 0
		.amdhsa_wavefront_size32 1
		.amdhsa_uses_dynamic_stack 0
		.amdhsa_enable_private_segment 1
		.amdhsa_system_sgpr_workgroup_id_x 1
		.amdhsa_system_sgpr_workgroup_id_y 0
		.amdhsa_system_sgpr_workgroup_id_z 0
		.amdhsa_system_sgpr_workgroup_info 0
		.amdhsa_system_vgpr_workitem_id 0
		.amdhsa_next_free_vgpr 104
		.amdhsa_next_free_sgpr 56
		.amdhsa_reserve_vcc 1
		.amdhsa_float_round_mode_32 0
		.amdhsa_float_round_mode_16_64 0
		.amdhsa_float_denorm_mode_32 3
		.amdhsa_float_denorm_mode_16_64 3
		.amdhsa_dx10_clamp 1
		.amdhsa_ieee_mode 1
		.amdhsa_fp16_overflow 0
		.amdhsa_workgroup_processor_mode 1
		.amdhsa_memory_ordered 1
		.amdhsa_forward_progress 0
		.amdhsa_shared_vgpr_count 0
		.amdhsa_exception_fp_ieee_invalid_op 0
		.amdhsa_exception_fp_denorm_src 0
		.amdhsa_exception_fp_ieee_div_zero 0
		.amdhsa_exception_fp_ieee_overflow 0
		.amdhsa_exception_fp_ieee_underflow 0
		.amdhsa_exception_fp_ieee_inexact 0
		.amdhsa_exception_int_div_zero 0
	.end_amdhsa_kernel
	.section	.text._ZN2at6native29vectorized_elementwise_kernelILi16EN12_GLOBAL__N_110CalcIgammaIdEESt5arrayIPcLm3EEEEviT0_T1_,"axG",@progbits,_ZN2at6native29vectorized_elementwise_kernelILi16EN12_GLOBAL__N_110CalcIgammaIdEESt5arrayIPcLm3EEEEviT0_T1_,comdat
.Lfunc_end5:
	.size	_ZN2at6native29vectorized_elementwise_kernelILi16EN12_GLOBAL__N_110CalcIgammaIdEESt5arrayIPcLm3EEEEviT0_T1_, .Lfunc_end5-_ZN2at6native29vectorized_elementwise_kernelILi16EN12_GLOBAL__N_110CalcIgammaIdEESt5arrayIPcLm3EEEEviT0_T1_
                                        ; -- End function
	.section	.AMDGPU.csdata,"",@progbits
; Kernel info:
; codeLenInByte = 2132
; NumSgprs: 58
; NumVgprs: 104
; ScratchSize: 240
; MemoryBound: 1
; FloatMode: 240
; IeeeMode: 1
; LDSByteSize: 0 bytes/workgroup (compile time only)
; SGPRBlocks: 7
; VGPRBlocks: 12
; NumSGPRsForWavesPerEU: 58
; NumVGPRsForWavesPerEU: 104
; Occupancy: 12
; WaveLimiterHint : 0
; COMPUTE_PGM_RSRC2:SCRATCH_EN: 1
; COMPUTE_PGM_RSRC2:USER_SGPR: 15
; COMPUTE_PGM_RSRC2:TRAP_HANDLER: 0
; COMPUTE_PGM_RSRC2:TGID_X_EN: 1
; COMPUTE_PGM_RSRC2:TGID_Y_EN: 0
; COMPUTE_PGM_RSRC2:TGID_Z_EN: 0
; COMPUTE_PGM_RSRC2:TIDIG_COMP_CNT: 0
	.section	.text._ZN2at6native29vectorized_elementwise_kernelILi8EN12_GLOBAL__N_110CalcIgammaIdEESt5arrayIPcLm3EEEEviT0_T1_,"axG",@progbits,_ZN2at6native29vectorized_elementwise_kernelILi8EN12_GLOBAL__N_110CalcIgammaIdEESt5arrayIPcLm3EEEEviT0_T1_,comdat
	.globl	_ZN2at6native29vectorized_elementwise_kernelILi8EN12_GLOBAL__N_110CalcIgammaIdEESt5arrayIPcLm3EEEEviT0_T1_ ; -- Begin function _ZN2at6native29vectorized_elementwise_kernelILi8EN12_GLOBAL__N_110CalcIgammaIdEESt5arrayIPcLm3EEEEviT0_T1_
	.p2align	8
	.type	_ZN2at6native29vectorized_elementwise_kernelILi8EN12_GLOBAL__N_110CalcIgammaIdEESt5arrayIPcLm3EEEEviT0_T1_,@function
_ZN2at6native29vectorized_elementwise_kernelILi8EN12_GLOBAL__N_110CalcIgammaIdEESt5arrayIPcLm3EEEEviT0_T1_: ; @_ZN2at6native29vectorized_elementwise_kernelILi8EN12_GLOBAL__N_110CalcIgammaIdEESt5arrayIPcLm3EEEEviT0_T1_
; %bb.0:
	s_clause 0x2
	s_load_b64 s[2:3], s[0:1], 0x0
	s_load_b128 s[44:47], s[0:1], 0x8
	s_load_b64 s[50:51], s[0:1], 0x18
	v_mov_b32_e32 v47, v0
	s_mov_b32 s32, 0
	s_waitcnt lgkmcnt(0)
	s_bitcmp1_b32 s3, 0
	s_cselect_b32 s0, -1, 0
	s_lshl_b32 s48, s15, 10
	s_xor_b32 s55, s0, -1
	s_sub_i32 s54, s2, s48
	s_mov_b32 s0, -1
	s_cmpk_gt_i32 s54, 0x3ff
	s_cbranch_scc0 .LBB6_18
; %bb.1:
	s_ashr_i32 s49, s48, 31
	v_lshlrev_b32_e32 v87, 5, v47
	s_lshl_b64 s[52:53], s[48:49], 3
	s_delay_alu instid0(SALU_CYCLE_1)
	s_add_u32 s0, s46, s52
	s_addc_u32 s1, s47, s53
	s_add_u32 s2, s50, s52
	s_addc_u32 s3, s51, s53
	s_clause 0x3
	global_load_b128 v[56:59], v87, s[0:1] offset:16
	global_load_b128 v[72:75], v87, s[0:1]
	global_load_b128 v[60:63], v87, s[2:3] offset:16
	global_load_b128 v[76:79], v87, s[2:3]
	s_and_b32 vcc_lo, exec_lo, s55
	s_cbranch_vccz .LBB6_3
; %bb.2:
	s_waitcnt vmcnt(2)
	v_dual_mov_b32 v0, v72 :: v_dual_mov_b32 v1, v73
	s_waitcnt vmcnt(0)
	v_dual_mov_b32 v2, v76 :: v_dual_mov_b32 v3, v77
	s_getpc_b64 s[0:1]
	s_add_u32 s0, s0, _ZN12_GLOBAL__N_111calc_igammaIdEET_S1_S1_@rel32@lo+4
	s_addc_u32 s1, s1, _ZN12_GLOBAL__N_111calc_igammaIdEET_S1_S1_@rel32@hi+12
	s_delay_alu instid0(SALU_CYCLE_1)
	s_swappc_b64 s[30:31], s[0:1]
	v_dual_mov_b32 v43, v0 :: v_dual_mov_b32 v44, v1
	s_cbranch_execz .LBB6_4
	s_branch .LBB6_5
.LBB6_3:
                                        ; implicit-def: $vgpr43_vgpr44
.LBB6_4:
	s_waitcnt vmcnt(2)
	v_dual_mov_b32 v0, v72 :: v_dual_mov_b32 v1, v73
	s_waitcnt vmcnt(0)
	v_dual_mov_b32 v2, v76 :: v_dual_mov_b32 v3, v77
	s_getpc_b64 s[0:1]
	s_add_u32 s0, s0, _ZN12_GLOBAL__N_112calc_igammacIdEET_S1_S1_@rel32@lo+4
	s_addc_u32 s1, s1, _ZN12_GLOBAL__N_112calc_igammacIdEET_S1_S1_@rel32@hi+12
	s_delay_alu instid0(SALU_CYCLE_1)
	s_swappc_b64 s[30:31], s[0:1]
	v_dual_mov_b32 v43, v0 :: v_dual_mov_b32 v44, v1
.LBB6_5:
	s_and_not1_b32 vcc_lo, exec_lo, s55
	s_cbranch_vccnz .LBB6_7
; %bb.6:
	s_waitcnt vmcnt(2)
	v_dual_mov_b32 v0, v74 :: v_dual_mov_b32 v1, v75
	s_waitcnt vmcnt(0)
	v_dual_mov_b32 v2, v78 :: v_dual_mov_b32 v3, v79
	s_getpc_b64 s[0:1]
	s_add_u32 s0, s0, _ZN12_GLOBAL__N_111calc_igammaIdEET_S1_S1_@rel32@lo+4
	s_addc_u32 s1, s1, _ZN12_GLOBAL__N_111calc_igammaIdEET_S1_S1_@rel32@hi+12
	s_delay_alu instid0(SALU_CYCLE_1)
	s_swappc_b64 s[30:31], s[0:1]
	v_dual_mov_b32 v45, v0 :: v_dual_mov_b32 v46, v1
	s_cbranch_execz .LBB6_8
	s_branch .LBB6_9
.LBB6_7:
.LBB6_8:
	s_waitcnt vmcnt(2)
	v_dual_mov_b32 v0, v74 :: v_dual_mov_b32 v1, v75
	s_waitcnt vmcnt(0)
	v_dual_mov_b32 v2, v78 :: v_dual_mov_b32 v3, v79
	s_getpc_b64 s[0:1]
	s_add_u32 s0, s0, _ZN12_GLOBAL__N_112calc_igammacIdEET_S1_S1_@rel32@lo+4
	s_addc_u32 s1, s1, _ZN12_GLOBAL__N_112calc_igammacIdEET_S1_S1_@rel32@hi+12
	s_delay_alu instid0(SALU_CYCLE_1)
	s_swappc_b64 s[30:31], s[0:1]
	v_dual_mov_b32 v45, v0 :: v_dual_mov_b32 v46, v1
.LBB6_9:
	s_and_not1_b32 vcc_lo, exec_lo, s55
	s_cbranch_vccnz .LBB6_11
; %bb.10:
	s_waitcnt vmcnt(3)
	v_dual_mov_b32 v0, v56 :: v_dual_mov_b32 v1, v57
	s_waitcnt vmcnt(1)
	v_dual_mov_b32 v2, v60 :: v_dual_mov_b32 v3, v61
	s_getpc_b64 s[0:1]
	s_add_u32 s0, s0, _ZN12_GLOBAL__N_111calc_igammaIdEET_S1_S1_@rel32@lo+4
	s_addc_u32 s1, s1, _ZN12_GLOBAL__N_111calc_igammaIdEET_S1_S1_@rel32@hi+12
	s_delay_alu instid0(SALU_CYCLE_1)
	s_swappc_b64 s[30:31], s[0:1]
	v_dual_mov_b32 v72, v0 :: v_dual_mov_b32 v73, v1
	s_cbranch_execz .LBB6_12
	s_branch .LBB6_13
.LBB6_11:
                                        ; implicit-def: $vgpr72_vgpr73
.LBB6_12:
	s_waitcnt vmcnt(3)
	v_dual_mov_b32 v0, v56 :: v_dual_mov_b32 v1, v57
	s_waitcnt vmcnt(1)
	v_dual_mov_b32 v2, v60 :: v_dual_mov_b32 v3, v61
	s_getpc_b64 s[0:1]
	s_add_u32 s0, s0, _ZN12_GLOBAL__N_112calc_igammacIdEET_S1_S1_@rel32@lo+4
	s_addc_u32 s1, s1, _ZN12_GLOBAL__N_112calc_igammacIdEET_S1_S1_@rel32@hi+12
	s_delay_alu instid0(SALU_CYCLE_1)
	s_swappc_b64 s[30:31], s[0:1]
	v_dual_mov_b32 v72, v0 :: v_dual_mov_b32 v73, v1
.LBB6_13:
	s_and_not1_b32 vcc_lo, exec_lo, s55
	s_cbranch_vccnz .LBB6_15
; %bb.14:
	s_waitcnt vmcnt(3)
	v_dual_mov_b32 v0, v58 :: v_dual_mov_b32 v1, v59
	s_waitcnt vmcnt(1)
	v_dual_mov_b32 v2, v62 :: v_dual_mov_b32 v3, v63
	s_getpc_b64 s[0:1]
	s_add_u32 s0, s0, _ZN12_GLOBAL__N_111calc_igammaIdEET_S1_S1_@rel32@lo+4
	s_addc_u32 s1, s1, _ZN12_GLOBAL__N_111calc_igammaIdEET_S1_S1_@rel32@hi+12
	s_delay_alu instid0(SALU_CYCLE_1)
	s_swappc_b64 s[30:31], s[0:1]
	v_dual_mov_b32 v74, v0 :: v_dual_mov_b32 v75, v1
	s_cbranch_execz .LBB6_16
	s_branch .LBB6_17
.LBB6_15:
.LBB6_16:
	s_waitcnt vmcnt(3)
	v_dual_mov_b32 v0, v58 :: v_dual_mov_b32 v1, v59
	s_waitcnt vmcnt(1)
	v_dual_mov_b32 v2, v62 :: v_dual_mov_b32 v3, v63
	s_getpc_b64 s[0:1]
	s_add_u32 s0, s0, _ZN12_GLOBAL__N_112calc_igammacIdEET_S1_S1_@rel32@lo+4
	s_addc_u32 s1, s1, _ZN12_GLOBAL__N_112calc_igammacIdEET_S1_S1_@rel32@hi+12
	s_delay_alu instid0(SALU_CYCLE_1)
	s_swappc_b64 s[30:31], s[0:1]
	v_dual_mov_b32 v74, v0 :: v_dual_mov_b32 v75, v1
.LBB6_17:
	s_add_u32 s2, s44, s52
	s_addc_u32 s3, s45, s53
	s_mov_b32 s0, 0
	global_store_b128 v87, v[43:46], s[2:3]
	s_waitcnt vmcnt(2)
	global_store_b128 v87, v[72:75], s[2:3] offset:16
.LBB6_18:
	s_and_b32 vcc_lo, exec_lo, s0
	s_cbranch_vccz .LBB6_55
; %bb.19:
	s_waitcnt vmcnt(0)
	v_mov_b32_e32 v76, 0
	v_dual_mov_b32 v77, 0 :: v_dual_mov_b32 v0, v47
	v_cmp_gt_i32_e64 s43, s54, v47
	v_or_b32_e32 v91, s48, v47
	v_or_b32_e32 v93, 0x100, v47
	s_delay_alu instid0(VALU_DEP_4)
	v_dual_mov_b32 v88, v77 :: v_dual_mov_b32 v87, v76
	v_dual_mov_b32 v90, v77 :: v_dual_mov_b32 v89, v76
	s_and_saveexec_b32 s0, s43
	s_cbranch_execz .LBB6_21
; %bb.20:
	v_mov_b32_e32 v92, 0
	s_delay_alu instid0(VALU_DEP_1) | instskip(NEXT) | instid1(VALU_DEP_1)
	v_lshlrev_b64 v[0:1], 3, v[91:92]
	v_add_co_u32 v2, vcc_lo, s46, v0
	s_delay_alu instid0(VALU_DEP_2)
	v_add_co_ci_u32_e32 v3, vcc_lo, s47, v1, vcc_lo
	v_add_co_u32 v0, vcc_lo, s50, v0
	v_add_co_ci_u32_e32 v1, vcc_lo, s51, v1, vcc_lo
	global_load_b64 v[87:88], v[2:3], off
	global_load_b64 v[89:90], v[0:1], off
	v_or_b32_e32 v0, 0x100, v47
.LBB6_21:
	s_or_b32 exec_lo, exec_lo, s0
	v_dual_mov_b32 v79, v77 :: v_dual_mov_b32 v78, v76
	s_mov_b32 s0, exec_lo
	s_delay_alu instid0(VALU_DEP_2)
	v_cmpx_gt_i32_e64 s54, v0
	s_cbranch_execz .LBB6_23
; %bb.22:
	v_dual_mov_b32 v2, 0 :: v_dual_add_nc_u32 v1, s48, v0
	v_add_nc_u32_e32 v0, 0x100, v0
	s_delay_alu instid0(VALU_DEP_2) | instskip(NEXT) | instid1(VALU_DEP_1)
	v_lshlrev_b64 v[1:2], 3, v[1:2]
	v_add_co_u32 v3, vcc_lo, s46, v1
	s_delay_alu instid0(VALU_DEP_2)
	v_add_co_ci_u32_e32 v4, vcc_lo, s47, v2, vcc_lo
	v_add_co_u32 v1, vcc_lo, s50, v1
	v_add_co_ci_u32_e32 v2, vcc_lo, s51, v2, vcc_lo
	global_load_b64 v[76:77], v[3:4], off
	global_load_b64 v[78:79], v[1:2], off
.LBB6_23:
	s_or_b32 exec_lo, exec_lo, s0
	v_mov_b32_e32 v43, 0
	v_mov_b32_e32 v44, 0
	s_mov_b32 s0, exec_lo
	s_delay_alu instid0(VALU_DEP_1)
	v_dual_mov_b32 v73, v44 :: v_dual_mov_b32 v72, v43
	v_dual_mov_b32 v75, v44 :: v_dual_mov_b32 v74, v43
	v_cmpx_gt_i32_e64 s54, v0
	s_cbranch_execz .LBB6_25
; %bb.24:
	v_dual_mov_b32 v2, 0 :: v_dual_add_nc_u32 v1, s48, v0
	v_add_nc_u32_e32 v0, 0x100, v0
	s_delay_alu instid0(VALU_DEP_2) | instskip(NEXT) | instid1(VALU_DEP_1)
	v_lshlrev_b64 v[1:2], 3, v[1:2]
	v_add_co_u32 v3, vcc_lo, s46, v1
	s_delay_alu instid0(VALU_DEP_2)
	v_add_co_ci_u32_e32 v4, vcc_lo, s47, v2, vcc_lo
	v_add_co_u32 v1, vcc_lo, s50, v1
	v_add_co_ci_u32_e32 v2, vcc_lo, s51, v2, vcc_lo
	global_load_b64 v[72:73], v[3:4], off
	global_load_b64 v[74:75], v[1:2], off
.LBB6_25:
	s_or_b32 exec_lo, exec_lo, s0
	v_dual_mov_b32 v46, v44 :: v_dual_mov_b32 v45, v43
	s_mov_b32 s0, exec_lo
	v_cmpx_gt_i32_e64 s54, v0
	s_cbranch_execz .LBB6_27
; %bb.26:
	v_dual_mov_b32 v1, 0 :: v_dual_add_nc_u32 v0, s48, v0
	s_delay_alu instid0(VALU_DEP_1) | instskip(NEXT) | instid1(VALU_DEP_1)
	v_lshlrev_b64 v[0:1], 3, v[0:1]
	v_add_co_u32 v2, vcc_lo, s46, v0
	s_delay_alu instid0(VALU_DEP_2)
	v_add_co_ci_u32_e32 v3, vcc_lo, s47, v1, vcc_lo
	v_add_co_u32 v0, vcc_lo, s50, v0
	v_add_co_ci_u32_e32 v1, vcc_lo, s51, v1, vcc_lo
	global_load_b64 v[43:44], v[2:3], off
	global_load_b64 v[45:46], v[0:1], off
.LBB6_27:
	s_or_b32 exec_lo, exec_lo, s0
                                        ; implicit-def: $vgpr56_vgpr57_vgpr58_vgpr59_vgpr60_vgpr61_vgpr62_vgpr63
	s_and_saveexec_b32 s46, s43
	s_cbranch_execz .LBB6_32
; %bb.28:
	s_and_b32 vcc_lo, exec_lo, s55
	s_cbranch_vccz .LBB6_30
; %bb.29:
	s_waitcnt vmcnt(1)
	v_dual_mov_b32 v0, v87 :: v_dual_mov_b32 v1, v88
	s_waitcnt vmcnt(0)
	v_dual_mov_b32 v2, v89 :: v_dual_mov_b32 v3, v90
	s_getpc_b64 s[0:1]
	s_add_u32 s0, s0, _ZN12_GLOBAL__N_111calc_igammaIdEET_S1_S1_@rel32@lo+4
	s_addc_u32 s1, s1, _ZN12_GLOBAL__N_111calc_igammaIdEET_S1_S1_@rel32@hi+12
	s_delay_alu instid0(SALU_CYCLE_1)
	s_swappc_b64 s[30:31], s[0:1]
	v_dual_mov_b32 v56, v0 :: v_dual_mov_b32 v57, v1
	s_cbranch_execz .LBB6_31
	s_branch .LBB6_32
.LBB6_30:
                                        ; implicit-def: $vgpr56_vgpr57
.LBB6_31:
	s_waitcnt vmcnt(1)
	v_dual_mov_b32 v0, v87 :: v_dual_mov_b32 v1, v88
	s_waitcnt vmcnt(0)
	v_dual_mov_b32 v2, v89 :: v_dual_mov_b32 v3, v90
	s_getpc_b64 s[0:1]
	s_add_u32 s0, s0, _ZN12_GLOBAL__N_112calc_igammacIdEET_S1_S1_@rel32@lo+4
	s_addc_u32 s1, s1, _ZN12_GLOBAL__N_112calc_igammacIdEET_S1_S1_@rel32@hi+12
	s_delay_alu instid0(SALU_CYCLE_1)
	s_swappc_b64 s[30:31], s[0:1]
	v_dual_mov_b32 v56, v0 :: v_dual_mov_b32 v57, v1
.LBB6_32:
	s_or_b32 exec_lo, exec_lo, s46
	s_waitcnt vmcnt(1)
	v_cndmask_b32_e64 v87, 0, 1, s55
	s_mov_b32 s46, exec_lo
	v_cmpx_gt_i32_e64 s54, v93
	s_cbranch_execz .LBB6_37
; %bb.33:
	s_and_not1_b32 vcc_lo, exec_lo, s55
	s_cbranch_vccnz .LBB6_35
; %bb.34:
	v_dual_mov_b32 v0, v76 :: v_dual_mov_b32 v1, v77
	s_waitcnt vmcnt(0)
	v_dual_mov_b32 v2, v78 :: v_dual_mov_b32 v3, v79
	s_getpc_b64 s[0:1]
	s_add_u32 s0, s0, _ZN12_GLOBAL__N_111calc_igammaIdEET_S1_S1_@rel32@lo+4
	s_addc_u32 s1, s1, _ZN12_GLOBAL__N_111calc_igammaIdEET_S1_S1_@rel32@hi+12
	s_delay_alu instid0(SALU_CYCLE_1)
	s_swappc_b64 s[30:31], s[0:1]
	v_dual_mov_b32 v58, v0 :: v_dual_mov_b32 v59, v1
	s_cbranch_execz .LBB6_36
	s_branch .LBB6_37
.LBB6_35:
.LBB6_36:
	v_dual_mov_b32 v0, v76 :: v_dual_mov_b32 v1, v77
	s_waitcnt vmcnt(0)
	v_dual_mov_b32 v2, v78 :: v_dual_mov_b32 v3, v79
	s_getpc_b64 s[0:1]
	s_add_u32 s0, s0, _ZN12_GLOBAL__N_112calc_igammacIdEET_S1_S1_@rel32@lo+4
	s_addc_u32 s1, s1, _ZN12_GLOBAL__N_112calc_igammacIdEET_S1_S1_@rel32@hi+12
	s_delay_alu instid0(SALU_CYCLE_1)
	s_swappc_b64 s[30:31], s[0:1]
	v_dual_mov_b32 v58, v0 :: v_dual_mov_b32 v59, v1
.LBB6_37:
	s_or_b32 exec_lo, exec_lo, s46
	v_or_b32_e32 v0, 0x200, v47
	s_mov_b32 s46, exec_lo
	s_delay_alu instid0(VALU_DEP_1)
	v_cmpx_gt_i32_e64 s54, v0
	s_cbranch_execz .LBB6_42
; %bb.38:
	v_cmp_ne_u32_e32 vcc_lo, 1, v87
	s_cbranch_vccnz .LBB6_40
; %bb.39:
	v_dual_mov_b32 v0, v72 :: v_dual_mov_b32 v1, v73
	s_waitcnt vmcnt(0)
	v_dual_mov_b32 v2, v74 :: v_dual_mov_b32 v3, v75
	s_getpc_b64 s[0:1]
	s_add_u32 s0, s0, _ZN12_GLOBAL__N_111calc_igammaIdEET_S1_S1_@rel32@lo+4
	s_addc_u32 s1, s1, _ZN12_GLOBAL__N_111calc_igammaIdEET_S1_S1_@rel32@hi+12
	s_delay_alu instid0(SALU_CYCLE_1)
	s_swappc_b64 s[30:31], s[0:1]
	v_dual_mov_b32 v60, v0 :: v_dual_mov_b32 v61, v1
	s_cbranch_execz .LBB6_41
	s_branch .LBB6_42
.LBB6_40:
.LBB6_41:
	v_dual_mov_b32 v0, v72 :: v_dual_mov_b32 v1, v73
	s_waitcnt vmcnt(0)
	v_dual_mov_b32 v2, v74 :: v_dual_mov_b32 v3, v75
	s_getpc_b64 s[0:1]
	s_add_u32 s0, s0, _ZN12_GLOBAL__N_112calc_igammacIdEET_S1_S1_@rel32@lo+4
	s_addc_u32 s1, s1, _ZN12_GLOBAL__N_112calc_igammacIdEET_S1_S1_@rel32@hi+12
	s_delay_alu instid0(SALU_CYCLE_1)
	s_swappc_b64 s[30:31], s[0:1]
	v_dual_mov_b32 v60, v0 :: v_dual_mov_b32 v61, v1
.LBB6_42:
	s_or_b32 exec_lo, exec_lo, s46
	v_or_b32_e32 v0, 0x300, v47
	s_mov_b32 s46, exec_lo
	s_delay_alu instid0(VALU_DEP_1)
	v_cmpx_gt_i32_e64 s54, v0
	s_cbranch_execz .LBB6_47
; %bb.43:
	v_cmp_ne_u32_e32 vcc_lo, 1, v87
	s_cbranch_vccnz .LBB6_45
; %bb.44:
	v_dual_mov_b32 v0, v43 :: v_dual_mov_b32 v1, v44
	s_waitcnt vmcnt(0)
	v_dual_mov_b32 v2, v45 :: v_dual_mov_b32 v3, v46
	s_getpc_b64 s[0:1]
	s_add_u32 s0, s0, _ZN12_GLOBAL__N_111calc_igammaIdEET_S1_S1_@rel32@lo+4
	s_addc_u32 s1, s1, _ZN12_GLOBAL__N_111calc_igammaIdEET_S1_S1_@rel32@hi+12
	s_delay_alu instid0(SALU_CYCLE_1)
	s_swappc_b64 s[30:31], s[0:1]
	v_dual_mov_b32 v62, v0 :: v_dual_mov_b32 v63, v1
	s_cbranch_execz .LBB6_46
	s_branch .LBB6_47
.LBB6_45:
.LBB6_46:
	v_dual_mov_b32 v0, v43 :: v_dual_mov_b32 v1, v44
	s_waitcnt vmcnt(0)
	v_dual_mov_b32 v2, v45 :: v_dual_mov_b32 v3, v46
	s_getpc_b64 s[0:1]
	s_add_u32 s0, s0, _ZN12_GLOBAL__N_112calc_igammacIdEET_S1_S1_@rel32@lo+4
	s_addc_u32 s1, s1, _ZN12_GLOBAL__N_112calc_igammacIdEET_S1_S1_@rel32@hi+12
	s_delay_alu instid0(SALU_CYCLE_1)
	s_swappc_b64 s[30:31], s[0:1]
	v_dual_mov_b32 v62, v0 :: v_dual_mov_b32 v63, v1
.LBB6_47:
	s_or_b32 exec_lo, exec_lo, s46
	s_and_saveexec_b32 s0, s43
	s_delay_alu instid0(SALU_CYCLE_1)
	s_xor_b32 s0, exec_lo, s0
	s_cbranch_execz .LBB6_49
; %bb.48:
	v_dual_mov_b32 v92, 0 :: v_dual_mov_b32 v47, v93
	s_delay_alu instid0(VALU_DEP_1) | instskip(NEXT) | instid1(VALU_DEP_1)
	v_lshlrev_b64 v[0:1], 3, v[91:92]
	v_add_co_u32 v0, vcc_lo, s44, v0
	s_delay_alu instid0(VALU_DEP_2)
	v_add_co_ci_u32_e32 v1, vcc_lo, s45, v1, vcc_lo
	global_store_b64 v[0:1], v[56:57], off
.LBB6_49:
	s_or_b32 exec_lo, exec_lo, s0
	s_delay_alu instid0(SALU_CYCLE_1)
	s_mov_b32 s0, exec_lo
	v_cmpx_gt_i32_e64 s54, v47
	s_cbranch_execnz .LBB6_53
; %bb.50:
	s_or_b32 exec_lo, exec_lo, s0
	s_delay_alu instid0(SALU_CYCLE_1)
	s_mov_b32 s0, exec_lo
	v_cmpx_gt_i32_e64 s54, v47
	s_cbranch_execnz .LBB6_54
.LBB6_51:
	s_or_b32 exec_lo, exec_lo, s0
	s_delay_alu instid0(SALU_CYCLE_1)
	s_mov_b32 s0, exec_lo
	v_cmpx_gt_i32_e64 s54, v47
	s_cbranch_execz .LBB6_55
.LBB6_52:
	v_dual_mov_b32 v1, 0 :: v_dual_add_nc_u32 v0, s48, v47
	s_delay_alu instid0(VALU_DEP_1) | instskip(NEXT) | instid1(VALU_DEP_1)
	v_lshlrev_b64 v[0:1], 3, v[0:1]
	v_add_co_u32 v0, vcc_lo, s44, v0
	s_delay_alu instid0(VALU_DEP_2)
	v_add_co_ci_u32_e32 v1, vcc_lo, s45, v1, vcc_lo
	global_store_b64 v[0:1], v[62:63], off
	s_endpgm
.LBB6_53:
	v_dual_mov_b32 v1, 0 :: v_dual_add_nc_u32 v0, s48, v47
	v_add_nc_u32_e32 v47, 0x100, v47
	s_delay_alu instid0(VALU_DEP_2) | instskip(NEXT) | instid1(VALU_DEP_1)
	v_lshlrev_b64 v[0:1], 3, v[0:1]
	v_add_co_u32 v0, vcc_lo, s44, v0
	s_delay_alu instid0(VALU_DEP_2) | instskip(SKIP_2) | instid1(SALU_CYCLE_1)
	v_add_co_ci_u32_e32 v1, vcc_lo, s45, v1, vcc_lo
	global_store_b64 v[0:1], v[58:59], off
	s_or_b32 exec_lo, exec_lo, s0
	s_mov_b32 s0, exec_lo
	v_cmpx_gt_i32_e64 s54, v47
	s_cbranch_execz .LBB6_51
.LBB6_54:
	v_dual_mov_b32 v1, 0 :: v_dual_add_nc_u32 v0, s48, v47
	v_add_nc_u32_e32 v47, 0x100, v47
	s_delay_alu instid0(VALU_DEP_2) | instskip(NEXT) | instid1(VALU_DEP_1)
	v_lshlrev_b64 v[0:1], 3, v[0:1]
	v_add_co_u32 v0, vcc_lo, s44, v0
	s_delay_alu instid0(VALU_DEP_2) | instskip(SKIP_2) | instid1(SALU_CYCLE_1)
	v_add_co_ci_u32_e32 v1, vcc_lo, s45, v1, vcc_lo
	global_store_b64 v[0:1], v[60:61], off
	s_or_b32 exec_lo, exec_lo, s0
	s_mov_b32 s0, exec_lo
	v_cmpx_gt_i32_e64 s54, v47
	s_cbranch_execnz .LBB6_52
.LBB6_55:
	s_endpgm
	.section	.rodata,"a",@progbits
	.p2align	6, 0x0
	.amdhsa_kernel _ZN2at6native29vectorized_elementwise_kernelILi8EN12_GLOBAL__N_110CalcIgammaIdEESt5arrayIPcLm3EEEEviT0_T1_
		.amdhsa_group_segment_fixed_size 0
		.amdhsa_private_segment_fixed_size 240
		.amdhsa_kernarg_size 32
		.amdhsa_user_sgpr_count 15
		.amdhsa_user_sgpr_dispatch_ptr 0
		.amdhsa_user_sgpr_queue_ptr 0
		.amdhsa_user_sgpr_kernarg_segment_ptr 1
		.amdhsa_user_sgpr_dispatch_id 0
		.amdhsa_user_sgpr_private_segment_size 0
		.amdhsa_wavefront_size32 1
		.amdhsa_uses_dynamic_stack 0
		.amdhsa_enable_private_segment 1
		.amdhsa_system_sgpr_workgroup_id_x 1
		.amdhsa_system_sgpr_workgroup_id_y 0
		.amdhsa_system_sgpr_workgroup_id_z 0
		.amdhsa_system_sgpr_workgroup_info 0
		.amdhsa_system_vgpr_workitem_id 0
		.amdhsa_next_free_vgpr 104
		.amdhsa_next_free_sgpr 56
		.amdhsa_reserve_vcc 1
		.amdhsa_float_round_mode_32 0
		.amdhsa_float_round_mode_16_64 0
		.amdhsa_float_denorm_mode_32 3
		.amdhsa_float_denorm_mode_16_64 3
		.amdhsa_dx10_clamp 1
		.amdhsa_ieee_mode 1
		.amdhsa_fp16_overflow 0
		.amdhsa_workgroup_processor_mode 1
		.amdhsa_memory_ordered 1
		.amdhsa_forward_progress 0
		.amdhsa_shared_vgpr_count 0
		.amdhsa_exception_fp_ieee_invalid_op 0
		.amdhsa_exception_fp_denorm_src 0
		.amdhsa_exception_fp_ieee_div_zero 0
		.amdhsa_exception_fp_ieee_overflow 0
		.amdhsa_exception_fp_ieee_underflow 0
		.amdhsa_exception_fp_ieee_inexact 0
		.amdhsa_exception_int_div_zero 0
	.end_amdhsa_kernel
	.section	.text._ZN2at6native29vectorized_elementwise_kernelILi8EN12_GLOBAL__N_110CalcIgammaIdEESt5arrayIPcLm3EEEEviT0_T1_,"axG",@progbits,_ZN2at6native29vectorized_elementwise_kernelILi8EN12_GLOBAL__N_110CalcIgammaIdEESt5arrayIPcLm3EEEEviT0_T1_,comdat
.Lfunc_end6:
	.size	_ZN2at6native29vectorized_elementwise_kernelILi8EN12_GLOBAL__N_110CalcIgammaIdEESt5arrayIPcLm3EEEEviT0_T1_, .Lfunc_end6-_ZN2at6native29vectorized_elementwise_kernelILi8EN12_GLOBAL__N_110CalcIgammaIdEESt5arrayIPcLm3EEEEviT0_T1_
                                        ; -- End function
	.section	.AMDGPU.csdata,"",@progbits
; Kernel info:
; codeLenInByte = 2132
; NumSgprs: 58
; NumVgprs: 104
; ScratchSize: 240
; MemoryBound: 1
; FloatMode: 240
; IeeeMode: 1
; LDSByteSize: 0 bytes/workgroup (compile time only)
; SGPRBlocks: 7
; VGPRBlocks: 12
; NumSGPRsForWavesPerEU: 58
; NumVGPRsForWavesPerEU: 104
; Occupancy: 12
; WaveLimiterHint : 0
; COMPUTE_PGM_RSRC2:SCRATCH_EN: 1
; COMPUTE_PGM_RSRC2:USER_SGPR: 15
; COMPUTE_PGM_RSRC2:TRAP_HANDLER: 0
; COMPUTE_PGM_RSRC2:TGID_X_EN: 1
; COMPUTE_PGM_RSRC2:TGID_Y_EN: 0
; COMPUTE_PGM_RSRC2:TGID_Z_EN: 0
; COMPUTE_PGM_RSRC2:TIDIG_COMP_CNT: 0
	.section	.text._ZN2at6native29vectorized_elementwise_kernelILi4EN12_GLOBAL__N_110CalcIgammaIdEESt5arrayIPcLm3EEEEviT0_T1_,"axG",@progbits,_ZN2at6native29vectorized_elementwise_kernelILi4EN12_GLOBAL__N_110CalcIgammaIdEESt5arrayIPcLm3EEEEviT0_T1_,comdat
	.globl	_ZN2at6native29vectorized_elementwise_kernelILi4EN12_GLOBAL__N_110CalcIgammaIdEESt5arrayIPcLm3EEEEviT0_T1_ ; -- Begin function _ZN2at6native29vectorized_elementwise_kernelILi4EN12_GLOBAL__N_110CalcIgammaIdEESt5arrayIPcLm3EEEEviT0_T1_
	.p2align	8
	.type	_ZN2at6native29vectorized_elementwise_kernelILi4EN12_GLOBAL__N_110CalcIgammaIdEESt5arrayIPcLm3EEEEviT0_T1_,@function
_ZN2at6native29vectorized_elementwise_kernelILi4EN12_GLOBAL__N_110CalcIgammaIdEESt5arrayIPcLm3EEEEviT0_T1_: ; @_ZN2at6native29vectorized_elementwise_kernelILi4EN12_GLOBAL__N_110CalcIgammaIdEESt5arrayIPcLm3EEEEviT0_T1_
; %bb.0:
	s_clause 0x2
	s_load_b64 s[2:3], s[0:1], 0x0
	s_load_b128 s[44:47], s[0:1], 0x8
	s_load_b64 s[50:51], s[0:1], 0x18
	v_mov_b32_e32 v47, v0
	s_mov_b32 s32, 0
	s_waitcnt lgkmcnt(0)
	s_bitcmp1_b32 s3, 0
	s_cselect_b32 s0, -1, 0
	s_lshl_b32 s48, s15, 10
	s_xor_b32 s55, s0, -1
	s_sub_i32 s54, s2, s48
	s_mov_b32 s0, -1
	s_cmpk_gt_i32 s54, 0x3ff
	s_cbranch_scc0 .LBB7_18
; %bb.1:
	s_ashr_i32 s49, s48, 31
	v_lshlrev_b32_e32 v87, 5, v47
	s_lshl_b64 s[52:53], s[48:49], 3
	s_delay_alu instid0(SALU_CYCLE_1)
	s_add_u32 s0, s46, s52
	s_addc_u32 s1, s47, s53
	s_add_u32 s2, s50, s52
	s_addc_u32 s3, s51, s53
	s_clause 0x3
	global_load_b128 v[56:59], v87, s[0:1] offset:16
	global_load_b128 v[72:75], v87, s[0:1]
	global_load_b128 v[60:63], v87, s[2:3] offset:16
	global_load_b128 v[76:79], v87, s[2:3]
	s_and_b32 vcc_lo, exec_lo, s55
	s_cbranch_vccz .LBB7_3
; %bb.2:
	s_waitcnt vmcnt(2)
	v_dual_mov_b32 v0, v72 :: v_dual_mov_b32 v1, v73
	s_waitcnt vmcnt(0)
	v_dual_mov_b32 v2, v76 :: v_dual_mov_b32 v3, v77
	s_getpc_b64 s[0:1]
	s_add_u32 s0, s0, _ZN12_GLOBAL__N_111calc_igammaIdEET_S1_S1_@rel32@lo+4
	s_addc_u32 s1, s1, _ZN12_GLOBAL__N_111calc_igammaIdEET_S1_S1_@rel32@hi+12
	s_delay_alu instid0(SALU_CYCLE_1)
	s_swappc_b64 s[30:31], s[0:1]
	v_dual_mov_b32 v43, v0 :: v_dual_mov_b32 v44, v1
	s_cbranch_execz .LBB7_4
	s_branch .LBB7_5
.LBB7_3:
                                        ; implicit-def: $vgpr43_vgpr44
.LBB7_4:
	s_waitcnt vmcnt(2)
	v_dual_mov_b32 v0, v72 :: v_dual_mov_b32 v1, v73
	s_waitcnt vmcnt(0)
	v_dual_mov_b32 v2, v76 :: v_dual_mov_b32 v3, v77
	s_getpc_b64 s[0:1]
	s_add_u32 s0, s0, _ZN12_GLOBAL__N_112calc_igammacIdEET_S1_S1_@rel32@lo+4
	s_addc_u32 s1, s1, _ZN12_GLOBAL__N_112calc_igammacIdEET_S1_S1_@rel32@hi+12
	s_delay_alu instid0(SALU_CYCLE_1)
	s_swappc_b64 s[30:31], s[0:1]
	v_dual_mov_b32 v43, v0 :: v_dual_mov_b32 v44, v1
.LBB7_5:
	s_and_not1_b32 vcc_lo, exec_lo, s55
	s_cbranch_vccnz .LBB7_7
; %bb.6:
	s_waitcnt vmcnt(2)
	v_dual_mov_b32 v0, v74 :: v_dual_mov_b32 v1, v75
	s_waitcnt vmcnt(0)
	v_dual_mov_b32 v2, v78 :: v_dual_mov_b32 v3, v79
	s_getpc_b64 s[0:1]
	s_add_u32 s0, s0, _ZN12_GLOBAL__N_111calc_igammaIdEET_S1_S1_@rel32@lo+4
	s_addc_u32 s1, s1, _ZN12_GLOBAL__N_111calc_igammaIdEET_S1_S1_@rel32@hi+12
	s_delay_alu instid0(SALU_CYCLE_1)
	s_swappc_b64 s[30:31], s[0:1]
	v_dual_mov_b32 v45, v0 :: v_dual_mov_b32 v46, v1
	s_cbranch_execz .LBB7_8
	s_branch .LBB7_9
.LBB7_7:
.LBB7_8:
	s_waitcnt vmcnt(2)
	v_dual_mov_b32 v0, v74 :: v_dual_mov_b32 v1, v75
	s_waitcnt vmcnt(0)
	v_dual_mov_b32 v2, v78 :: v_dual_mov_b32 v3, v79
	s_getpc_b64 s[0:1]
	s_add_u32 s0, s0, _ZN12_GLOBAL__N_112calc_igammacIdEET_S1_S1_@rel32@lo+4
	s_addc_u32 s1, s1, _ZN12_GLOBAL__N_112calc_igammacIdEET_S1_S1_@rel32@hi+12
	s_delay_alu instid0(SALU_CYCLE_1)
	s_swappc_b64 s[30:31], s[0:1]
	v_dual_mov_b32 v45, v0 :: v_dual_mov_b32 v46, v1
.LBB7_9:
	s_and_not1_b32 vcc_lo, exec_lo, s55
	s_cbranch_vccnz .LBB7_11
; %bb.10:
	s_waitcnt vmcnt(3)
	v_dual_mov_b32 v0, v56 :: v_dual_mov_b32 v1, v57
	s_waitcnt vmcnt(1)
	v_dual_mov_b32 v2, v60 :: v_dual_mov_b32 v3, v61
	s_getpc_b64 s[0:1]
	s_add_u32 s0, s0, _ZN12_GLOBAL__N_111calc_igammaIdEET_S1_S1_@rel32@lo+4
	s_addc_u32 s1, s1, _ZN12_GLOBAL__N_111calc_igammaIdEET_S1_S1_@rel32@hi+12
	s_delay_alu instid0(SALU_CYCLE_1)
	s_swappc_b64 s[30:31], s[0:1]
	v_dual_mov_b32 v72, v0 :: v_dual_mov_b32 v73, v1
	s_cbranch_execz .LBB7_12
	s_branch .LBB7_13
.LBB7_11:
                                        ; implicit-def: $vgpr72_vgpr73
.LBB7_12:
	s_waitcnt vmcnt(3)
	v_dual_mov_b32 v0, v56 :: v_dual_mov_b32 v1, v57
	s_waitcnt vmcnt(1)
	v_dual_mov_b32 v2, v60 :: v_dual_mov_b32 v3, v61
	s_getpc_b64 s[0:1]
	s_add_u32 s0, s0, _ZN12_GLOBAL__N_112calc_igammacIdEET_S1_S1_@rel32@lo+4
	s_addc_u32 s1, s1, _ZN12_GLOBAL__N_112calc_igammacIdEET_S1_S1_@rel32@hi+12
	s_delay_alu instid0(SALU_CYCLE_1)
	s_swappc_b64 s[30:31], s[0:1]
	v_dual_mov_b32 v72, v0 :: v_dual_mov_b32 v73, v1
.LBB7_13:
	s_and_not1_b32 vcc_lo, exec_lo, s55
	s_cbranch_vccnz .LBB7_15
; %bb.14:
	s_waitcnt vmcnt(3)
	v_dual_mov_b32 v0, v58 :: v_dual_mov_b32 v1, v59
	s_waitcnt vmcnt(1)
	v_dual_mov_b32 v2, v62 :: v_dual_mov_b32 v3, v63
	s_getpc_b64 s[0:1]
	s_add_u32 s0, s0, _ZN12_GLOBAL__N_111calc_igammaIdEET_S1_S1_@rel32@lo+4
	s_addc_u32 s1, s1, _ZN12_GLOBAL__N_111calc_igammaIdEET_S1_S1_@rel32@hi+12
	s_delay_alu instid0(SALU_CYCLE_1)
	s_swappc_b64 s[30:31], s[0:1]
	v_dual_mov_b32 v74, v0 :: v_dual_mov_b32 v75, v1
	s_cbranch_execz .LBB7_16
	s_branch .LBB7_17
.LBB7_15:
.LBB7_16:
	s_waitcnt vmcnt(3)
	v_dual_mov_b32 v0, v58 :: v_dual_mov_b32 v1, v59
	s_waitcnt vmcnt(1)
	v_dual_mov_b32 v2, v62 :: v_dual_mov_b32 v3, v63
	s_getpc_b64 s[0:1]
	s_add_u32 s0, s0, _ZN12_GLOBAL__N_112calc_igammacIdEET_S1_S1_@rel32@lo+4
	s_addc_u32 s1, s1, _ZN12_GLOBAL__N_112calc_igammacIdEET_S1_S1_@rel32@hi+12
	s_delay_alu instid0(SALU_CYCLE_1)
	s_swappc_b64 s[30:31], s[0:1]
	v_dual_mov_b32 v74, v0 :: v_dual_mov_b32 v75, v1
.LBB7_17:
	s_add_u32 s2, s44, s52
	s_addc_u32 s3, s45, s53
	s_mov_b32 s0, 0
	global_store_b128 v87, v[43:46], s[2:3]
	s_waitcnt vmcnt(2)
	global_store_b128 v87, v[72:75], s[2:3] offset:16
.LBB7_18:
	s_and_b32 vcc_lo, exec_lo, s0
	s_cbranch_vccz .LBB7_55
; %bb.19:
	s_waitcnt vmcnt(0)
	v_mov_b32_e32 v76, 0
	v_dual_mov_b32 v77, 0 :: v_dual_mov_b32 v0, v47
	v_cmp_gt_i32_e64 s43, s54, v47
	v_or_b32_e32 v91, s48, v47
	v_or_b32_e32 v93, 0x100, v47
	s_delay_alu instid0(VALU_DEP_4)
	v_dual_mov_b32 v88, v77 :: v_dual_mov_b32 v87, v76
	v_dual_mov_b32 v90, v77 :: v_dual_mov_b32 v89, v76
	s_and_saveexec_b32 s0, s43
	s_cbranch_execz .LBB7_21
; %bb.20:
	v_mov_b32_e32 v92, 0
	s_delay_alu instid0(VALU_DEP_1) | instskip(NEXT) | instid1(VALU_DEP_1)
	v_lshlrev_b64 v[0:1], 3, v[91:92]
	v_add_co_u32 v2, vcc_lo, s46, v0
	s_delay_alu instid0(VALU_DEP_2)
	v_add_co_ci_u32_e32 v3, vcc_lo, s47, v1, vcc_lo
	v_add_co_u32 v0, vcc_lo, s50, v0
	v_add_co_ci_u32_e32 v1, vcc_lo, s51, v1, vcc_lo
	global_load_b64 v[87:88], v[2:3], off
	global_load_b64 v[89:90], v[0:1], off
	v_or_b32_e32 v0, 0x100, v47
.LBB7_21:
	s_or_b32 exec_lo, exec_lo, s0
	v_dual_mov_b32 v79, v77 :: v_dual_mov_b32 v78, v76
	s_mov_b32 s0, exec_lo
	s_delay_alu instid0(VALU_DEP_2)
	v_cmpx_gt_i32_e64 s54, v0
	s_cbranch_execz .LBB7_23
; %bb.22:
	v_dual_mov_b32 v2, 0 :: v_dual_add_nc_u32 v1, s48, v0
	v_add_nc_u32_e32 v0, 0x100, v0
	s_delay_alu instid0(VALU_DEP_2) | instskip(NEXT) | instid1(VALU_DEP_1)
	v_lshlrev_b64 v[1:2], 3, v[1:2]
	v_add_co_u32 v3, vcc_lo, s46, v1
	s_delay_alu instid0(VALU_DEP_2)
	v_add_co_ci_u32_e32 v4, vcc_lo, s47, v2, vcc_lo
	v_add_co_u32 v1, vcc_lo, s50, v1
	v_add_co_ci_u32_e32 v2, vcc_lo, s51, v2, vcc_lo
	global_load_b64 v[76:77], v[3:4], off
	global_load_b64 v[78:79], v[1:2], off
.LBB7_23:
	s_or_b32 exec_lo, exec_lo, s0
	v_mov_b32_e32 v43, 0
	v_mov_b32_e32 v44, 0
	s_mov_b32 s0, exec_lo
	s_delay_alu instid0(VALU_DEP_1)
	v_dual_mov_b32 v73, v44 :: v_dual_mov_b32 v72, v43
	v_dual_mov_b32 v75, v44 :: v_dual_mov_b32 v74, v43
	v_cmpx_gt_i32_e64 s54, v0
	s_cbranch_execz .LBB7_25
; %bb.24:
	v_dual_mov_b32 v2, 0 :: v_dual_add_nc_u32 v1, s48, v0
	v_add_nc_u32_e32 v0, 0x100, v0
	s_delay_alu instid0(VALU_DEP_2) | instskip(NEXT) | instid1(VALU_DEP_1)
	v_lshlrev_b64 v[1:2], 3, v[1:2]
	v_add_co_u32 v3, vcc_lo, s46, v1
	s_delay_alu instid0(VALU_DEP_2)
	v_add_co_ci_u32_e32 v4, vcc_lo, s47, v2, vcc_lo
	v_add_co_u32 v1, vcc_lo, s50, v1
	v_add_co_ci_u32_e32 v2, vcc_lo, s51, v2, vcc_lo
	global_load_b64 v[72:73], v[3:4], off
	global_load_b64 v[74:75], v[1:2], off
.LBB7_25:
	s_or_b32 exec_lo, exec_lo, s0
	v_dual_mov_b32 v46, v44 :: v_dual_mov_b32 v45, v43
	s_mov_b32 s0, exec_lo
	v_cmpx_gt_i32_e64 s54, v0
	s_cbranch_execz .LBB7_27
; %bb.26:
	v_dual_mov_b32 v1, 0 :: v_dual_add_nc_u32 v0, s48, v0
	s_delay_alu instid0(VALU_DEP_1) | instskip(NEXT) | instid1(VALU_DEP_1)
	v_lshlrev_b64 v[0:1], 3, v[0:1]
	v_add_co_u32 v2, vcc_lo, s46, v0
	s_delay_alu instid0(VALU_DEP_2)
	v_add_co_ci_u32_e32 v3, vcc_lo, s47, v1, vcc_lo
	v_add_co_u32 v0, vcc_lo, s50, v0
	v_add_co_ci_u32_e32 v1, vcc_lo, s51, v1, vcc_lo
	global_load_b64 v[43:44], v[2:3], off
	global_load_b64 v[45:46], v[0:1], off
.LBB7_27:
	s_or_b32 exec_lo, exec_lo, s0
                                        ; implicit-def: $vgpr56_vgpr57_vgpr58_vgpr59_vgpr60_vgpr61_vgpr62_vgpr63
	s_and_saveexec_b32 s46, s43
	s_cbranch_execz .LBB7_32
; %bb.28:
	s_and_b32 vcc_lo, exec_lo, s55
	s_cbranch_vccz .LBB7_30
; %bb.29:
	s_waitcnt vmcnt(1)
	v_dual_mov_b32 v0, v87 :: v_dual_mov_b32 v1, v88
	s_waitcnt vmcnt(0)
	v_dual_mov_b32 v2, v89 :: v_dual_mov_b32 v3, v90
	s_getpc_b64 s[0:1]
	s_add_u32 s0, s0, _ZN12_GLOBAL__N_111calc_igammaIdEET_S1_S1_@rel32@lo+4
	s_addc_u32 s1, s1, _ZN12_GLOBAL__N_111calc_igammaIdEET_S1_S1_@rel32@hi+12
	s_delay_alu instid0(SALU_CYCLE_1)
	s_swappc_b64 s[30:31], s[0:1]
	v_dual_mov_b32 v56, v0 :: v_dual_mov_b32 v57, v1
	s_cbranch_execz .LBB7_31
	s_branch .LBB7_32
.LBB7_30:
                                        ; implicit-def: $vgpr56_vgpr57
.LBB7_31:
	s_waitcnt vmcnt(1)
	v_dual_mov_b32 v0, v87 :: v_dual_mov_b32 v1, v88
	s_waitcnt vmcnt(0)
	v_dual_mov_b32 v2, v89 :: v_dual_mov_b32 v3, v90
	s_getpc_b64 s[0:1]
	s_add_u32 s0, s0, _ZN12_GLOBAL__N_112calc_igammacIdEET_S1_S1_@rel32@lo+4
	s_addc_u32 s1, s1, _ZN12_GLOBAL__N_112calc_igammacIdEET_S1_S1_@rel32@hi+12
	s_delay_alu instid0(SALU_CYCLE_1)
	s_swappc_b64 s[30:31], s[0:1]
	v_dual_mov_b32 v56, v0 :: v_dual_mov_b32 v57, v1
.LBB7_32:
	s_or_b32 exec_lo, exec_lo, s46
	s_waitcnt vmcnt(1)
	v_cndmask_b32_e64 v87, 0, 1, s55
	s_mov_b32 s46, exec_lo
	v_cmpx_gt_i32_e64 s54, v93
	s_cbranch_execz .LBB7_37
; %bb.33:
	s_and_not1_b32 vcc_lo, exec_lo, s55
	s_cbranch_vccnz .LBB7_35
; %bb.34:
	v_dual_mov_b32 v0, v76 :: v_dual_mov_b32 v1, v77
	s_waitcnt vmcnt(0)
	v_dual_mov_b32 v2, v78 :: v_dual_mov_b32 v3, v79
	s_getpc_b64 s[0:1]
	s_add_u32 s0, s0, _ZN12_GLOBAL__N_111calc_igammaIdEET_S1_S1_@rel32@lo+4
	s_addc_u32 s1, s1, _ZN12_GLOBAL__N_111calc_igammaIdEET_S1_S1_@rel32@hi+12
	s_delay_alu instid0(SALU_CYCLE_1)
	s_swappc_b64 s[30:31], s[0:1]
	v_dual_mov_b32 v58, v0 :: v_dual_mov_b32 v59, v1
	s_cbranch_execz .LBB7_36
	s_branch .LBB7_37
.LBB7_35:
.LBB7_36:
	v_dual_mov_b32 v0, v76 :: v_dual_mov_b32 v1, v77
	s_waitcnt vmcnt(0)
	v_dual_mov_b32 v2, v78 :: v_dual_mov_b32 v3, v79
	s_getpc_b64 s[0:1]
	s_add_u32 s0, s0, _ZN12_GLOBAL__N_112calc_igammacIdEET_S1_S1_@rel32@lo+4
	s_addc_u32 s1, s1, _ZN12_GLOBAL__N_112calc_igammacIdEET_S1_S1_@rel32@hi+12
	s_delay_alu instid0(SALU_CYCLE_1)
	s_swappc_b64 s[30:31], s[0:1]
	v_dual_mov_b32 v58, v0 :: v_dual_mov_b32 v59, v1
.LBB7_37:
	s_or_b32 exec_lo, exec_lo, s46
	v_or_b32_e32 v0, 0x200, v47
	s_mov_b32 s46, exec_lo
	s_delay_alu instid0(VALU_DEP_1)
	v_cmpx_gt_i32_e64 s54, v0
	s_cbranch_execz .LBB7_42
; %bb.38:
	v_cmp_ne_u32_e32 vcc_lo, 1, v87
	s_cbranch_vccnz .LBB7_40
; %bb.39:
	v_dual_mov_b32 v0, v72 :: v_dual_mov_b32 v1, v73
	s_waitcnt vmcnt(0)
	v_dual_mov_b32 v2, v74 :: v_dual_mov_b32 v3, v75
	s_getpc_b64 s[0:1]
	s_add_u32 s0, s0, _ZN12_GLOBAL__N_111calc_igammaIdEET_S1_S1_@rel32@lo+4
	s_addc_u32 s1, s1, _ZN12_GLOBAL__N_111calc_igammaIdEET_S1_S1_@rel32@hi+12
	s_delay_alu instid0(SALU_CYCLE_1)
	s_swappc_b64 s[30:31], s[0:1]
	v_dual_mov_b32 v60, v0 :: v_dual_mov_b32 v61, v1
	s_cbranch_execz .LBB7_41
	s_branch .LBB7_42
.LBB7_40:
.LBB7_41:
	v_dual_mov_b32 v0, v72 :: v_dual_mov_b32 v1, v73
	s_waitcnt vmcnt(0)
	v_dual_mov_b32 v2, v74 :: v_dual_mov_b32 v3, v75
	s_getpc_b64 s[0:1]
	s_add_u32 s0, s0, _ZN12_GLOBAL__N_112calc_igammacIdEET_S1_S1_@rel32@lo+4
	s_addc_u32 s1, s1, _ZN12_GLOBAL__N_112calc_igammacIdEET_S1_S1_@rel32@hi+12
	s_delay_alu instid0(SALU_CYCLE_1)
	s_swappc_b64 s[30:31], s[0:1]
	v_dual_mov_b32 v60, v0 :: v_dual_mov_b32 v61, v1
.LBB7_42:
	s_or_b32 exec_lo, exec_lo, s46
	v_or_b32_e32 v0, 0x300, v47
	s_mov_b32 s46, exec_lo
	s_delay_alu instid0(VALU_DEP_1)
	v_cmpx_gt_i32_e64 s54, v0
	s_cbranch_execz .LBB7_47
; %bb.43:
	v_cmp_ne_u32_e32 vcc_lo, 1, v87
	s_cbranch_vccnz .LBB7_45
; %bb.44:
	v_dual_mov_b32 v0, v43 :: v_dual_mov_b32 v1, v44
	s_waitcnt vmcnt(0)
	v_dual_mov_b32 v2, v45 :: v_dual_mov_b32 v3, v46
	s_getpc_b64 s[0:1]
	s_add_u32 s0, s0, _ZN12_GLOBAL__N_111calc_igammaIdEET_S1_S1_@rel32@lo+4
	s_addc_u32 s1, s1, _ZN12_GLOBAL__N_111calc_igammaIdEET_S1_S1_@rel32@hi+12
	s_delay_alu instid0(SALU_CYCLE_1)
	s_swappc_b64 s[30:31], s[0:1]
	v_dual_mov_b32 v62, v0 :: v_dual_mov_b32 v63, v1
	s_cbranch_execz .LBB7_46
	s_branch .LBB7_47
.LBB7_45:
.LBB7_46:
	v_dual_mov_b32 v0, v43 :: v_dual_mov_b32 v1, v44
	s_waitcnt vmcnt(0)
	v_dual_mov_b32 v2, v45 :: v_dual_mov_b32 v3, v46
	s_getpc_b64 s[0:1]
	s_add_u32 s0, s0, _ZN12_GLOBAL__N_112calc_igammacIdEET_S1_S1_@rel32@lo+4
	s_addc_u32 s1, s1, _ZN12_GLOBAL__N_112calc_igammacIdEET_S1_S1_@rel32@hi+12
	s_delay_alu instid0(SALU_CYCLE_1)
	s_swappc_b64 s[30:31], s[0:1]
	v_dual_mov_b32 v62, v0 :: v_dual_mov_b32 v63, v1
.LBB7_47:
	s_or_b32 exec_lo, exec_lo, s46
	s_and_saveexec_b32 s0, s43
	s_delay_alu instid0(SALU_CYCLE_1)
	s_xor_b32 s0, exec_lo, s0
	s_cbranch_execz .LBB7_49
; %bb.48:
	v_dual_mov_b32 v92, 0 :: v_dual_mov_b32 v47, v93
	s_delay_alu instid0(VALU_DEP_1) | instskip(NEXT) | instid1(VALU_DEP_1)
	v_lshlrev_b64 v[0:1], 3, v[91:92]
	v_add_co_u32 v0, vcc_lo, s44, v0
	s_delay_alu instid0(VALU_DEP_2)
	v_add_co_ci_u32_e32 v1, vcc_lo, s45, v1, vcc_lo
	global_store_b64 v[0:1], v[56:57], off
.LBB7_49:
	s_or_b32 exec_lo, exec_lo, s0
	s_delay_alu instid0(SALU_CYCLE_1)
	s_mov_b32 s0, exec_lo
	v_cmpx_gt_i32_e64 s54, v47
	s_cbranch_execnz .LBB7_53
; %bb.50:
	s_or_b32 exec_lo, exec_lo, s0
	s_delay_alu instid0(SALU_CYCLE_1)
	s_mov_b32 s0, exec_lo
	v_cmpx_gt_i32_e64 s54, v47
	s_cbranch_execnz .LBB7_54
.LBB7_51:
	s_or_b32 exec_lo, exec_lo, s0
	s_delay_alu instid0(SALU_CYCLE_1)
	s_mov_b32 s0, exec_lo
	v_cmpx_gt_i32_e64 s54, v47
	s_cbranch_execz .LBB7_55
.LBB7_52:
	v_dual_mov_b32 v1, 0 :: v_dual_add_nc_u32 v0, s48, v47
	s_delay_alu instid0(VALU_DEP_1) | instskip(NEXT) | instid1(VALU_DEP_1)
	v_lshlrev_b64 v[0:1], 3, v[0:1]
	v_add_co_u32 v0, vcc_lo, s44, v0
	s_delay_alu instid0(VALU_DEP_2)
	v_add_co_ci_u32_e32 v1, vcc_lo, s45, v1, vcc_lo
	global_store_b64 v[0:1], v[62:63], off
	s_endpgm
.LBB7_53:
	v_dual_mov_b32 v1, 0 :: v_dual_add_nc_u32 v0, s48, v47
	v_add_nc_u32_e32 v47, 0x100, v47
	s_delay_alu instid0(VALU_DEP_2) | instskip(NEXT) | instid1(VALU_DEP_1)
	v_lshlrev_b64 v[0:1], 3, v[0:1]
	v_add_co_u32 v0, vcc_lo, s44, v0
	s_delay_alu instid0(VALU_DEP_2) | instskip(SKIP_2) | instid1(SALU_CYCLE_1)
	v_add_co_ci_u32_e32 v1, vcc_lo, s45, v1, vcc_lo
	global_store_b64 v[0:1], v[58:59], off
	s_or_b32 exec_lo, exec_lo, s0
	s_mov_b32 s0, exec_lo
	v_cmpx_gt_i32_e64 s54, v47
	s_cbranch_execz .LBB7_51
.LBB7_54:
	v_dual_mov_b32 v1, 0 :: v_dual_add_nc_u32 v0, s48, v47
	v_add_nc_u32_e32 v47, 0x100, v47
	s_delay_alu instid0(VALU_DEP_2) | instskip(NEXT) | instid1(VALU_DEP_1)
	v_lshlrev_b64 v[0:1], 3, v[0:1]
	v_add_co_u32 v0, vcc_lo, s44, v0
	s_delay_alu instid0(VALU_DEP_2) | instskip(SKIP_2) | instid1(SALU_CYCLE_1)
	v_add_co_ci_u32_e32 v1, vcc_lo, s45, v1, vcc_lo
	global_store_b64 v[0:1], v[60:61], off
	s_or_b32 exec_lo, exec_lo, s0
	s_mov_b32 s0, exec_lo
	v_cmpx_gt_i32_e64 s54, v47
	s_cbranch_execnz .LBB7_52
.LBB7_55:
	s_endpgm
	.section	.rodata,"a",@progbits
	.p2align	6, 0x0
	.amdhsa_kernel _ZN2at6native29vectorized_elementwise_kernelILi4EN12_GLOBAL__N_110CalcIgammaIdEESt5arrayIPcLm3EEEEviT0_T1_
		.amdhsa_group_segment_fixed_size 0
		.amdhsa_private_segment_fixed_size 240
		.amdhsa_kernarg_size 32
		.amdhsa_user_sgpr_count 15
		.amdhsa_user_sgpr_dispatch_ptr 0
		.amdhsa_user_sgpr_queue_ptr 0
		.amdhsa_user_sgpr_kernarg_segment_ptr 1
		.amdhsa_user_sgpr_dispatch_id 0
		.amdhsa_user_sgpr_private_segment_size 0
		.amdhsa_wavefront_size32 1
		.amdhsa_uses_dynamic_stack 0
		.amdhsa_enable_private_segment 1
		.amdhsa_system_sgpr_workgroup_id_x 1
		.amdhsa_system_sgpr_workgroup_id_y 0
		.amdhsa_system_sgpr_workgroup_id_z 0
		.amdhsa_system_sgpr_workgroup_info 0
		.amdhsa_system_vgpr_workitem_id 0
		.amdhsa_next_free_vgpr 104
		.amdhsa_next_free_sgpr 56
		.amdhsa_reserve_vcc 1
		.amdhsa_float_round_mode_32 0
		.amdhsa_float_round_mode_16_64 0
		.amdhsa_float_denorm_mode_32 3
		.amdhsa_float_denorm_mode_16_64 3
		.amdhsa_dx10_clamp 1
		.amdhsa_ieee_mode 1
		.amdhsa_fp16_overflow 0
		.amdhsa_workgroup_processor_mode 1
		.amdhsa_memory_ordered 1
		.amdhsa_forward_progress 0
		.amdhsa_shared_vgpr_count 0
		.amdhsa_exception_fp_ieee_invalid_op 0
		.amdhsa_exception_fp_denorm_src 0
		.amdhsa_exception_fp_ieee_div_zero 0
		.amdhsa_exception_fp_ieee_overflow 0
		.amdhsa_exception_fp_ieee_underflow 0
		.amdhsa_exception_fp_ieee_inexact 0
		.amdhsa_exception_int_div_zero 0
	.end_amdhsa_kernel
	.section	.text._ZN2at6native29vectorized_elementwise_kernelILi4EN12_GLOBAL__N_110CalcIgammaIdEESt5arrayIPcLm3EEEEviT0_T1_,"axG",@progbits,_ZN2at6native29vectorized_elementwise_kernelILi4EN12_GLOBAL__N_110CalcIgammaIdEESt5arrayIPcLm3EEEEviT0_T1_,comdat
.Lfunc_end7:
	.size	_ZN2at6native29vectorized_elementwise_kernelILi4EN12_GLOBAL__N_110CalcIgammaIdEESt5arrayIPcLm3EEEEviT0_T1_, .Lfunc_end7-_ZN2at6native29vectorized_elementwise_kernelILi4EN12_GLOBAL__N_110CalcIgammaIdEESt5arrayIPcLm3EEEEviT0_T1_
                                        ; -- End function
	.section	.AMDGPU.csdata,"",@progbits
; Kernel info:
; codeLenInByte = 2132
; NumSgprs: 58
; NumVgprs: 104
; ScratchSize: 240
; MemoryBound: 1
; FloatMode: 240
; IeeeMode: 1
; LDSByteSize: 0 bytes/workgroup (compile time only)
; SGPRBlocks: 7
; VGPRBlocks: 12
; NumSGPRsForWavesPerEU: 58
; NumVGPRsForWavesPerEU: 104
; Occupancy: 12
; WaveLimiterHint : 0
; COMPUTE_PGM_RSRC2:SCRATCH_EN: 1
; COMPUTE_PGM_RSRC2:USER_SGPR: 15
; COMPUTE_PGM_RSRC2:TRAP_HANDLER: 0
; COMPUTE_PGM_RSRC2:TGID_X_EN: 1
; COMPUTE_PGM_RSRC2:TGID_Y_EN: 0
; COMPUTE_PGM_RSRC2:TGID_Z_EN: 0
; COMPUTE_PGM_RSRC2:TIDIG_COMP_CNT: 0
	.section	.text._ZN2at6native29vectorized_elementwise_kernelILi2EN12_GLOBAL__N_110CalcIgammaIdEESt5arrayIPcLm3EEEEviT0_T1_,"axG",@progbits,_ZN2at6native29vectorized_elementwise_kernelILi2EN12_GLOBAL__N_110CalcIgammaIdEESt5arrayIPcLm3EEEEviT0_T1_,comdat
	.globl	_ZN2at6native29vectorized_elementwise_kernelILi2EN12_GLOBAL__N_110CalcIgammaIdEESt5arrayIPcLm3EEEEviT0_T1_ ; -- Begin function _ZN2at6native29vectorized_elementwise_kernelILi2EN12_GLOBAL__N_110CalcIgammaIdEESt5arrayIPcLm3EEEEviT0_T1_
	.p2align	8
	.type	_ZN2at6native29vectorized_elementwise_kernelILi2EN12_GLOBAL__N_110CalcIgammaIdEESt5arrayIPcLm3EEEEviT0_T1_,@function
_ZN2at6native29vectorized_elementwise_kernelILi2EN12_GLOBAL__N_110CalcIgammaIdEESt5arrayIPcLm3EEEEviT0_T1_: ; @_ZN2at6native29vectorized_elementwise_kernelILi2EN12_GLOBAL__N_110CalcIgammaIdEESt5arrayIPcLm3EEEEviT0_T1_
; %bb.0:
	s_clause 0x2
	s_load_b64 s[2:3], s[0:1], 0x0
	s_load_b128 s[44:47], s[0:1], 0x8
	s_load_b64 s[50:51], s[0:1], 0x18
	v_mov_b32_e32 v47, v0
	s_mov_b32 s32, 0
	s_waitcnt lgkmcnt(0)
	s_bitcmp1_b32 s3, 0
	s_cselect_b32 s0, -1, 0
	s_lshl_b32 s48, s15, 10
	s_xor_b32 s55, s0, -1
	s_sub_i32 s54, s2, s48
	s_mov_b32 s0, -1
	s_cmpk_gt_i32 s54, 0x3ff
	s_cbranch_scc0 .LBB8_18
; %bb.1:
	s_ashr_i32 s49, s48, 31
	v_lshlrev_b32_e32 v87, 4, v47
	s_lshl_b64 s[52:53], s[48:49], 3
	s_mov_b32 s43, 0
	s_add_u32 s0, s46, s52
	s_addc_u32 s1, s47, s53
	v_add_co_u32 v0, s2, s0, v87
	s_delay_alu instid0(VALU_DEP_1) | instskip(SKIP_3) | instid1(VALU_DEP_1)
	v_add_co_ci_u32_e64 v1, null, s1, 0, s2
	s_add_u32 s2, s50, s52
	s_addc_u32 s3, s51, s53
	v_add_co_u32 v2, s4, s2, v87
	v_add_co_ci_u32_e64 v3, null, s3, 0, s4
	v_add_co_u32 v0, vcc_lo, 0x1000, v0
	v_add_co_ci_u32_e32 v1, vcc_lo, 0, v1, vcc_lo
	s_delay_alu instid0(VALU_DEP_4) | instskip(NEXT) | instid1(VALU_DEP_4)
	v_add_co_u32 v2, vcc_lo, 0x1000, v2
	v_add_co_ci_u32_e32 v3, vcc_lo, 0, v3, vcc_lo
	s_clause 0x3
	global_load_b128 v[56:59], v[0:1], off
	global_load_b128 v[76:79], v87, s[0:1]
	global_load_b128 v[72:75], v87, s[2:3]
	global_load_b128 v[60:63], v[2:3], off
	s_and_b32 vcc_lo, exec_lo, s55
	s_cbranch_vccz .LBB8_3
; %bb.2:
	s_waitcnt vmcnt(2)
	v_dual_mov_b32 v0, v76 :: v_dual_mov_b32 v1, v77
	s_waitcnt vmcnt(1)
	v_dual_mov_b32 v2, v72 :: v_dual_mov_b32 v3, v73
	s_getpc_b64 s[0:1]
	s_add_u32 s0, s0, _ZN12_GLOBAL__N_111calc_igammaIdEET_S1_S1_@rel32@lo+4
	s_addc_u32 s1, s1, _ZN12_GLOBAL__N_111calc_igammaIdEET_S1_S1_@rel32@hi+12
	s_delay_alu instid0(SALU_CYCLE_1)
	s_swappc_b64 s[30:31], s[0:1]
	v_dual_mov_b32 v43, v0 :: v_dual_mov_b32 v44, v1
	s_and_not1_b32 vcc_lo, exec_lo, s43
	s_cbranch_vccz .LBB8_4
	s_branch .LBB8_5
.LBB8_3:
                                        ; implicit-def: $vgpr43_vgpr44
.LBB8_4:
	s_waitcnt vmcnt(2)
	v_dual_mov_b32 v0, v76 :: v_dual_mov_b32 v1, v77
	s_waitcnt vmcnt(1)
	v_dual_mov_b32 v2, v72 :: v_dual_mov_b32 v3, v73
	s_getpc_b64 s[0:1]
	s_add_u32 s0, s0, _ZN12_GLOBAL__N_112calc_igammacIdEET_S1_S1_@rel32@lo+4
	s_addc_u32 s1, s1, _ZN12_GLOBAL__N_112calc_igammacIdEET_S1_S1_@rel32@hi+12
	s_delay_alu instid0(SALU_CYCLE_1)
	s_swappc_b64 s[30:31], s[0:1]
	v_dual_mov_b32 v43, v0 :: v_dual_mov_b32 v44, v1
.LBB8_5:
	s_and_not1_b32 vcc_lo, exec_lo, s55
	s_cbranch_vccnz .LBB8_7
; %bb.6:
	s_waitcnt vmcnt(2)
	v_dual_mov_b32 v0, v78 :: v_dual_mov_b32 v1, v79
	s_waitcnt vmcnt(1)
	v_dual_mov_b32 v2, v74 :: v_dual_mov_b32 v3, v75
	s_getpc_b64 s[0:1]
	s_add_u32 s0, s0, _ZN12_GLOBAL__N_111calc_igammaIdEET_S1_S1_@rel32@lo+4
	s_addc_u32 s1, s1, _ZN12_GLOBAL__N_111calc_igammaIdEET_S1_S1_@rel32@hi+12
	s_delay_alu instid0(SALU_CYCLE_1)
	s_swappc_b64 s[30:31], s[0:1]
	v_dual_mov_b32 v45, v0 :: v_dual_mov_b32 v46, v1
	s_cbranch_execz .LBB8_8
	s_branch .LBB8_9
.LBB8_7:
.LBB8_8:
	s_waitcnt vmcnt(2)
	v_dual_mov_b32 v0, v78 :: v_dual_mov_b32 v1, v79
	s_waitcnt vmcnt(1)
	v_dual_mov_b32 v2, v74 :: v_dual_mov_b32 v3, v75
	s_getpc_b64 s[0:1]
	s_add_u32 s0, s0, _ZN12_GLOBAL__N_112calc_igammacIdEET_S1_S1_@rel32@lo+4
	s_addc_u32 s1, s1, _ZN12_GLOBAL__N_112calc_igammacIdEET_S1_S1_@rel32@hi+12
	s_delay_alu instid0(SALU_CYCLE_1)
	s_swappc_b64 s[30:31], s[0:1]
	v_dual_mov_b32 v45, v0 :: v_dual_mov_b32 v46, v1
.LBB8_9:
	s_and_not1_b32 vcc_lo, exec_lo, s55
	s_cbranch_vccnz .LBB8_11
; %bb.10:
	s_waitcnt vmcnt(3)
	v_dual_mov_b32 v0, v56 :: v_dual_mov_b32 v1, v57
	s_waitcnt vmcnt(0)
	v_dual_mov_b32 v2, v60 :: v_dual_mov_b32 v3, v61
	s_getpc_b64 s[0:1]
	s_add_u32 s0, s0, _ZN12_GLOBAL__N_111calc_igammaIdEET_S1_S1_@rel32@lo+4
	s_addc_u32 s1, s1, _ZN12_GLOBAL__N_111calc_igammaIdEET_S1_S1_@rel32@hi+12
	s_delay_alu instid0(SALU_CYCLE_1)
	s_swappc_b64 s[30:31], s[0:1]
	v_dual_mov_b32 v72, v0 :: v_dual_mov_b32 v73, v1
	s_cbranch_execz .LBB8_12
	s_branch .LBB8_13
.LBB8_11:
                                        ; implicit-def: $vgpr72_vgpr73
.LBB8_12:
	s_waitcnt vmcnt(3)
	v_dual_mov_b32 v0, v56 :: v_dual_mov_b32 v1, v57
	s_waitcnt vmcnt(0)
	v_dual_mov_b32 v2, v60 :: v_dual_mov_b32 v3, v61
	s_getpc_b64 s[0:1]
	s_add_u32 s0, s0, _ZN12_GLOBAL__N_112calc_igammacIdEET_S1_S1_@rel32@lo+4
	s_addc_u32 s1, s1, _ZN12_GLOBAL__N_112calc_igammacIdEET_S1_S1_@rel32@hi+12
	s_delay_alu instid0(SALU_CYCLE_1)
	s_swappc_b64 s[30:31], s[0:1]
	v_dual_mov_b32 v72, v0 :: v_dual_mov_b32 v73, v1
.LBB8_13:
	s_and_not1_b32 vcc_lo, exec_lo, s55
	s_cbranch_vccnz .LBB8_15
; %bb.14:
	s_waitcnt vmcnt(3)
	v_dual_mov_b32 v0, v58 :: v_dual_mov_b32 v1, v59
	s_waitcnt vmcnt(0)
	v_dual_mov_b32 v2, v62 :: v_dual_mov_b32 v3, v63
	s_getpc_b64 s[0:1]
	s_add_u32 s0, s0, _ZN12_GLOBAL__N_111calc_igammaIdEET_S1_S1_@rel32@lo+4
	s_addc_u32 s1, s1, _ZN12_GLOBAL__N_111calc_igammaIdEET_S1_S1_@rel32@hi+12
	s_delay_alu instid0(SALU_CYCLE_1)
	s_swappc_b64 s[30:31], s[0:1]
	v_dual_mov_b32 v74, v0 :: v_dual_mov_b32 v75, v1
	s_cbranch_execz .LBB8_16
	s_branch .LBB8_17
.LBB8_15:
.LBB8_16:
	s_waitcnt vmcnt(3)
	v_dual_mov_b32 v0, v58 :: v_dual_mov_b32 v1, v59
	s_waitcnt vmcnt(0)
	v_dual_mov_b32 v2, v62 :: v_dual_mov_b32 v3, v63
	s_getpc_b64 s[0:1]
	s_add_u32 s0, s0, _ZN12_GLOBAL__N_112calc_igammacIdEET_S1_S1_@rel32@lo+4
	s_addc_u32 s1, s1, _ZN12_GLOBAL__N_112calc_igammacIdEET_S1_S1_@rel32@hi+12
	s_delay_alu instid0(SALU_CYCLE_1)
	s_swappc_b64 s[30:31], s[0:1]
	v_dual_mov_b32 v74, v0 :: v_dual_mov_b32 v75, v1
.LBB8_17:
	s_add_u32 s2, s44, s52
	s_addc_u32 s3, s45, s53
	v_add_co_u32 v0, s0, s2, v87
	s_delay_alu instid0(VALU_DEP_1) | instskip(SKIP_1) | instid1(VALU_DEP_2)
	v_add_co_ci_u32_e64 v1, null, s3, 0, s0
	s_mov_b32 s0, 0
	v_add_co_u32 v0, vcc_lo, 0x1000, v0
	s_delay_alu instid0(VALU_DEP_2)
	v_add_co_ci_u32_e32 v1, vcc_lo, 0, v1, vcc_lo
	global_store_b128 v87, v[43:46], s[2:3]
	s_waitcnt vmcnt(1)
	global_store_b128 v[0:1], v[72:75], off
.LBB8_18:
	s_and_b32 vcc_lo, exec_lo, s0
	s_cbranch_vccz .LBB8_55
; %bb.19:
	v_mov_b32_e32 v76, 0
	v_dual_mov_b32 v77, 0 :: v_dual_mov_b32 v0, v47
	v_cmp_gt_i32_e64 s43, s54, v47
	v_or_b32_e32 v91, s48, v47
	v_or_b32_e32 v93, 0x100, v47
	s_delay_alu instid0(VALU_DEP_4)
	v_dual_mov_b32 v88, v77 :: v_dual_mov_b32 v87, v76
	v_dual_mov_b32 v90, v77 :: v_dual_mov_b32 v89, v76
	s_and_saveexec_b32 s0, s43
	s_cbranch_execz .LBB8_21
; %bb.20:
	v_mov_b32_e32 v92, 0
	s_delay_alu instid0(VALU_DEP_1) | instskip(NEXT) | instid1(VALU_DEP_1)
	v_lshlrev_b64 v[0:1], 3, v[91:92]
	v_add_co_u32 v2, vcc_lo, s46, v0
	s_delay_alu instid0(VALU_DEP_2)
	v_add_co_ci_u32_e32 v3, vcc_lo, s47, v1, vcc_lo
	v_add_co_u32 v0, vcc_lo, s50, v0
	v_add_co_ci_u32_e32 v1, vcc_lo, s51, v1, vcc_lo
	global_load_b64 v[87:88], v[2:3], off
	global_load_b64 v[89:90], v[0:1], off
	v_or_b32_e32 v0, 0x100, v47
.LBB8_21:
	s_or_b32 exec_lo, exec_lo, s0
	v_dual_mov_b32 v79, v77 :: v_dual_mov_b32 v78, v76
	s_mov_b32 s0, exec_lo
	s_delay_alu instid0(VALU_DEP_2)
	v_cmpx_gt_i32_e64 s54, v0
	s_cbranch_execz .LBB8_23
; %bb.22:
	v_dual_mov_b32 v2, 0 :: v_dual_add_nc_u32 v1, s48, v0
	v_add_nc_u32_e32 v0, 0x100, v0
	s_delay_alu instid0(VALU_DEP_2) | instskip(NEXT) | instid1(VALU_DEP_1)
	v_lshlrev_b64 v[1:2], 3, v[1:2]
	v_add_co_u32 v3, vcc_lo, s46, v1
	s_delay_alu instid0(VALU_DEP_2)
	v_add_co_ci_u32_e32 v4, vcc_lo, s47, v2, vcc_lo
	v_add_co_u32 v1, vcc_lo, s50, v1
	v_add_co_ci_u32_e32 v2, vcc_lo, s51, v2, vcc_lo
	global_load_b64 v[76:77], v[3:4], off
	global_load_b64 v[78:79], v[1:2], off
.LBB8_23:
	s_or_b32 exec_lo, exec_lo, s0
	v_mov_b32_e32 v43, 0
	v_mov_b32_e32 v44, 0
	s_mov_b32 s0, exec_lo
	s_delay_alu instid0(VALU_DEP_1)
	v_dual_mov_b32 v73, v44 :: v_dual_mov_b32 v72, v43
	v_dual_mov_b32 v75, v44 :: v_dual_mov_b32 v74, v43
	v_cmpx_gt_i32_e64 s54, v0
	s_cbranch_execz .LBB8_25
; %bb.24:
	v_dual_mov_b32 v2, 0 :: v_dual_add_nc_u32 v1, s48, v0
	v_add_nc_u32_e32 v0, 0x100, v0
	s_delay_alu instid0(VALU_DEP_2) | instskip(NEXT) | instid1(VALU_DEP_1)
	v_lshlrev_b64 v[1:2], 3, v[1:2]
	v_add_co_u32 v3, vcc_lo, s46, v1
	s_delay_alu instid0(VALU_DEP_2)
	v_add_co_ci_u32_e32 v4, vcc_lo, s47, v2, vcc_lo
	v_add_co_u32 v1, vcc_lo, s50, v1
	v_add_co_ci_u32_e32 v2, vcc_lo, s51, v2, vcc_lo
	global_load_b64 v[72:73], v[3:4], off
	global_load_b64 v[74:75], v[1:2], off
.LBB8_25:
	s_or_b32 exec_lo, exec_lo, s0
	v_dual_mov_b32 v46, v44 :: v_dual_mov_b32 v45, v43
	s_mov_b32 s0, exec_lo
	v_cmpx_gt_i32_e64 s54, v0
	s_cbranch_execz .LBB8_27
; %bb.26:
	v_dual_mov_b32 v1, 0 :: v_dual_add_nc_u32 v0, s48, v0
	s_delay_alu instid0(VALU_DEP_1) | instskip(NEXT) | instid1(VALU_DEP_1)
	v_lshlrev_b64 v[0:1], 3, v[0:1]
	v_add_co_u32 v2, vcc_lo, s46, v0
	s_delay_alu instid0(VALU_DEP_2)
	v_add_co_ci_u32_e32 v3, vcc_lo, s47, v1, vcc_lo
	v_add_co_u32 v0, vcc_lo, s50, v0
	v_add_co_ci_u32_e32 v1, vcc_lo, s51, v1, vcc_lo
	global_load_b64 v[43:44], v[2:3], off
	global_load_b64 v[45:46], v[0:1], off
.LBB8_27:
	s_or_b32 exec_lo, exec_lo, s0
                                        ; implicit-def: $vgpr56_vgpr57_vgpr58_vgpr59_vgpr60_vgpr61_vgpr62_vgpr63
	s_and_saveexec_b32 s46, s43
	s_cbranch_execz .LBB8_32
; %bb.28:
	s_and_b32 vcc_lo, exec_lo, s55
	s_cbranch_vccz .LBB8_30
; %bb.29:
	s_waitcnt vmcnt(1)
	v_dual_mov_b32 v0, v87 :: v_dual_mov_b32 v1, v88
	s_waitcnt vmcnt(0)
	v_dual_mov_b32 v2, v89 :: v_dual_mov_b32 v3, v90
	s_getpc_b64 s[0:1]
	s_add_u32 s0, s0, _ZN12_GLOBAL__N_111calc_igammaIdEET_S1_S1_@rel32@lo+4
	s_addc_u32 s1, s1, _ZN12_GLOBAL__N_111calc_igammaIdEET_S1_S1_@rel32@hi+12
	s_delay_alu instid0(SALU_CYCLE_1)
	s_swappc_b64 s[30:31], s[0:1]
	v_dual_mov_b32 v56, v0 :: v_dual_mov_b32 v57, v1
	s_cbranch_execz .LBB8_31
	s_branch .LBB8_32
.LBB8_30:
                                        ; implicit-def: $vgpr56_vgpr57
.LBB8_31:
	s_waitcnt vmcnt(1)
	v_dual_mov_b32 v0, v87 :: v_dual_mov_b32 v1, v88
	s_waitcnt vmcnt(0)
	v_dual_mov_b32 v2, v89 :: v_dual_mov_b32 v3, v90
	s_getpc_b64 s[0:1]
	s_add_u32 s0, s0, _ZN12_GLOBAL__N_112calc_igammacIdEET_S1_S1_@rel32@lo+4
	s_addc_u32 s1, s1, _ZN12_GLOBAL__N_112calc_igammacIdEET_S1_S1_@rel32@hi+12
	s_delay_alu instid0(SALU_CYCLE_1)
	s_swappc_b64 s[30:31], s[0:1]
	v_dual_mov_b32 v56, v0 :: v_dual_mov_b32 v57, v1
.LBB8_32:
	s_or_b32 exec_lo, exec_lo, s46
	s_waitcnt vmcnt(1)
	v_cndmask_b32_e64 v87, 0, 1, s55
	s_mov_b32 s46, exec_lo
	v_cmpx_gt_i32_e64 s54, v93
	s_cbranch_execz .LBB8_37
; %bb.33:
	s_and_not1_b32 vcc_lo, exec_lo, s55
	s_cbranch_vccnz .LBB8_35
; %bb.34:
	v_dual_mov_b32 v0, v76 :: v_dual_mov_b32 v1, v77
	s_waitcnt vmcnt(0)
	v_dual_mov_b32 v2, v78 :: v_dual_mov_b32 v3, v79
	s_getpc_b64 s[0:1]
	s_add_u32 s0, s0, _ZN12_GLOBAL__N_111calc_igammaIdEET_S1_S1_@rel32@lo+4
	s_addc_u32 s1, s1, _ZN12_GLOBAL__N_111calc_igammaIdEET_S1_S1_@rel32@hi+12
	s_delay_alu instid0(SALU_CYCLE_1)
	s_swappc_b64 s[30:31], s[0:1]
	v_dual_mov_b32 v58, v0 :: v_dual_mov_b32 v59, v1
	s_cbranch_execz .LBB8_36
	s_branch .LBB8_37
.LBB8_35:
.LBB8_36:
	v_dual_mov_b32 v0, v76 :: v_dual_mov_b32 v1, v77
	s_waitcnt vmcnt(0)
	v_dual_mov_b32 v2, v78 :: v_dual_mov_b32 v3, v79
	s_getpc_b64 s[0:1]
	s_add_u32 s0, s0, _ZN12_GLOBAL__N_112calc_igammacIdEET_S1_S1_@rel32@lo+4
	s_addc_u32 s1, s1, _ZN12_GLOBAL__N_112calc_igammacIdEET_S1_S1_@rel32@hi+12
	s_delay_alu instid0(SALU_CYCLE_1)
	s_swappc_b64 s[30:31], s[0:1]
	v_dual_mov_b32 v58, v0 :: v_dual_mov_b32 v59, v1
.LBB8_37:
	s_or_b32 exec_lo, exec_lo, s46
	v_or_b32_e32 v0, 0x200, v47
	s_mov_b32 s46, exec_lo
	s_delay_alu instid0(VALU_DEP_1)
	v_cmpx_gt_i32_e64 s54, v0
	s_cbranch_execz .LBB8_42
; %bb.38:
	v_cmp_ne_u32_e32 vcc_lo, 1, v87
	s_cbranch_vccnz .LBB8_40
; %bb.39:
	v_dual_mov_b32 v0, v72 :: v_dual_mov_b32 v1, v73
	s_waitcnt vmcnt(0)
	v_dual_mov_b32 v2, v74 :: v_dual_mov_b32 v3, v75
	s_getpc_b64 s[0:1]
	s_add_u32 s0, s0, _ZN12_GLOBAL__N_111calc_igammaIdEET_S1_S1_@rel32@lo+4
	s_addc_u32 s1, s1, _ZN12_GLOBAL__N_111calc_igammaIdEET_S1_S1_@rel32@hi+12
	s_delay_alu instid0(SALU_CYCLE_1)
	s_swappc_b64 s[30:31], s[0:1]
	v_dual_mov_b32 v60, v0 :: v_dual_mov_b32 v61, v1
	s_cbranch_execz .LBB8_41
	s_branch .LBB8_42
.LBB8_40:
.LBB8_41:
	v_dual_mov_b32 v0, v72 :: v_dual_mov_b32 v1, v73
	s_waitcnt vmcnt(0)
	v_dual_mov_b32 v2, v74 :: v_dual_mov_b32 v3, v75
	s_getpc_b64 s[0:1]
	s_add_u32 s0, s0, _ZN12_GLOBAL__N_112calc_igammacIdEET_S1_S1_@rel32@lo+4
	s_addc_u32 s1, s1, _ZN12_GLOBAL__N_112calc_igammacIdEET_S1_S1_@rel32@hi+12
	s_delay_alu instid0(SALU_CYCLE_1)
	s_swappc_b64 s[30:31], s[0:1]
	v_dual_mov_b32 v60, v0 :: v_dual_mov_b32 v61, v1
.LBB8_42:
	s_or_b32 exec_lo, exec_lo, s46
	v_or_b32_e32 v0, 0x300, v47
	s_mov_b32 s46, exec_lo
	s_delay_alu instid0(VALU_DEP_1)
	v_cmpx_gt_i32_e64 s54, v0
	s_cbranch_execz .LBB8_47
; %bb.43:
	v_cmp_ne_u32_e32 vcc_lo, 1, v87
	s_cbranch_vccnz .LBB8_45
; %bb.44:
	v_dual_mov_b32 v0, v43 :: v_dual_mov_b32 v1, v44
	s_waitcnt vmcnt(0)
	v_dual_mov_b32 v2, v45 :: v_dual_mov_b32 v3, v46
	s_getpc_b64 s[0:1]
	s_add_u32 s0, s0, _ZN12_GLOBAL__N_111calc_igammaIdEET_S1_S1_@rel32@lo+4
	s_addc_u32 s1, s1, _ZN12_GLOBAL__N_111calc_igammaIdEET_S1_S1_@rel32@hi+12
	s_delay_alu instid0(SALU_CYCLE_1)
	s_swappc_b64 s[30:31], s[0:1]
	v_dual_mov_b32 v62, v0 :: v_dual_mov_b32 v63, v1
	s_cbranch_execz .LBB8_46
	s_branch .LBB8_47
.LBB8_45:
.LBB8_46:
	v_dual_mov_b32 v0, v43 :: v_dual_mov_b32 v1, v44
	s_waitcnt vmcnt(0)
	v_dual_mov_b32 v2, v45 :: v_dual_mov_b32 v3, v46
	s_getpc_b64 s[0:1]
	s_add_u32 s0, s0, _ZN12_GLOBAL__N_112calc_igammacIdEET_S1_S1_@rel32@lo+4
	s_addc_u32 s1, s1, _ZN12_GLOBAL__N_112calc_igammacIdEET_S1_S1_@rel32@hi+12
	s_delay_alu instid0(SALU_CYCLE_1)
	s_swappc_b64 s[30:31], s[0:1]
	v_dual_mov_b32 v62, v0 :: v_dual_mov_b32 v63, v1
.LBB8_47:
	s_or_b32 exec_lo, exec_lo, s46
	s_and_saveexec_b32 s0, s43
	s_delay_alu instid0(SALU_CYCLE_1)
	s_xor_b32 s0, exec_lo, s0
	s_cbranch_execz .LBB8_49
; %bb.48:
	v_dual_mov_b32 v92, 0 :: v_dual_mov_b32 v47, v93
	s_delay_alu instid0(VALU_DEP_1) | instskip(NEXT) | instid1(VALU_DEP_1)
	v_lshlrev_b64 v[0:1], 3, v[91:92]
	v_add_co_u32 v0, vcc_lo, s44, v0
	s_delay_alu instid0(VALU_DEP_2)
	v_add_co_ci_u32_e32 v1, vcc_lo, s45, v1, vcc_lo
	global_store_b64 v[0:1], v[56:57], off
.LBB8_49:
	s_or_b32 exec_lo, exec_lo, s0
	s_delay_alu instid0(SALU_CYCLE_1)
	s_mov_b32 s0, exec_lo
	v_cmpx_gt_i32_e64 s54, v47
	s_cbranch_execnz .LBB8_53
; %bb.50:
	s_or_b32 exec_lo, exec_lo, s0
	s_delay_alu instid0(SALU_CYCLE_1)
	s_mov_b32 s0, exec_lo
	v_cmpx_gt_i32_e64 s54, v47
	s_cbranch_execnz .LBB8_54
.LBB8_51:
	s_or_b32 exec_lo, exec_lo, s0
	s_delay_alu instid0(SALU_CYCLE_1)
	s_mov_b32 s0, exec_lo
	v_cmpx_gt_i32_e64 s54, v47
	s_cbranch_execz .LBB8_55
.LBB8_52:
	v_dual_mov_b32 v1, 0 :: v_dual_add_nc_u32 v0, s48, v47
	s_delay_alu instid0(VALU_DEP_1) | instskip(NEXT) | instid1(VALU_DEP_1)
	v_lshlrev_b64 v[0:1], 3, v[0:1]
	v_add_co_u32 v0, vcc_lo, s44, v0
	s_delay_alu instid0(VALU_DEP_2)
	v_add_co_ci_u32_e32 v1, vcc_lo, s45, v1, vcc_lo
	s_waitcnt vmcnt(0)
	global_store_b64 v[0:1], v[62:63], off
	s_endpgm
.LBB8_53:
	v_dual_mov_b32 v1, 0 :: v_dual_add_nc_u32 v0, s48, v47
	v_add_nc_u32_e32 v47, 0x100, v47
	s_delay_alu instid0(VALU_DEP_2) | instskip(NEXT) | instid1(VALU_DEP_1)
	v_lshlrev_b64 v[0:1], 3, v[0:1]
	v_add_co_u32 v0, vcc_lo, s44, v0
	s_delay_alu instid0(VALU_DEP_2) | instskip(SKIP_2) | instid1(SALU_CYCLE_1)
	v_add_co_ci_u32_e32 v1, vcc_lo, s45, v1, vcc_lo
	global_store_b64 v[0:1], v[58:59], off
	s_or_b32 exec_lo, exec_lo, s0
	s_mov_b32 s0, exec_lo
	v_cmpx_gt_i32_e64 s54, v47
	s_cbranch_execz .LBB8_51
.LBB8_54:
	v_dual_mov_b32 v1, 0 :: v_dual_add_nc_u32 v0, s48, v47
	v_add_nc_u32_e32 v47, 0x100, v47
	s_delay_alu instid0(VALU_DEP_2) | instskip(NEXT) | instid1(VALU_DEP_1)
	v_lshlrev_b64 v[0:1], 3, v[0:1]
	v_add_co_u32 v0, vcc_lo, s44, v0
	s_delay_alu instid0(VALU_DEP_2) | instskip(SKIP_3) | instid1(SALU_CYCLE_1)
	v_add_co_ci_u32_e32 v1, vcc_lo, s45, v1, vcc_lo
	s_waitcnt vmcnt(0)
	global_store_b64 v[0:1], v[60:61], off
	s_or_b32 exec_lo, exec_lo, s0
	s_mov_b32 s0, exec_lo
	v_cmpx_gt_i32_e64 s54, v47
	s_cbranch_execnz .LBB8_52
.LBB8_55:
	s_endpgm
	.section	.rodata,"a",@progbits
	.p2align	6, 0x0
	.amdhsa_kernel _ZN2at6native29vectorized_elementwise_kernelILi2EN12_GLOBAL__N_110CalcIgammaIdEESt5arrayIPcLm3EEEEviT0_T1_
		.amdhsa_group_segment_fixed_size 0
		.amdhsa_private_segment_fixed_size 240
		.amdhsa_kernarg_size 32
		.amdhsa_user_sgpr_count 15
		.amdhsa_user_sgpr_dispatch_ptr 0
		.amdhsa_user_sgpr_queue_ptr 0
		.amdhsa_user_sgpr_kernarg_segment_ptr 1
		.amdhsa_user_sgpr_dispatch_id 0
		.amdhsa_user_sgpr_private_segment_size 0
		.amdhsa_wavefront_size32 1
		.amdhsa_uses_dynamic_stack 0
		.amdhsa_enable_private_segment 1
		.amdhsa_system_sgpr_workgroup_id_x 1
		.amdhsa_system_sgpr_workgroup_id_y 0
		.amdhsa_system_sgpr_workgroup_id_z 0
		.amdhsa_system_sgpr_workgroup_info 0
		.amdhsa_system_vgpr_workitem_id 0
		.amdhsa_next_free_vgpr 104
		.amdhsa_next_free_sgpr 56
		.amdhsa_reserve_vcc 1
		.amdhsa_float_round_mode_32 0
		.amdhsa_float_round_mode_16_64 0
		.amdhsa_float_denorm_mode_32 3
		.amdhsa_float_denorm_mode_16_64 3
		.amdhsa_dx10_clamp 1
		.amdhsa_ieee_mode 1
		.amdhsa_fp16_overflow 0
		.amdhsa_workgroup_processor_mode 1
		.amdhsa_memory_ordered 1
		.amdhsa_forward_progress 0
		.amdhsa_shared_vgpr_count 0
		.amdhsa_exception_fp_ieee_invalid_op 0
		.amdhsa_exception_fp_denorm_src 0
		.amdhsa_exception_fp_ieee_div_zero 0
		.amdhsa_exception_fp_ieee_overflow 0
		.amdhsa_exception_fp_ieee_underflow 0
		.amdhsa_exception_fp_ieee_inexact 0
		.amdhsa_exception_int_div_zero 0
	.end_amdhsa_kernel
	.section	.text._ZN2at6native29vectorized_elementwise_kernelILi2EN12_GLOBAL__N_110CalcIgammaIdEESt5arrayIPcLm3EEEEviT0_T1_,"axG",@progbits,_ZN2at6native29vectorized_elementwise_kernelILi2EN12_GLOBAL__N_110CalcIgammaIdEESt5arrayIPcLm3EEEEviT0_T1_,comdat
.Lfunc_end8:
	.size	_ZN2at6native29vectorized_elementwise_kernelILi2EN12_GLOBAL__N_110CalcIgammaIdEESt5arrayIPcLm3EEEEviT0_T1_, .Lfunc_end8-_ZN2at6native29vectorized_elementwise_kernelILi2EN12_GLOBAL__N_110CalcIgammaIdEESt5arrayIPcLm3EEEEviT0_T1_
                                        ; -- End function
	.section	.AMDGPU.csdata,"",@progbits
; Kernel info:
; codeLenInByte = 2252
; NumSgprs: 58
; NumVgprs: 104
; ScratchSize: 240
; MemoryBound: 0
; FloatMode: 240
; IeeeMode: 1
; LDSByteSize: 0 bytes/workgroup (compile time only)
; SGPRBlocks: 7
; VGPRBlocks: 12
; NumSGPRsForWavesPerEU: 58
; NumVGPRsForWavesPerEU: 104
; Occupancy: 12
; WaveLimiterHint : 0
; COMPUTE_PGM_RSRC2:SCRATCH_EN: 1
; COMPUTE_PGM_RSRC2:USER_SGPR: 15
; COMPUTE_PGM_RSRC2:TRAP_HANDLER: 0
; COMPUTE_PGM_RSRC2:TGID_X_EN: 1
; COMPUTE_PGM_RSRC2:TGID_Y_EN: 0
; COMPUTE_PGM_RSRC2:TGID_Z_EN: 0
; COMPUTE_PGM_RSRC2:TIDIG_COMP_CNT: 0
	.section	.text._ZN2at6native27unrolled_elementwise_kernelIN12_GLOBAL__N_110CalcIgammaIdEESt5arrayIPcLm3EELi4E23TrivialOffsetCalculatorILi2EjES8_ILi1EjENS0_6memory15LoadWithoutCastENSB_16StoreWithoutCastEEEviT_T0_T2_T3_T4_T5_,"axG",@progbits,_ZN2at6native27unrolled_elementwise_kernelIN12_GLOBAL__N_110CalcIgammaIdEESt5arrayIPcLm3EELi4E23TrivialOffsetCalculatorILi2EjES8_ILi1EjENS0_6memory15LoadWithoutCastENSB_16StoreWithoutCastEEEviT_T0_T2_T3_T4_T5_,comdat
	.globl	_ZN2at6native27unrolled_elementwise_kernelIN12_GLOBAL__N_110CalcIgammaIdEESt5arrayIPcLm3EELi4E23TrivialOffsetCalculatorILi2EjES8_ILi1EjENS0_6memory15LoadWithoutCastENSB_16StoreWithoutCastEEEviT_T0_T2_T3_T4_T5_ ; -- Begin function _ZN2at6native27unrolled_elementwise_kernelIN12_GLOBAL__N_110CalcIgammaIdEESt5arrayIPcLm3EELi4E23TrivialOffsetCalculatorILi2EjES8_ILi1EjENS0_6memory15LoadWithoutCastENSB_16StoreWithoutCastEEEviT_T0_T2_T3_T4_T5_
	.p2align	8
	.type	_ZN2at6native27unrolled_elementwise_kernelIN12_GLOBAL__N_110CalcIgammaIdEESt5arrayIPcLm3EELi4E23TrivialOffsetCalculatorILi2EjES8_ILi1EjENS0_6memory15LoadWithoutCastENSB_16StoreWithoutCastEEEviT_T0_T2_T3_T4_T5_,@function
_ZN2at6native27unrolled_elementwise_kernelIN12_GLOBAL__N_110CalcIgammaIdEESt5arrayIPcLm3EELi4E23TrivialOffsetCalculatorILi2EjES8_ILi1EjENS0_6memory15LoadWithoutCastENSB_16StoreWithoutCastEEEviT_T0_T2_T3_T4_T5_: ; @_ZN2at6native27unrolled_elementwise_kernelIN12_GLOBAL__N_110CalcIgammaIdEESt5arrayIPcLm3EELi4E23TrivialOffsetCalculatorILi2EjES8_ILi1EjENS0_6memory15LoadWithoutCastENSB_16StoreWithoutCastEEEviT_T0_T2_T3_T4_T5_
; %bb.0:
	s_clause 0x2
	s_load_b64 s[2:3], s[0:1], 0x0
	s_load_b128 s[44:47], s[0:1], 0x8
	s_load_b64 s[0:1], s[0:1], 0x18
	v_dual_mov_b32 v47, v0 :: v_dual_mov_b32 v76, 0
	v_mov_b32_e32 v77, 0
	s_lshl_b32 s48, s15, 10
	s_mov_b32 s32, 0
	s_delay_alu instid0(VALU_DEP_2)
	v_or_b32_e32 v91, s48, v47
	v_or_b32_e32 v93, 0x100, v47
	v_dual_mov_b32 v88, v77 :: v_dual_mov_b32 v87, v76
	v_dual_mov_b32 v90, v77 :: v_dual_mov_b32 v89, v76
	s_waitcnt lgkmcnt(0)
	s_sub_i32 s49, s2, s48
	s_delay_alu instid0(SALU_CYCLE_1) | instskip(NEXT) | instid1(VALU_DEP_1)
	v_cmp_gt_i32_e64 s43, s49, v47
	s_and_saveexec_b32 s2, s43
	s_cbranch_execz .LBB9_2
; %bb.1:
	v_mov_b32_e32 v92, 0
	s_delay_alu instid0(VALU_DEP_1) | instskip(NEXT) | instid1(VALU_DEP_1)
	v_lshlrev_b64 v[0:1], 3, v[91:92]
	v_add_co_u32 v2, vcc_lo, s46, v0
	s_delay_alu instid0(VALU_DEP_2)
	v_add_co_ci_u32_e32 v3, vcc_lo, s47, v1, vcc_lo
	v_add_co_u32 v0, vcc_lo, s0, v0
	v_add_co_ci_u32_e32 v1, vcc_lo, s1, v1, vcc_lo
	global_load_b64 v[87:88], v[2:3], off
	global_load_b64 v[89:90], v[0:1], off
	v_or_b32_e32 v0, 0x100, v47
.LBB9_2:
	s_or_b32 exec_lo, exec_lo, s2
	v_dual_mov_b32 v79, v77 :: v_dual_mov_b32 v78, v76
	s_mov_b32 s2, exec_lo
	s_delay_alu instid0(VALU_DEP_2)
	v_cmpx_gt_i32_e64 s49, v0
	s_cbranch_execz .LBB9_4
; %bb.3:
	v_dual_mov_b32 v2, 0 :: v_dual_add_nc_u32 v1, s48, v0
	v_add_nc_u32_e32 v0, 0x100, v0
	s_delay_alu instid0(VALU_DEP_2) | instskip(NEXT) | instid1(VALU_DEP_1)
	v_lshlrev_b64 v[1:2], 3, v[1:2]
	v_add_co_u32 v3, vcc_lo, s46, v1
	s_delay_alu instid0(VALU_DEP_2)
	v_add_co_ci_u32_e32 v4, vcc_lo, s47, v2, vcc_lo
	v_add_co_u32 v1, vcc_lo, s0, v1
	v_add_co_ci_u32_e32 v2, vcc_lo, s1, v2, vcc_lo
	global_load_b64 v[76:77], v[3:4], off
	global_load_b64 v[78:79], v[1:2], off
.LBB9_4:
	s_or_b32 exec_lo, exec_lo, s2
	v_mov_b32_e32 v43, 0
	v_mov_b32_e32 v44, 0
	s_mov_b32 s2, exec_lo
	s_delay_alu instid0(VALU_DEP_1)
	v_dual_mov_b32 v73, v44 :: v_dual_mov_b32 v72, v43
	v_dual_mov_b32 v75, v44 :: v_dual_mov_b32 v74, v43
	v_cmpx_gt_i32_e64 s49, v0
	s_cbranch_execz .LBB9_6
; %bb.5:
	v_dual_mov_b32 v2, 0 :: v_dual_add_nc_u32 v1, s48, v0
	v_add_nc_u32_e32 v0, 0x100, v0
	s_delay_alu instid0(VALU_DEP_2) | instskip(NEXT) | instid1(VALU_DEP_1)
	v_lshlrev_b64 v[1:2], 3, v[1:2]
	v_add_co_u32 v3, vcc_lo, s46, v1
	s_delay_alu instid0(VALU_DEP_2)
	v_add_co_ci_u32_e32 v4, vcc_lo, s47, v2, vcc_lo
	v_add_co_u32 v1, vcc_lo, s0, v1
	v_add_co_ci_u32_e32 v2, vcc_lo, s1, v2, vcc_lo
	global_load_b64 v[72:73], v[3:4], off
	global_load_b64 v[74:75], v[1:2], off
.LBB9_6:
	s_or_b32 exec_lo, exec_lo, s2
	v_dual_mov_b32 v46, v44 :: v_dual_mov_b32 v45, v43
	s_mov_b32 s2, exec_lo
	v_cmpx_gt_i32_e64 s49, v0
	s_cbranch_execz .LBB9_8
; %bb.7:
	v_dual_mov_b32 v1, 0 :: v_dual_add_nc_u32 v0, s48, v0
	s_delay_alu instid0(VALU_DEP_1) | instskip(NEXT) | instid1(VALU_DEP_1)
	v_lshlrev_b64 v[0:1], 3, v[0:1]
	v_add_co_u32 v2, vcc_lo, s46, v0
	s_delay_alu instid0(VALU_DEP_2)
	v_add_co_ci_u32_e32 v3, vcc_lo, s47, v1, vcc_lo
	v_add_co_u32 v0, vcc_lo, s0, v0
	v_add_co_ci_u32_e32 v1, vcc_lo, s1, v1, vcc_lo
	global_load_b64 v[43:44], v[2:3], off
	global_load_b64 v[45:46], v[0:1], off
.LBB9_8:
	s_or_b32 exec_lo, exec_lo, s2
	s_bitcmp1_b32 s3, 0
	s_mov_b32 s0, -1
	s_cselect_b32 s1, -1, 0
                                        ; implicit-def: $vgpr56_vgpr57_vgpr58_vgpr59_vgpr60_vgpr61_vgpr62_vgpr63
	s_delay_alu instid0(SALU_CYCLE_1)
	s_xor_b32 s46, s1, -1
	s_and_saveexec_b32 s47, s43
	s_cbranch_execz .LBB9_13
; %bb.9:
	s_and_b32 vcc_lo, exec_lo, s46
	s_cbranch_vccz .LBB9_11
; %bb.10:
	s_waitcnt vmcnt(1)
	v_dual_mov_b32 v0, v87 :: v_dual_mov_b32 v1, v88
	s_waitcnt vmcnt(0)
	v_dual_mov_b32 v2, v89 :: v_dual_mov_b32 v3, v90
	s_getpc_b64 s[0:1]
	s_add_u32 s0, s0, _ZN12_GLOBAL__N_111calc_igammaIdEET_S1_S1_@rel32@lo+4
	s_addc_u32 s1, s1, _ZN12_GLOBAL__N_111calc_igammaIdEET_S1_S1_@rel32@hi+12
	s_delay_alu instid0(SALU_CYCLE_1)
	s_swappc_b64 s[30:31], s[0:1]
	v_dual_mov_b32 v56, v0 :: v_dual_mov_b32 v57, v1
	s_cbranch_execz .LBB9_12
	s_branch .LBB9_13
.LBB9_11:
                                        ; implicit-def: $vgpr56_vgpr57
	s_and_not1_b32 vcc_lo, exec_lo, s0
	s_cbranch_vccnz .LBB9_13
.LBB9_12:
	s_waitcnt vmcnt(1)
	v_dual_mov_b32 v0, v87 :: v_dual_mov_b32 v1, v88
	s_waitcnt vmcnt(0)
	v_dual_mov_b32 v2, v89 :: v_dual_mov_b32 v3, v90
	s_getpc_b64 s[0:1]
	s_add_u32 s0, s0, _ZN12_GLOBAL__N_112calc_igammacIdEET_S1_S1_@rel32@lo+4
	s_addc_u32 s1, s1, _ZN12_GLOBAL__N_112calc_igammacIdEET_S1_S1_@rel32@hi+12
	s_delay_alu instid0(SALU_CYCLE_1)
	s_swappc_b64 s[30:31], s[0:1]
	v_dual_mov_b32 v56, v0 :: v_dual_mov_b32 v57, v1
.LBB9_13:
	s_or_b32 exec_lo, exec_lo, s47
	s_waitcnt vmcnt(1)
	v_cndmask_b32_e64 v87, 0, 1, s46
	s_mov_b32 s47, exec_lo
	v_cmpx_gt_i32_e64 s49, v93
	s_cbranch_execz .LBB9_18
; %bb.14:
	s_and_not1_b32 vcc_lo, exec_lo, s46
	s_cbranch_vccnz .LBB9_16
; %bb.15:
	v_dual_mov_b32 v0, v76 :: v_dual_mov_b32 v1, v77
	s_waitcnt vmcnt(0)
	v_dual_mov_b32 v2, v78 :: v_dual_mov_b32 v3, v79
	s_getpc_b64 s[0:1]
	s_add_u32 s0, s0, _ZN12_GLOBAL__N_111calc_igammaIdEET_S1_S1_@rel32@lo+4
	s_addc_u32 s1, s1, _ZN12_GLOBAL__N_111calc_igammaIdEET_S1_S1_@rel32@hi+12
	s_delay_alu instid0(SALU_CYCLE_1)
	s_swappc_b64 s[30:31], s[0:1]
	v_dual_mov_b32 v58, v0 :: v_dual_mov_b32 v59, v1
	s_cbranch_execz .LBB9_17
	s_branch .LBB9_18
.LBB9_16:
.LBB9_17:
	v_dual_mov_b32 v0, v76 :: v_dual_mov_b32 v1, v77
	s_waitcnt vmcnt(0)
	v_dual_mov_b32 v2, v78 :: v_dual_mov_b32 v3, v79
	s_getpc_b64 s[0:1]
	s_add_u32 s0, s0, _ZN12_GLOBAL__N_112calc_igammacIdEET_S1_S1_@rel32@lo+4
	s_addc_u32 s1, s1, _ZN12_GLOBAL__N_112calc_igammacIdEET_S1_S1_@rel32@hi+12
	s_delay_alu instid0(SALU_CYCLE_1)
	s_swappc_b64 s[30:31], s[0:1]
	v_dual_mov_b32 v58, v0 :: v_dual_mov_b32 v59, v1
.LBB9_18:
	s_or_b32 exec_lo, exec_lo, s47
	v_or_b32_e32 v0, 0x200, v47
	s_mov_b32 s46, exec_lo
	s_delay_alu instid0(VALU_DEP_1)
	v_cmpx_gt_i32_e64 s49, v0
	s_cbranch_execz .LBB9_23
; %bb.19:
	v_cmp_ne_u32_e32 vcc_lo, 1, v87
	s_cbranch_vccnz .LBB9_21
; %bb.20:
	v_dual_mov_b32 v0, v72 :: v_dual_mov_b32 v1, v73
	s_waitcnt vmcnt(0)
	v_dual_mov_b32 v2, v74 :: v_dual_mov_b32 v3, v75
	s_getpc_b64 s[0:1]
	s_add_u32 s0, s0, _ZN12_GLOBAL__N_111calc_igammaIdEET_S1_S1_@rel32@lo+4
	s_addc_u32 s1, s1, _ZN12_GLOBAL__N_111calc_igammaIdEET_S1_S1_@rel32@hi+12
	s_delay_alu instid0(SALU_CYCLE_1)
	s_swappc_b64 s[30:31], s[0:1]
	v_dual_mov_b32 v60, v0 :: v_dual_mov_b32 v61, v1
	s_cbranch_execz .LBB9_22
	s_branch .LBB9_23
.LBB9_21:
.LBB9_22:
	v_dual_mov_b32 v0, v72 :: v_dual_mov_b32 v1, v73
	s_waitcnt vmcnt(0)
	v_dual_mov_b32 v2, v74 :: v_dual_mov_b32 v3, v75
	s_getpc_b64 s[0:1]
	s_add_u32 s0, s0, _ZN12_GLOBAL__N_112calc_igammacIdEET_S1_S1_@rel32@lo+4
	s_addc_u32 s1, s1, _ZN12_GLOBAL__N_112calc_igammacIdEET_S1_S1_@rel32@hi+12
	s_delay_alu instid0(SALU_CYCLE_1)
	s_swappc_b64 s[30:31], s[0:1]
	v_dual_mov_b32 v60, v0 :: v_dual_mov_b32 v61, v1
.LBB9_23:
	s_or_b32 exec_lo, exec_lo, s46
	v_or_b32_e32 v0, 0x300, v47
	s_mov_b32 s46, exec_lo
	s_delay_alu instid0(VALU_DEP_1)
	v_cmpx_gt_i32_e64 s49, v0
	s_cbranch_execz .LBB9_28
; %bb.24:
	v_cmp_ne_u32_e32 vcc_lo, 1, v87
	s_cbranch_vccnz .LBB9_26
; %bb.25:
	v_dual_mov_b32 v0, v43 :: v_dual_mov_b32 v1, v44
	s_waitcnt vmcnt(0)
	v_dual_mov_b32 v2, v45 :: v_dual_mov_b32 v3, v46
	s_getpc_b64 s[0:1]
	s_add_u32 s0, s0, _ZN12_GLOBAL__N_111calc_igammaIdEET_S1_S1_@rel32@lo+4
	s_addc_u32 s1, s1, _ZN12_GLOBAL__N_111calc_igammaIdEET_S1_S1_@rel32@hi+12
	s_delay_alu instid0(SALU_CYCLE_1)
	s_swappc_b64 s[30:31], s[0:1]
	v_dual_mov_b32 v62, v0 :: v_dual_mov_b32 v63, v1
	s_cbranch_execz .LBB9_27
	s_branch .LBB9_28
.LBB9_26:
.LBB9_27:
	v_dual_mov_b32 v0, v43 :: v_dual_mov_b32 v1, v44
	s_waitcnt vmcnt(0)
	v_dual_mov_b32 v2, v45 :: v_dual_mov_b32 v3, v46
	s_getpc_b64 s[0:1]
	s_add_u32 s0, s0, _ZN12_GLOBAL__N_112calc_igammacIdEET_S1_S1_@rel32@lo+4
	s_addc_u32 s1, s1, _ZN12_GLOBAL__N_112calc_igammacIdEET_S1_S1_@rel32@hi+12
	s_delay_alu instid0(SALU_CYCLE_1)
	s_swappc_b64 s[30:31], s[0:1]
	v_dual_mov_b32 v62, v0 :: v_dual_mov_b32 v63, v1
.LBB9_28:
	s_or_b32 exec_lo, exec_lo, s46
	s_and_saveexec_b32 s0, s43
	s_delay_alu instid0(SALU_CYCLE_1)
	s_xor_b32 s0, exec_lo, s0
	s_cbranch_execz .LBB9_30
; %bb.29:
	v_dual_mov_b32 v92, 0 :: v_dual_mov_b32 v47, v93
	s_delay_alu instid0(VALU_DEP_1) | instskip(NEXT) | instid1(VALU_DEP_1)
	v_lshlrev_b64 v[0:1], 3, v[91:92]
	v_add_co_u32 v0, vcc_lo, s44, v0
	s_delay_alu instid0(VALU_DEP_2)
	v_add_co_ci_u32_e32 v1, vcc_lo, s45, v1, vcc_lo
	global_store_b64 v[0:1], v[56:57], off
.LBB9_30:
	s_or_b32 exec_lo, exec_lo, s0
	s_delay_alu instid0(SALU_CYCLE_1)
	s_mov_b32 s0, exec_lo
	v_cmpx_gt_i32_e64 s49, v47
	s_cbranch_execnz .LBB9_34
; %bb.31:
	s_or_b32 exec_lo, exec_lo, s0
	s_delay_alu instid0(SALU_CYCLE_1)
	s_mov_b32 s0, exec_lo
	v_cmpx_gt_i32_e64 s49, v47
	s_cbranch_execnz .LBB9_35
.LBB9_32:
	s_or_b32 exec_lo, exec_lo, s0
	s_delay_alu instid0(SALU_CYCLE_1)
	s_mov_b32 s0, exec_lo
	v_cmpx_gt_i32_e64 s49, v47
	s_cbranch_execnz .LBB9_36
.LBB9_33:
	s_endpgm
.LBB9_34:
	v_dual_mov_b32 v1, 0 :: v_dual_add_nc_u32 v0, s48, v47
	v_add_nc_u32_e32 v47, 0x100, v47
	s_delay_alu instid0(VALU_DEP_2) | instskip(NEXT) | instid1(VALU_DEP_1)
	v_lshlrev_b64 v[0:1], 3, v[0:1]
	v_add_co_u32 v0, vcc_lo, s44, v0
	s_delay_alu instid0(VALU_DEP_2) | instskip(SKIP_2) | instid1(SALU_CYCLE_1)
	v_add_co_ci_u32_e32 v1, vcc_lo, s45, v1, vcc_lo
	global_store_b64 v[0:1], v[58:59], off
	s_or_b32 exec_lo, exec_lo, s0
	s_mov_b32 s0, exec_lo
	v_cmpx_gt_i32_e64 s49, v47
	s_cbranch_execz .LBB9_32
.LBB9_35:
	v_dual_mov_b32 v1, 0 :: v_dual_add_nc_u32 v0, s48, v47
	v_add_nc_u32_e32 v47, 0x100, v47
	s_delay_alu instid0(VALU_DEP_2) | instskip(NEXT) | instid1(VALU_DEP_1)
	v_lshlrev_b64 v[0:1], 3, v[0:1]
	v_add_co_u32 v0, vcc_lo, s44, v0
	s_delay_alu instid0(VALU_DEP_2) | instskip(SKIP_2) | instid1(SALU_CYCLE_1)
	v_add_co_ci_u32_e32 v1, vcc_lo, s45, v1, vcc_lo
	global_store_b64 v[0:1], v[60:61], off
	s_or_b32 exec_lo, exec_lo, s0
	s_mov_b32 s0, exec_lo
	v_cmpx_gt_i32_e64 s49, v47
	s_cbranch_execz .LBB9_33
.LBB9_36:
	v_dual_mov_b32 v1, 0 :: v_dual_add_nc_u32 v0, s48, v47
	s_delay_alu instid0(VALU_DEP_1) | instskip(NEXT) | instid1(VALU_DEP_1)
	v_lshlrev_b64 v[0:1], 3, v[0:1]
	v_add_co_u32 v0, vcc_lo, s44, v0
	s_delay_alu instid0(VALU_DEP_2)
	v_add_co_ci_u32_e32 v1, vcc_lo, s45, v1, vcc_lo
	global_store_b64 v[0:1], v[62:63], off
	s_endpgm
	.section	.rodata,"a",@progbits
	.p2align	6, 0x0
	.amdhsa_kernel _ZN2at6native27unrolled_elementwise_kernelIN12_GLOBAL__N_110CalcIgammaIdEESt5arrayIPcLm3EELi4E23TrivialOffsetCalculatorILi2EjES8_ILi1EjENS0_6memory15LoadWithoutCastENSB_16StoreWithoutCastEEEviT_T0_T2_T3_T4_T5_
		.amdhsa_group_segment_fixed_size 0
		.amdhsa_private_segment_fixed_size 240
		.amdhsa_kernarg_size 36
		.amdhsa_user_sgpr_count 15
		.amdhsa_user_sgpr_dispatch_ptr 0
		.amdhsa_user_sgpr_queue_ptr 0
		.amdhsa_user_sgpr_kernarg_segment_ptr 1
		.amdhsa_user_sgpr_dispatch_id 0
		.amdhsa_user_sgpr_private_segment_size 0
		.amdhsa_wavefront_size32 1
		.amdhsa_uses_dynamic_stack 0
		.amdhsa_enable_private_segment 1
		.amdhsa_system_sgpr_workgroup_id_x 1
		.amdhsa_system_sgpr_workgroup_id_y 0
		.amdhsa_system_sgpr_workgroup_id_z 0
		.amdhsa_system_sgpr_workgroup_info 0
		.amdhsa_system_vgpr_workitem_id 0
		.amdhsa_next_free_vgpr 104
		.amdhsa_next_free_sgpr 50
		.amdhsa_reserve_vcc 1
		.amdhsa_float_round_mode_32 0
		.amdhsa_float_round_mode_16_64 0
		.amdhsa_float_denorm_mode_32 3
		.amdhsa_float_denorm_mode_16_64 3
		.amdhsa_dx10_clamp 1
		.amdhsa_ieee_mode 1
		.amdhsa_fp16_overflow 0
		.amdhsa_workgroup_processor_mode 1
		.amdhsa_memory_ordered 1
		.amdhsa_forward_progress 0
		.amdhsa_shared_vgpr_count 0
		.amdhsa_exception_fp_ieee_invalid_op 0
		.amdhsa_exception_fp_denorm_src 0
		.amdhsa_exception_fp_ieee_div_zero 0
		.amdhsa_exception_fp_ieee_overflow 0
		.amdhsa_exception_fp_ieee_underflow 0
		.amdhsa_exception_fp_ieee_inexact 0
		.amdhsa_exception_int_div_zero 0
	.end_amdhsa_kernel
	.section	.text._ZN2at6native27unrolled_elementwise_kernelIN12_GLOBAL__N_110CalcIgammaIdEESt5arrayIPcLm3EELi4E23TrivialOffsetCalculatorILi2EjES8_ILi1EjENS0_6memory15LoadWithoutCastENSB_16StoreWithoutCastEEEviT_T0_T2_T3_T4_T5_,"axG",@progbits,_ZN2at6native27unrolled_elementwise_kernelIN12_GLOBAL__N_110CalcIgammaIdEESt5arrayIPcLm3EELi4E23TrivialOffsetCalculatorILi2EjES8_ILi1EjENS0_6memory15LoadWithoutCastENSB_16StoreWithoutCastEEEviT_T0_T2_T3_T4_T5_,comdat
.Lfunc_end9:
	.size	_ZN2at6native27unrolled_elementwise_kernelIN12_GLOBAL__N_110CalcIgammaIdEESt5arrayIPcLm3EELi4E23TrivialOffsetCalculatorILi2EjES8_ILi1EjENS0_6memory15LoadWithoutCastENSB_16StoreWithoutCastEEEviT_T0_T2_T3_T4_T5_, .Lfunc_end9-_ZN2at6native27unrolled_elementwise_kernelIN12_GLOBAL__N_110CalcIgammaIdEESt5arrayIPcLm3EELi4E23TrivialOffsetCalculatorILi2EjES8_ILi1EjENS0_6memory15LoadWithoutCastENSB_16StoreWithoutCastEEEviT_T0_T2_T3_T4_T5_
                                        ; -- End function
	.section	.AMDGPU.csdata,"",@progbits
; Kernel info:
; codeLenInByte = 1480
; NumSgprs: 52
; NumVgprs: 104
; ScratchSize: 240
; MemoryBound: 0
; FloatMode: 240
; IeeeMode: 1
; LDSByteSize: 0 bytes/workgroup (compile time only)
; SGPRBlocks: 6
; VGPRBlocks: 12
; NumSGPRsForWavesPerEU: 52
; NumVGPRsForWavesPerEU: 104
; Occupancy: 12
; WaveLimiterHint : 0
; COMPUTE_PGM_RSRC2:SCRATCH_EN: 1
; COMPUTE_PGM_RSRC2:USER_SGPR: 15
; COMPUTE_PGM_RSRC2:TRAP_HANDLER: 0
; COMPUTE_PGM_RSRC2:TGID_X_EN: 1
; COMPUTE_PGM_RSRC2:TGID_Y_EN: 0
; COMPUTE_PGM_RSRC2:TGID_Z_EN: 0
; COMPUTE_PGM_RSRC2:TIDIG_COMP_CNT: 0
	.section	.text._ZN2at6native32elementwise_kernel_manual_unrollILi128ELi4EZNS0_22gpu_kernel_impl_nocastIN12_GLOBAL__N_110CalcIgammaIdEEEEvRNS_18TensorIteratorBaseERKT_EUlibE_EEviT1_,"axG",@progbits,_ZN2at6native32elementwise_kernel_manual_unrollILi128ELi4EZNS0_22gpu_kernel_impl_nocastIN12_GLOBAL__N_110CalcIgammaIdEEEEvRNS_18TensorIteratorBaseERKT_EUlibE_EEviT1_,comdat
	.globl	_ZN2at6native32elementwise_kernel_manual_unrollILi128ELi4EZNS0_22gpu_kernel_impl_nocastIN12_GLOBAL__N_110CalcIgammaIdEEEEvRNS_18TensorIteratorBaseERKT_EUlibE_EEviT1_ ; -- Begin function _ZN2at6native32elementwise_kernel_manual_unrollILi128ELi4EZNS0_22gpu_kernel_impl_nocastIN12_GLOBAL__N_110CalcIgammaIdEEEEvRNS_18TensorIteratorBaseERKT_EUlibE_EEviT1_
	.p2align	8
	.type	_ZN2at6native32elementwise_kernel_manual_unrollILi128ELi4EZNS0_22gpu_kernel_impl_nocastIN12_GLOBAL__N_110CalcIgammaIdEEEEvRNS_18TensorIteratorBaseERKT_EUlibE_EEviT1_,@function
_ZN2at6native32elementwise_kernel_manual_unrollILi128ELi4EZNS0_22gpu_kernel_impl_nocastIN12_GLOBAL__N_110CalcIgammaIdEEEEvRNS_18TensorIteratorBaseERKT_EUlibE_EEviT1_: ; @_ZN2at6native32elementwise_kernel_manual_unrollILi128ELi4EZNS0_22gpu_kernel_impl_nocastIN12_GLOBAL__N_110CalcIgammaIdEEEEvRNS_18TensorIteratorBaseERKT_EUlibE_EEviT1_
; %bb.0:
	s_clause 0x1
	s_load_b32 s43, s[0:1], 0x8
	s_load_b32 s70, s[0:1], 0x0
	v_lshl_or_b32 v47, s15, 9, v0
	s_mov_b64 s[44:45], s[0:1]
	s_mov_b32 s32, 0
	s_or_b32 s44, s44, 8
	s_mov_b32 s0, exec_lo
	v_or_b32_e32 v2, 0x180, v47
	s_waitcnt lgkmcnt(0)
	s_add_i32 s64, s43, -1
	s_delay_alu instid0(SALU_CYCLE_1)
	s_cmp_gt_u32 s64, 1
	s_cselect_b32 s65, -1, 0
	v_cmpx_le_i32_e64 s70, v2
	s_xor_b32 s66, exec_lo, s0
	s_cbranch_execz .LBB10_66
; %bb.1:
	s_clause 0x6
	s_load_b32 s0, s[44:45], 0x1a0
	s_load_b128 s[56:59], s[44:45], 0x4
	s_load_b64 s[62:63], s[44:45], 0x14
	s_load_b128 s[52:55], s[44:45], 0xc4
	s_load_b64 s[60:61], s[44:45], 0xd4
	s_load_b64 s[46:47], s[44:45], 0x198
	s_load_b128 s[48:51], s[44:45], 0x188
	s_cmp_lg_u32 s43, 0
	s_mov_b32 s72, exec_lo
	s_cselect_b32 s71, -1, 0
	s_min_u32 s69, s64, 15
	s_cmp_gt_u32 s43, 1
	s_cselect_b32 s68, -1, 0
	s_waitcnt lgkmcnt(0)
	s_bitcmp1_b32 s0, 0
	s_cselect_b32 s0, -1, 0
	s_delay_alu instid0(SALU_CYCLE_1)
	s_xor_b32 s67, s0, -1
	v_cmpx_gt_i32_e64 s70, v47
	s_cbranch_execnz .LBB10_5
; %bb.2:
	s_or_b32 exec_lo, exec_lo, s72
	s_delay_alu instid0(SALU_CYCLE_1)
	s_mov_b32 s72, exec_lo
	v_cmpx_gt_i32_e64 s70, v47
	s_cbranch_execnz .LBB10_20
.LBB10_3:
	s_or_b32 exec_lo, exec_lo, s72
	s_delay_alu instid0(SALU_CYCLE_1)
	s_mov_b32 s72, exec_lo
	v_cmpx_gt_i32_e64 s70, v47
	s_cbranch_execnz .LBB10_35
.LBB10_4:
	s_or_b32 exec_lo, exec_lo, s72
	v_cmp_gt_i32_e32 vcc_lo, s70, v47
	s_and_saveexec_b32 s70, vcc_lo
	s_cbranch_execnz .LBB10_50
	s_branch .LBB10_65
.LBB10_5:
	s_and_not1_b32 vcc_lo, exec_lo, s65
	s_cbranch_vccnz .LBB10_11
; %bb.6:
	v_dual_mov_b32 v56, 0 :: v_dual_mov_b32 v1, 0
	v_mov_b32_e32 v0, 0
	s_and_not1_b32 vcc_lo, exec_lo, s71
	s_mov_b32 s2, 0
	s_cbranch_vccnz .LBB10_12
; %bb.7:
	s_add_i32 s0, s69, 1
	v_dual_mov_b32 v0, 0 :: v_dual_mov_b32 v1, 0
	v_mov_b32_e32 v56, 0
	v_mov_b32_e32 v2, v47
	s_and_b32 s3, s0, 30
	s_add_u32 s0, s44, 0xffffffec
	s_addc_u32 s1, s45, -1
	s_set_inst_prefetch_distance 0x1
	.p2align	6
.LBB10_8:                               ; =>This Inner Loop Header: Depth=1
	s_clause 0x2
	s_load_b128 s[4:7], s[0:1], 0x18
	s_load_b64 s[12:13], s[0:1], 0x28
	s_load_b128 s[8:11], s[0:1], 0xd8
	s_waitcnt lgkmcnt(0)
	v_mul_hi_u32 v3, s5, v2
	s_delay_alu instid0(VALU_DEP_1) | instskip(NEXT) | instid1(VALU_DEP_1)
	v_add_nc_u32_e32 v3, v2, v3
	v_lshrrev_b32_e32 v3, s6, v3
	s_delay_alu instid0(VALU_DEP_1)
	v_mul_hi_u32 v4, s12, v3
	v_mul_lo_u32 v5, v3, s4
	s_load_b64 s[4:5], s[0:1], 0xe8
	s_add_u32 s0, s0, 24
	s_addc_u32 s1, s1, 0
	s_add_i32 s3, s3, -2
	s_delay_alu instid0(SALU_CYCLE_1) | instskip(NEXT) | instid1(VALU_DEP_2)
	s_cmp_lg_u32 s3, 0
	v_add_nc_u32_e32 v4, v3, v4
	s_delay_alu instid0(VALU_DEP_2) | instskip(NEXT) | instid1(VALU_DEP_2)
	v_sub_nc_u32_e32 v5, v2, v5
	v_lshrrev_b32_e32 v2, s13, v4
	s_delay_alu instid0(VALU_DEP_2) | instskip(NEXT) | instid1(VALU_DEP_2)
	v_mul_lo_u32 v6, v5, s8
	v_mul_lo_u32 v4, v2, s7
	s_delay_alu instid0(VALU_DEP_1) | instskip(SKIP_2) | instid1(VALU_DEP_3)
	v_sub_nc_u32_e32 v3, v3, v4
	v_mul_lo_u32 v4, v5, s9
	v_mul_lo_u32 v5, v5, s10
	;; [unrolled: 1-line block ×3, first 2 shown]
	s_waitcnt lgkmcnt(0)
	v_mul_lo_u32 v8, v3, s4
	v_mul_lo_u32 v3, v3, s5
	s_delay_alu instid0(VALU_DEP_3) | instskip(NEXT) | instid1(VALU_DEP_3)
	v_add3_u32 v56, v6, v56, v7
	v_add3_u32 v1, v4, v1, v8
	s_delay_alu instid0(VALU_DEP_3)
	v_add3_u32 v0, v5, v0, v3
	s_cbranch_scc1 .LBB10_8
; %bb.9:
	s_set_inst_prefetch_distance 0x2
	s_bitcmp1_b32 s69, 0
	s_cselect_b32 s3, -1, 0
	s_delay_alu instid0(SALU_CYCLE_1)
	s_and_b32 vcc_lo, exec_lo, s3
	s_cbranch_vccnz .LBB10_12
; %bb.10:
	s_clause 0x3
	s_load_b64 s[4:5], s[0:1], 0x18
	s_load_b32 s3, s[0:1], 0x20
	s_load_b64 s[6:7], s[0:1], 0xd8
	s_load_b32 s0, s[0:1], 0xe0
	s_waitcnt lgkmcnt(0)
	v_mul_hi_u32 v3, s5, v2
	s_delay_alu instid0(VALU_DEP_1) | instskip(NEXT) | instid1(VALU_DEP_1)
	v_add_nc_u32_e32 v3, v2, v3
	v_lshrrev_b32_e32 v3, s3, v3
	s_delay_alu instid0(VALU_DEP_1) | instskip(NEXT) | instid1(VALU_DEP_1)
	v_mul_lo_u32 v3, v3, s4
	v_sub_nc_u32_e32 v6, v2, v3
	s_delay_alu instid0(VALU_DEP_1) | instskip(NEXT) | instid1(VALU_DEP_1)
	v_mad_u64_u32 v[2:3], null, v6, s6, v[56:57]
	v_mad_u64_u32 v[3:4], null, v6, s7, v[1:2]
	;; [unrolled: 1-line block ×3, first 2 shown]
	s_delay_alu instid0(VALU_DEP_2) | instskip(NEXT) | instid1(VALU_DEP_2)
	v_dual_mov_b32 v56, v2 :: v_dual_mov_b32 v1, v3
	v_mov_b32_e32 v0, v4
	s_branch .LBB10_12
.LBB10_11:
	s_mov_b32 s2, -1
                                        ; implicit-def: $vgpr56
                                        ; implicit-def: $vgpr1
                                        ; implicit-def: $vgpr0
.LBB10_12:
	s_delay_alu instid0(SALU_CYCLE_1)
	s_and_not1_b32 vcc_lo, exec_lo, s2
	s_cbranch_vccnz .LBB10_15
; %bb.13:
	v_mul_hi_u32 v0, s57, v47
	s_and_not1_b32 vcc_lo, exec_lo, s68
	s_delay_alu instid0(VALU_DEP_1) | instskip(NEXT) | instid1(VALU_DEP_1)
	v_add_nc_u32_e32 v0, v47, v0
	v_lshrrev_b32_e32 v2, s58, v0
	s_delay_alu instid0(VALU_DEP_1) | instskip(NEXT) | instid1(VALU_DEP_1)
	v_mul_lo_u32 v0, v2, s56
	v_sub_nc_u32_e32 v0, v47, v0
	s_delay_alu instid0(VALU_DEP_1)
	v_mul_lo_u32 v56, v0, s52
	v_mul_lo_u32 v1, v0, s53
	;; [unrolled: 1-line block ×3, first 2 shown]
	s_cbranch_vccnz .LBB10_15
; %bb.14:
	v_mul_hi_u32 v3, s62, v2
	s_delay_alu instid0(VALU_DEP_1) | instskip(NEXT) | instid1(VALU_DEP_1)
	v_add_nc_u32_e32 v3, v2, v3
	v_lshrrev_b32_e32 v3, s63, v3
	s_delay_alu instid0(VALU_DEP_1) | instskip(NEXT) | instid1(VALU_DEP_1)
	v_mul_lo_u32 v3, v3, s59
	v_sub_nc_u32_e32 v6, v2, v3
	s_delay_alu instid0(VALU_DEP_1) | instskip(NEXT) | instid1(VALU_DEP_1)
	v_mad_u64_u32 v[2:3], null, v6, s55, v[56:57]
	v_mad_u64_u32 v[3:4], null, v6, s60, v[1:2]
	;; [unrolled: 1-line block ×3, first 2 shown]
	s_delay_alu instid0(VALU_DEP_2) | instskip(NEXT) | instid1(VALU_DEP_2)
	v_dual_mov_b32 v56, v2 :: v_dual_mov_b32 v1, v3
	v_mov_b32_e32 v0, v4
.LBB10_15:
	global_load_b64 v[45:46], v1, s[50:51]
	global_load_b64 v[43:44], v0, s[46:47]
	s_and_b32 vcc_lo, exec_lo, s67
	s_cbranch_vccz .LBB10_17
; %bb.16:
	s_waitcnt vmcnt(1)
	v_dual_mov_b32 v0, v45 :: v_dual_mov_b32 v1, v46
	s_waitcnt vmcnt(0)
	v_dual_mov_b32 v2, v43 :: v_dual_mov_b32 v3, v44
	s_getpc_b64 s[0:1]
	s_add_u32 s0, s0, _ZN12_GLOBAL__N_111calc_igammaIdEET_S1_S1_@rel32@lo+4
	s_addc_u32 s1, s1, _ZN12_GLOBAL__N_111calc_igammaIdEET_S1_S1_@rel32@hi+12
	s_delay_alu instid0(SALU_CYCLE_1)
	s_swappc_b64 s[30:31], s[0:1]
	s_cbranch_execz .LBB10_18
	s_branch .LBB10_19
.LBB10_17:
                                        ; implicit-def: $vgpr0_vgpr1
.LBB10_18:
	s_waitcnt vmcnt(1)
	v_dual_mov_b32 v0, v45 :: v_dual_mov_b32 v1, v46
	s_waitcnt vmcnt(0)
	v_dual_mov_b32 v2, v43 :: v_dual_mov_b32 v3, v44
	s_getpc_b64 s[0:1]
	s_add_u32 s0, s0, _ZN12_GLOBAL__N_112calc_igammacIdEET_S1_S1_@rel32@lo+4
	s_addc_u32 s1, s1, _ZN12_GLOBAL__N_112calc_igammacIdEET_S1_S1_@rel32@hi+12
	s_delay_alu instid0(SALU_CYCLE_1)
	s_swappc_b64 s[30:31], s[0:1]
.LBB10_19:
	v_add_nc_u32_e32 v47, 0x80, v47
	global_store_b64 v56, v[0:1], s[48:49]
	s_or_b32 exec_lo, exec_lo, s72
	s_delay_alu instid0(SALU_CYCLE_1)
	s_mov_b32 s72, exec_lo
	v_cmpx_gt_i32_e64 s70, v47
	s_cbranch_execz .LBB10_3
.LBB10_20:
	s_and_not1_b32 vcc_lo, exec_lo, s65
	s_cbranch_vccnz .LBB10_26
; %bb.21:
	v_dual_mov_b32 v56, 0 :: v_dual_mov_b32 v1, 0
	v_mov_b32_e32 v0, 0
	s_and_not1_b32 vcc_lo, exec_lo, s71
	s_mov_b32 s2, 0
	s_cbranch_vccnz .LBB10_27
; %bb.22:
	s_add_i32 s0, s69, 1
	v_dual_mov_b32 v0, 0 :: v_dual_mov_b32 v1, 0
	v_mov_b32_e32 v56, 0
	v_mov_b32_e32 v2, v47
	s_and_b32 s3, s0, 30
	s_add_u32 s0, s44, 0xffffffec
	s_addc_u32 s1, s45, -1
	s_set_inst_prefetch_distance 0x1
	.p2align	6
.LBB10_23:                              ; =>This Inner Loop Header: Depth=1
	s_clause 0x2
	s_load_b128 s[4:7], s[0:1], 0x18
	s_load_b64 s[12:13], s[0:1], 0x28
	s_load_b128 s[8:11], s[0:1], 0xd8
	s_waitcnt lgkmcnt(0)
	v_mul_hi_u32 v3, s5, v2
	s_delay_alu instid0(VALU_DEP_1) | instskip(NEXT) | instid1(VALU_DEP_1)
	v_add_nc_u32_e32 v3, v2, v3
	v_lshrrev_b32_e32 v3, s6, v3
	s_delay_alu instid0(VALU_DEP_1)
	v_mul_hi_u32 v4, s12, v3
	v_mul_lo_u32 v5, v3, s4
	s_load_b64 s[4:5], s[0:1], 0xe8
	s_add_u32 s0, s0, 24
	s_addc_u32 s1, s1, 0
	s_add_i32 s3, s3, -2
	s_delay_alu instid0(SALU_CYCLE_1) | instskip(NEXT) | instid1(VALU_DEP_2)
	s_cmp_eq_u32 s3, 0
	v_add_nc_u32_e32 v4, v3, v4
	s_delay_alu instid0(VALU_DEP_2) | instskip(NEXT) | instid1(VALU_DEP_2)
	v_sub_nc_u32_e32 v5, v2, v5
	v_lshrrev_b32_e32 v2, s13, v4
	s_delay_alu instid0(VALU_DEP_2) | instskip(NEXT) | instid1(VALU_DEP_2)
	v_mul_lo_u32 v6, v5, s8
	v_mul_lo_u32 v4, v2, s7
	s_delay_alu instid0(VALU_DEP_1) | instskip(SKIP_2) | instid1(VALU_DEP_3)
	v_sub_nc_u32_e32 v3, v3, v4
	v_mul_lo_u32 v4, v5, s9
	v_mul_lo_u32 v5, v5, s10
	;; [unrolled: 1-line block ×3, first 2 shown]
	s_waitcnt lgkmcnt(0)
	v_mul_lo_u32 v8, v3, s4
	v_mul_lo_u32 v3, v3, s5
	s_delay_alu instid0(VALU_DEP_3) | instskip(NEXT) | instid1(VALU_DEP_3)
	v_add3_u32 v56, v6, v56, v7
	v_add3_u32 v1, v4, v1, v8
	s_delay_alu instid0(VALU_DEP_3)
	v_add3_u32 v0, v5, v0, v3
	s_cbranch_scc0 .LBB10_23
; %bb.24:
	s_set_inst_prefetch_distance 0x2
	s_bitcmp1_b32 s69, 0
	s_cselect_b32 s3, -1, 0
	s_delay_alu instid0(SALU_CYCLE_1)
	s_and_b32 vcc_lo, exec_lo, s3
	s_cbranch_vccnz .LBB10_27
; %bb.25:
	s_clause 0x3
	s_load_b64 s[4:5], s[0:1], 0x18
	s_load_b32 s3, s[0:1], 0x20
	s_load_b64 s[6:7], s[0:1], 0xd8
	s_load_b32 s0, s[0:1], 0xe0
	s_waitcnt lgkmcnt(0)
	v_mul_hi_u32 v3, s5, v2
	s_delay_alu instid0(VALU_DEP_1) | instskip(NEXT) | instid1(VALU_DEP_1)
	v_add_nc_u32_e32 v3, v2, v3
	v_lshrrev_b32_e32 v3, s3, v3
	s_delay_alu instid0(VALU_DEP_1) | instskip(NEXT) | instid1(VALU_DEP_1)
	v_mul_lo_u32 v3, v3, s4
	v_sub_nc_u32_e32 v6, v2, v3
	s_delay_alu instid0(VALU_DEP_1) | instskip(NEXT) | instid1(VALU_DEP_1)
	v_mad_u64_u32 v[2:3], null, v6, s6, v[56:57]
	v_mad_u64_u32 v[3:4], null, v6, s7, v[1:2]
	;; [unrolled: 1-line block ×3, first 2 shown]
	s_delay_alu instid0(VALU_DEP_2) | instskip(NEXT) | instid1(VALU_DEP_2)
	v_dual_mov_b32 v56, v2 :: v_dual_mov_b32 v1, v3
	v_mov_b32_e32 v0, v4
	s_branch .LBB10_27
.LBB10_26:
	s_mov_b32 s2, -1
                                        ; implicit-def: $vgpr56
                                        ; implicit-def: $vgpr1
                                        ; implicit-def: $vgpr0
.LBB10_27:
	s_delay_alu instid0(SALU_CYCLE_1)
	s_and_not1_b32 vcc_lo, exec_lo, s2
	s_cbranch_vccnz .LBB10_30
; %bb.28:
	v_mul_hi_u32 v0, s57, v47
	s_and_not1_b32 vcc_lo, exec_lo, s68
	s_delay_alu instid0(VALU_DEP_1) | instskip(NEXT) | instid1(VALU_DEP_1)
	v_add_nc_u32_e32 v0, v47, v0
	v_lshrrev_b32_e32 v2, s58, v0
	s_delay_alu instid0(VALU_DEP_1) | instskip(NEXT) | instid1(VALU_DEP_1)
	v_mul_lo_u32 v0, v2, s56
	v_sub_nc_u32_e32 v0, v47, v0
	s_delay_alu instid0(VALU_DEP_1)
	v_mul_lo_u32 v56, v0, s52
	v_mul_lo_u32 v1, v0, s53
	;; [unrolled: 1-line block ×3, first 2 shown]
	s_cbranch_vccnz .LBB10_30
; %bb.29:
	v_mul_hi_u32 v3, s62, v2
	s_delay_alu instid0(VALU_DEP_1) | instskip(NEXT) | instid1(VALU_DEP_1)
	v_add_nc_u32_e32 v3, v2, v3
	v_lshrrev_b32_e32 v3, s63, v3
	s_delay_alu instid0(VALU_DEP_1) | instskip(NEXT) | instid1(VALU_DEP_1)
	v_mul_lo_u32 v3, v3, s59
	v_sub_nc_u32_e32 v6, v2, v3
	s_delay_alu instid0(VALU_DEP_1) | instskip(NEXT) | instid1(VALU_DEP_1)
	v_mad_u64_u32 v[2:3], null, v6, s55, v[56:57]
	v_mad_u64_u32 v[3:4], null, v6, s60, v[1:2]
	;; [unrolled: 1-line block ×3, first 2 shown]
	s_delay_alu instid0(VALU_DEP_2) | instskip(NEXT) | instid1(VALU_DEP_2)
	v_dual_mov_b32 v56, v2 :: v_dual_mov_b32 v1, v3
	v_mov_b32_e32 v0, v4
.LBB10_30:
	global_load_b64 v[45:46], v1, s[50:51]
	global_load_b64 v[43:44], v0, s[46:47]
	s_and_not1_b32 vcc_lo, exec_lo, s67
	s_cbranch_vccnz .LBB10_32
; %bb.31:
	s_waitcnt vmcnt(1)
	v_dual_mov_b32 v0, v45 :: v_dual_mov_b32 v1, v46
	s_waitcnt vmcnt(0)
	v_dual_mov_b32 v2, v43 :: v_dual_mov_b32 v3, v44
	s_getpc_b64 s[0:1]
	s_add_u32 s0, s0, _ZN12_GLOBAL__N_111calc_igammaIdEET_S1_S1_@rel32@lo+4
	s_addc_u32 s1, s1, _ZN12_GLOBAL__N_111calc_igammaIdEET_S1_S1_@rel32@hi+12
	s_delay_alu instid0(SALU_CYCLE_1)
	s_swappc_b64 s[30:31], s[0:1]
	s_cbranch_execz .LBB10_33
	s_branch .LBB10_34
.LBB10_32:
                                        ; implicit-def: $vgpr0_vgpr1
.LBB10_33:
	s_waitcnt vmcnt(1)
	v_dual_mov_b32 v0, v45 :: v_dual_mov_b32 v1, v46
	s_waitcnt vmcnt(0)
	v_dual_mov_b32 v2, v43 :: v_dual_mov_b32 v3, v44
	s_getpc_b64 s[0:1]
	s_add_u32 s0, s0, _ZN12_GLOBAL__N_112calc_igammacIdEET_S1_S1_@rel32@lo+4
	s_addc_u32 s1, s1, _ZN12_GLOBAL__N_112calc_igammacIdEET_S1_S1_@rel32@hi+12
	s_delay_alu instid0(SALU_CYCLE_1)
	s_swappc_b64 s[30:31], s[0:1]
.LBB10_34:
	v_add_nc_u32_e32 v47, 0x80, v47
	global_store_b64 v56, v[0:1], s[48:49]
	s_or_b32 exec_lo, exec_lo, s72
	s_delay_alu instid0(SALU_CYCLE_1)
	s_mov_b32 s72, exec_lo
	v_cmpx_gt_i32_e64 s70, v47
	s_cbranch_execz .LBB10_4
.LBB10_35:
	s_and_not1_b32 vcc_lo, exec_lo, s65
	s_cbranch_vccnz .LBB10_41
; %bb.36:
	v_dual_mov_b32 v56, 0 :: v_dual_mov_b32 v1, 0
	v_mov_b32_e32 v0, 0
	s_and_not1_b32 vcc_lo, exec_lo, s71
	s_mov_b32 s2, 0
	s_cbranch_vccnz .LBB10_42
; %bb.37:
	s_add_i32 s0, s69, 1
	v_dual_mov_b32 v0, 0 :: v_dual_mov_b32 v1, 0
	v_mov_b32_e32 v56, 0
	v_mov_b32_e32 v2, v47
	s_and_b32 s3, s0, 30
	s_add_u32 s0, s44, 0xffffffec
	s_addc_u32 s1, s45, -1
	s_set_inst_prefetch_distance 0x1
	.p2align	6
.LBB10_38:                              ; =>This Inner Loop Header: Depth=1
	s_clause 0x2
	s_load_b128 s[4:7], s[0:1], 0x18
	s_load_b64 s[12:13], s[0:1], 0x28
	s_load_b128 s[8:11], s[0:1], 0xd8
	s_waitcnt lgkmcnt(0)
	v_mul_hi_u32 v3, s5, v2
	s_delay_alu instid0(VALU_DEP_1) | instskip(NEXT) | instid1(VALU_DEP_1)
	v_add_nc_u32_e32 v3, v2, v3
	v_lshrrev_b32_e32 v3, s6, v3
	s_delay_alu instid0(VALU_DEP_1)
	v_mul_hi_u32 v4, s12, v3
	v_mul_lo_u32 v5, v3, s4
	s_load_b64 s[4:5], s[0:1], 0xe8
	s_add_u32 s0, s0, 24
	s_addc_u32 s1, s1, 0
	s_add_i32 s3, s3, -2
	s_delay_alu instid0(SALU_CYCLE_1) | instskip(NEXT) | instid1(VALU_DEP_2)
	s_cmp_eq_u32 s3, 0
	v_add_nc_u32_e32 v4, v3, v4
	s_delay_alu instid0(VALU_DEP_2) | instskip(NEXT) | instid1(VALU_DEP_2)
	v_sub_nc_u32_e32 v5, v2, v5
	v_lshrrev_b32_e32 v2, s13, v4
	s_delay_alu instid0(VALU_DEP_2) | instskip(NEXT) | instid1(VALU_DEP_2)
	v_mul_lo_u32 v6, v5, s8
	v_mul_lo_u32 v4, v2, s7
	s_delay_alu instid0(VALU_DEP_1) | instskip(SKIP_2) | instid1(VALU_DEP_3)
	v_sub_nc_u32_e32 v3, v3, v4
	v_mul_lo_u32 v4, v5, s9
	v_mul_lo_u32 v5, v5, s10
	;; [unrolled: 1-line block ×3, first 2 shown]
	s_waitcnt lgkmcnt(0)
	v_mul_lo_u32 v8, v3, s4
	v_mul_lo_u32 v3, v3, s5
	s_delay_alu instid0(VALU_DEP_3) | instskip(NEXT) | instid1(VALU_DEP_3)
	v_add3_u32 v56, v6, v56, v7
	v_add3_u32 v1, v4, v1, v8
	s_delay_alu instid0(VALU_DEP_3)
	v_add3_u32 v0, v5, v0, v3
	s_cbranch_scc0 .LBB10_38
; %bb.39:
	s_set_inst_prefetch_distance 0x2
	s_bitcmp1_b32 s69, 0
	s_cselect_b32 s3, -1, 0
	s_delay_alu instid0(SALU_CYCLE_1)
	s_and_b32 vcc_lo, exec_lo, s3
	s_cbranch_vccnz .LBB10_42
; %bb.40:
	s_clause 0x3
	s_load_b64 s[4:5], s[0:1], 0x18
	s_load_b32 s3, s[0:1], 0x20
	s_load_b64 s[6:7], s[0:1], 0xd8
	s_load_b32 s0, s[0:1], 0xe0
	s_waitcnt lgkmcnt(0)
	v_mul_hi_u32 v3, s5, v2
	s_delay_alu instid0(VALU_DEP_1) | instskip(NEXT) | instid1(VALU_DEP_1)
	v_add_nc_u32_e32 v3, v2, v3
	v_lshrrev_b32_e32 v3, s3, v3
	s_delay_alu instid0(VALU_DEP_1) | instskip(NEXT) | instid1(VALU_DEP_1)
	v_mul_lo_u32 v3, v3, s4
	v_sub_nc_u32_e32 v6, v2, v3
	s_delay_alu instid0(VALU_DEP_1) | instskip(NEXT) | instid1(VALU_DEP_1)
	v_mad_u64_u32 v[2:3], null, v6, s6, v[56:57]
	v_mad_u64_u32 v[3:4], null, v6, s7, v[1:2]
	;; [unrolled: 1-line block ×3, first 2 shown]
	s_delay_alu instid0(VALU_DEP_2) | instskip(NEXT) | instid1(VALU_DEP_2)
	v_dual_mov_b32 v56, v2 :: v_dual_mov_b32 v1, v3
	v_mov_b32_e32 v0, v4
	s_branch .LBB10_42
.LBB10_41:
	s_mov_b32 s2, -1
                                        ; implicit-def: $vgpr56
                                        ; implicit-def: $vgpr1
                                        ; implicit-def: $vgpr0
.LBB10_42:
	s_delay_alu instid0(SALU_CYCLE_1)
	s_and_not1_b32 vcc_lo, exec_lo, s2
	s_cbranch_vccnz .LBB10_45
; %bb.43:
	v_mul_hi_u32 v0, s57, v47
	s_and_not1_b32 vcc_lo, exec_lo, s68
	s_delay_alu instid0(VALU_DEP_1) | instskip(NEXT) | instid1(VALU_DEP_1)
	v_add_nc_u32_e32 v0, v47, v0
	v_lshrrev_b32_e32 v2, s58, v0
	s_delay_alu instid0(VALU_DEP_1) | instskip(NEXT) | instid1(VALU_DEP_1)
	v_mul_lo_u32 v0, v2, s56
	v_sub_nc_u32_e32 v0, v47, v0
	s_delay_alu instid0(VALU_DEP_1)
	v_mul_lo_u32 v56, v0, s52
	v_mul_lo_u32 v1, v0, s53
	;; [unrolled: 1-line block ×3, first 2 shown]
	s_cbranch_vccnz .LBB10_45
; %bb.44:
	v_mul_hi_u32 v3, s62, v2
	s_delay_alu instid0(VALU_DEP_1) | instskip(NEXT) | instid1(VALU_DEP_1)
	v_add_nc_u32_e32 v3, v2, v3
	v_lshrrev_b32_e32 v3, s63, v3
	s_delay_alu instid0(VALU_DEP_1) | instskip(NEXT) | instid1(VALU_DEP_1)
	v_mul_lo_u32 v3, v3, s59
	v_sub_nc_u32_e32 v6, v2, v3
	s_delay_alu instid0(VALU_DEP_1) | instskip(NEXT) | instid1(VALU_DEP_1)
	v_mad_u64_u32 v[2:3], null, v6, s55, v[56:57]
	v_mad_u64_u32 v[3:4], null, v6, s60, v[1:2]
	;; [unrolled: 1-line block ×3, first 2 shown]
	s_delay_alu instid0(VALU_DEP_2) | instskip(NEXT) | instid1(VALU_DEP_2)
	v_dual_mov_b32 v56, v2 :: v_dual_mov_b32 v1, v3
	v_mov_b32_e32 v0, v4
.LBB10_45:
	global_load_b64 v[45:46], v1, s[50:51]
	global_load_b64 v[43:44], v0, s[46:47]
	s_and_not1_b32 vcc_lo, exec_lo, s67
	s_cbranch_vccnz .LBB10_47
; %bb.46:
	s_waitcnt vmcnt(1)
	v_dual_mov_b32 v0, v45 :: v_dual_mov_b32 v1, v46
	s_waitcnt vmcnt(0)
	v_dual_mov_b32 v2, v43 :: v_dual_mov_b32 v3, v44
	s_getpc_b64 s[0:1]
	s_add_u32 s0, s0, _ZN12_GLOBAL__N_111calc_igammaIdEET_S1_S1_@rel32@lo+4
	s_addc_u32 s1, s1, _ZN12_GLOBAL__N_111calc_igammaIdEET_S1_S1_@rel32@hi+12
	s_delay_alu instid0(SALU_CYCLE_1)
	s_swappc_b64 s[30:31], s[0:1]
	s_cbranch_execz .LBB10_48
	s_branch .LBB10_49
.LBB10_47:
                                        ; implicit-def: $vgpr0_vgpr1
.LBB10_48:
	s_waitcnt vmcnt(1)
	v_dual_mov_b32 v0, v45 :: v_dual_mov_b32 v1, v46
	s_waitcnt vmcnt(0)
	v_dual_mov_b32 v2, v43 :: v_dual_mov_b32 v3, v44
	s_getpc_b64 s[0:1]
	s_add_u32 s0, s0, _ZN12_GLOBAL__N_112calc_igammacIdEET_S1_S1_@rel32@lo+4
	s_addc_u32 s1, s1, _ZN12_GLOBAL__N_112calc_igammacIdEET_S1_S1_@rel32@hi+12
	s_delay_alu instid0(SALU_CYCLE_1)
	s_swappc_b64 s[30:31], s[0:1]
.LBB10_49:
	v_add_nc_u32_e32 v47, 0x80, v47
	global_store_b64 v56, v[0:1], s[48:49]
	s_or_b32 exec_lo, exec_lo, s72
	v_cmp_gt_i32_e32 vcc_lo, s70, v47
	s_and_saveexec_b32 s70, vcc_lo
	s_cbranch_execz .LBB10_65
.LBB10_50:
	s_and_not1_b32 vcc_lo, exec_lo, s65
	s_cbranch_vccnz .LBB10_56
; %bb.51:
	v_dual_mov_b32 v56, 0 :: v_dual_mov_b32 v1, 0
	v_mov_b32_e32 v0, 0
	s_and_not1_b32 vcc_lo, exec_lo, s71
	s_mov_b32 s2, 0
	s_cbranch_vccnz .LBB10_57
; %bb.52:
	s_add_i32 s0, s69, 1
	v_dual_mov_b32 v0, 0 :: v_dual_mov_b32 v1, 0
	v_mov_b32_e32 v56, 0
	v_mov_b32_e32 v2, v47
	s_and_b32 s3, s0, 30
	s_add_u32 s0, s44, 0xffffffec
	s_addc_u32 s1, s45, -1
	s_set_inst_prefetch_distance 0x1
	.p2align	6
.LBB10_53:                              ; =>This Inner Loop Header: Depth=1
	s_clause 0x2
	s_load_b128 s[4:7], s[0:1], 0x18
	s_load_b64 s[12:13], s[0:1], 0x28
	s_load_b128 s[8:11], s[0:1], 0xd8
	s_waitcnt lgkmcnt(0)
	v_mul_hi_u32 v3, s5, v2
	s_delay_alu instid0(VALU_DEP_1) | instskip(NEXT) | instid1(VALU_DEP_1)
	v_add_nc_u32_e32 v3, v2, v3
	v_lshrrev_b32_e32 v3, s6, v3
	s_delay_alu instid0(VALU_DEP_1)
	v_mul_hi_u32 v4, s12, v3
	v_mul_lo_u32 v5, v3, s4
	s_load_b64 s[4:5], s[0:1], 0xe8
	s_add_u32 s0, s0, 24
	s_addc_u32 s1, s1, 0
	s_add_i32 s3, s3, -2
	s_delay_alu instid0(SALU_CYCLE_1) | instskip(NEXT) | instid1(VALU_DEP_2)
	s_cmp_eq_u32 s3, 0
	v_add_nc_u32_e32 v4, v3, v4
	s_delay_alu instid0(VALU_DEP_2) | instskip(NEXT) | instid1(VALU_DEP_2)
	v_sub_nc_u32_e32 v5, v2, v5
	v_lshrrev_b32_e32 v2, s13, v4
	s_delay_alu instid0(VALU_DEP_2) | instskip(NEXT) | instid1(VALU_DEP_2)
	v_mul_lo_u32 v6, v5, s8
	v_mul_lo_u32 v4, v2, s7
	s_delay_alu instid0(VALU_DEP_1) | instskip(SKIP_2) | instid1(VALU_DEP_3)
	v_sub_nc_u32_e32 v3, v3, v4
	v_mul_lo_u32 v4, v5, s9
	v_mul_lo_u32 v5, v5, s10
	;; [unrolled: 1-line block ×3, first 2 shown]
	s_waitcnt lgkmcnt(0)
	v_mul_lo_u32 v8, v3, s4
	v_mul_lo_u32 v3, v3, s5
	s_delay_alu instid0(VALU_DEP_3) | instskip(NEXT) | instid1(VALU_DEP_3)
	v_add3_u32 v56, v6, v56, v7
	v_add3_u32 v1, v4, v1, v8
	s_delay_alu instid0(VALU_DEP_3)
	v_add3_u32 v0, v5, v0, v3
	s_cbranch_scc0 .LBB10_53
; %bb.54:
	s_set_inst_prefetch_distance 0x2
	s_bitcmp1_b32 s69, 0
	s_cselect_b32 s3, -1, 0
	s_delay_alu instid0(SALU_CYCLE_1)
	s_and_b32 vcc_lo, exec_lo, s3
	s_cbranch_vccnz .LBB10_57
; %bb.55:
	s_clause 0x3
	s_load_b64 s[4:5], s[0:1], 0x18
	s_load_b32 s3, s[0:1], 0x20
	s_load_b64 s[6:7], s[0:1], 0xd8
	s_load_b32 s0, s[0:1], 0xe0
	s_waitcnt lgkmcnt(0)
	v_mul_hi_u32 v3, s5, v2
	s_delay_alu instid0(VALU_DEP_1) | instskip(NEXT) | instid1(VALU_DEP_1)
	v_add_nc_u32_e32 v3, v2, v3
	v_lshrrev_b32_e32 v3, s3, v3
	s_delay_alu instid0(VALU_DEP_1) | instskip(NEXT) | instid1(VALU_DEP_1)
	v_mul_lo_u32 v3, v3, s4
	v_sub_nc_u32_e32 v6, v2, v3
	s_delay_alu instid0(VALU_DEP_1) | instskip(NEXT) | instid1(VALU_DEP_1)
	v_mad_u64_u32 v[2:3], null, v6, s6, v[56:57]
	v_mad_u64_u32 v[3:4], null, v6, s7, v[1:2]
	;; [unrolled: 1-line block ×3, first 2 shown]
	s_delay_alu instid0(VALU_DEP_2) | instskip(NEXT) | instid1(VALU_DEP_2)
	v_dual_mov_b32 v56, v2 :: v_dual_mov_b32 v1, v3
	v_mov_b32_e32 v0, v4
	s_branch .LBB10_57
.LBB10_56:
	s_mov_b32 s2, -1
                                        ; implicit-def: $vgpr56
                                        ; implicit-def: $vgpr1
                                        ; implicit-def: $vgpr0
.LBB10_57:
	s_delay_alu instid0(SALU_CYCLE_1)
	s_and_not1_b32 vcc_lo, exec_lo, s2
	s_cbranch_vccnz .LBB10_60
; %bb.58:
	v_mul_hi_u32 v0, s57, v47
	s_and_not1_b32 vcc_lo, exec_lo, s68
	s_delay_alu instid0(VALU_DEP_1) | instskip(NEXT) | instid1(VALU_DEP_1)
	v_add_nc_u32_e32 v0, v47, v0
	v_lshrrev_b32_e32 v2, s58, v0
	s_delay_alu instid0(VALU_DEP_1) | instskip(NEXT) | instid1(VALU_DEP_1)
	v_mul_lo_u32 v0, v2, s56
	v_sub_nc_u32_e32 v0, v47, v0
	s_delay_alu instid0(VALU_DEP_1)
	v_mul_lo_u32 v56, v0, s52
	v_mul_lo_u32 v1, v0, s53
	;; [unrolled: 1-line block ×3, first 2 shown]
	s_cbranch_vccnz .LBB10_60
; %bb.59:
	v_mul_hi_u32 v3, s62, v2
	s_delay_alu instid0(VALU_DEP_1) | instskip(NEXT) | instid1(VALU_DEP_1)
	v_add_nc_u32_e32 v3, v2, v3
	v_lshrrev_b32_e32 v3, s63, v3
	s_delay_alu instid0(VALU_DEP_1) | instskip(NEXT) | instid1(VALU_DEP_1)
	v_mul_lo_u32 v3, v3, s59
	v_sub_nc_u32_e32 v6, v2, v3
	s_delay_alu instid0(VALU_DEP_1) | instskip(NEXT) | instid1(VALU_DEP_1)
	v_mad_u64_u32 v[2:3], null, v6, s55, v[56:57]
	v_mad_u64_u32 v[3:4], null, v6, s60, v[1:2]
	;; [unrolled: 1-line block ×3, first 2 shown]
	s_delay_alu instid0(VALU_DEP_2) | instskip(NEXT) | instid1(VALU_DEP_2)
	v_dual_mov_b32 v56, v2 :: v_dual_mov_b32 v1, v3
	v_mov_b32_e32 v0, v4
.LBB10_60:
	global_load_b64 v[45:46], v1, s[50:51]
	global_load_b64 v[43:44], v0, s[46:47]
	s_and_not1_b32 vcc_lo, exec_lo, s67
	s_cbranch_vccnz .LBB10_62
; %bb.61:
	s_waitcnt vmcnt(1)
	v_dual_mov_b32 v0, v45 :: v_dual_mov_b32 v1, v46
	s_waitcnt vmcnt(0)
	v_dual_mov_b32 v2, v43 :: v_dual_mov_b32 v3, v44
	s_getpc_b64 s[0:1]
	s_add_u32 s0, s0, _ZN12_GLOBAL__N_111calc_igammaIdEET_S1_S1_@rel32@lo+4
	s_addc_u32 s1, s1, _ZN12_GLOBAL__N_111calc_igammaIdEET_S1_S1_@rel32@hi+12
	s_delay_alu instid0(SALU_CYCLE_1)
	s_swappc_b64 s[30:31], s[0:1]
	s_cbranch_execz .LBB10_63
	s_branch .LBB10_64
.LBB10_62:
                                        ; implicit-def: $vgpr0_vgpr1
.LBB10_63:
	s_waitcnt vmcnt(1)
	v_dual_mov_b32 v0, v45 :: v_dual_mov_b32 v1, v46
	s_waitcnt vmcnt(0)
	v_dual_mov_b32 v2, v43 :: v_dual_mov_b32 v3, v44
	s_getpc_b64 s[0:1]
	s_add_u32 s0, s0, _ZN12_GLOBAL__N_112calc_igammacIdEET_S1_S1_@rel32@lo+4
	s_addc_u32 s1, s1, _ZN12_GLOBAL__N_112calc_igammacIdEET_S1_S1_@rel32@hi+12
	s_delay_alu instid0(SALU_CYCLE_1)
	s_swappc_b64 s[30:31], s[0:1]
.LBB10_64:
	global_store_b64 v56, v[0:1], s[48:49]
.LBB10_65:
	s_or_b32 exec_lo, exec_lo, s70
                                        ; implicit-def: $vgpr2
                                        ; implicit-def: $vgpr47
.LBB10_66:
	s_and_not1_saveexec_b32 s0, s66
	s_cbranch_execz .LBB10_73
; %bb.67:
	v_cndmask_b32_e64 v3, 0, 1, s65
	s_and_not1_b32 vcc_lo, exec_lo, s65
	s_cbranch_vccnz .LBB10_74
; %bb.68:
	v_dual_mov_b32 v62, 0 :: v_dual_mov_b32 v1, 0
	v_mov_b32_e32 v0, 0
	s_cmp_lg_u32 s43, 0
	s_mov_b32 s2, 0
	s_cbranch_scc0 .LBB10_75
; %bb.69:
	s_min_u32 s3, s64, 15
	v_dual_mov_b32 v0, 0 :: v_dual_mov_b32 v1, 0
	s_add_i32 s0, s3, 1
	v_mov_b32_e32 v62, 0
	v_mov_b32_e32 v4, v47
	s_and_b32 s4, s0, 30
	s_add_u32 s0, s44, 0xffffffec
	s_addc_u32 s1, s45, -1
	s_set_inst_prefetch_distance 0x1
	.p2align	6
.LBB10_70:                              ; =>This Inner Loop Header: Depth=1
	s_clause 0x2
	s_load_b128 s[8:11], s[0:1], 0x18
	s_load_b64 s[6:7], s[0:1], 0x28
	s_load_b128 s[12:15], s[0:1], 0xd8
	s_waitcnt lgkmcnt(0)
	v_mul_hi_u32 v5, s9, v4
	s_delay_alu instid0(VALU_DEP_1) | instskip(NEXT) | instid1(VALU_DEP_1)
	v_add_nc_u32_e32 v5, v4, v5
	v_lshrrev_b32_e32 v5, s10, v5
	s_delay_alu instid0(VALU_DEP_1)
	v_mul_hi_u32 v6, s6, v5
	v_mul_lo_u32 v7, v5, s8
	s_load_b64 s[8:9], s[0:1], 0xe8
	s_add_u32 s0, s0, 24
	s_addc_u32 s1, s1, 0
	s_add_i32 s4, s4, -2
	s_delay_alu instid0(SALU_CYCLE_1) | instskip(NEXT) | instid1(VALU_DEP_2)
	s_cmp_lg_u32 s4, 0
	v_add_nc_u32_e32 v6, v5, v6
	s_delay_alu instid0(VALU_DEP_2) | instskip(NEXT) | instid1(VALU_DEP_2)
	v_sub_nc_u32_e32 v7, v4, v7
	v_lshrrev_b32_e32 v4, s7, v6
	s_delay_alu instid0(VALU_DEP_2) | instskip(NEXT) | instid1(VALU_DEP_2)
	v_mul_lo_u32 v8, v7, s12
	v_mul_lo_u32 v6, v4, s11
	s_delay_alu instid0(VALU_DEP_1) | instskip(SKIP_2) | instid1(VALU_DEP_3)
	v_sub_nc_u32_e32 v5, v5, v6
	v_mul_lo_u32 v6, v7, s13
	v_mul_lo_u32 v7, v7, s14
	v_mul_lo_u32 v9, v5, s15
	s_waitcnt lgkmcnt(0)
	v_mul_lo_u32 v10, v5, s8
	v_mul_lo_u32 v5, v5, s9
	s_delay_alu instid0(VALU_DEP_3) | instskip(NEXT) | instid1(VALU_DEP_3)
	v_add3_u32 v62, v8, v62, v9
	v_add3_u32 v1, v6, v1, v10
	s_delay_alu instid0(VALU_DEP_3)
	v_add3_u32 v0, v7, v0, v5
	s_cbranch_scc1 .LBB10_70
; %bb.71:
	s_set_inst_prefetch_distance 0x2
	s_bitcmp1_b32 s3, 0
	s_cselect_b32 s3, -1, 0
	s_delay_alu instid0(SALU_CYCLE_1)
	s_and_b32 vcc_lo, exec_lo, s3
	s_cbranch_vccnz .LBB10_75
; %bb.72:
	s_clause 0x3
	s_load_b64 s[4:5], s[0:1], 0x18
	s_load_b32 s3, s[0:1], 0x20
	s_load_b64 s[6:7], s[0:1], 0xd8
	s_load_b32 s0, s[0:1], 0xe0
	s_waitcnt lgkmcnt(0)
	v_mul_hi_u32 v5, s5, v4
	s_delay_alu instid0(VALU_DEP_1) | instskip(NEXT) | instid1(VALU_DEP_1)
	v_add_nc_u32_e32 v5, v4, v5
	v_lshrrev_b32_e32 v5, s3, v5
	s_delay_alu instid0(VALU_DEP_1) | instskip(NEXT) | instid1(VALU_DEP_1)
	v_mul_lo_u32 v5, v5, s4
	v_sub_nc_u32_e32 v8, v4, v5
	s_delay_alu instid0(VALU_DEP_1) | instskip(SKIP_2) | instid1(VALU_DEP_2)
	v_mad_u64_u32 v[4:5], null, v8, s6, v[62:63]
	v_mad_u64_u32 v[5:6], null, v8, s7, v[1:2]
	;; [unrolled: 1-line block ×3, first 2 shown]
	v_dual_mov_b32 v62, v4 :: v_dual_mov_b32 v1, v5
	s_delay_alu instid0(VALU_DEP_2)
	v_mov_b32_e32 v0, v6
	s_branch .LBB10_75
.LBB10_73:
	s_endpgm
.LBB10_74:
	s_mov_b32 s2, -1
                                        ; implicit-def: $vgpr62
                                        ; implicit-def: $vgpr1
                                        ; implicit-def: $vgpr0
.LBB10_75:
	s_delay_alu instid0(SALU_CYCLE_1)
	s_and_not1_b32 vcc_lo, exec_lo, s2
	s_cbranch_vccnz .LBB10_78
; %bb.76:
	s_clause 0x1
	s_load_b128 s[0:3], s[44:45], 0x4
	s_load_b128 s[4:7], s[44:45], 0xc4
	s_cmp_lt_u32 s43, 2
	s_waitcnt lgkmcnt(0)
	v_mul_hi_u32 v0, s1, v47
	s_delay_alu instid0(VALU_DEP_1) | instskip(NEXT) | instid1(VALU_DEP_1)
	v_add_nc_u32_e32 v0, v47, v0
	v_lshrrev_b32_e32 v4, s2, v0
	s_delay_alu instid0(VALU_DEP_1) | instskip(NEXT) | instid1(VALU_DEP_1)
	v_mul_lo_u32 v0, v4, s0
	v_sub_nc_u32_e32 v0, v47, v0
	s_delay_alu instid0(VALU_DEP_1)
	v_mul_lo_u32 v62, v0, s4
	v_mul_lo_u32 v1, v0, s5
	;; [unrolled: 1-line block ×3, first 2 shown]
	s_cbranch_scc1 .LBB10_78
; %bb.77:
	s_clause 0x1
	s_load_b128 s[0:3], s[44:45], 0x10
	s_load_b128 s[4:7], s[44:45], 0xd0
	s_waitcnt lgkmcnt(0)
	v_mul_hi_u32 v5, s1, v4
	s_delay_alu instid0(VALU_DEP_1) | instskip(NEXT) | instid1(VALU_DEP_1)
	v_add_nc_u32_e32 v5, v4, v5
	v_lshrrev_b32_e32 v5, s2, v5
	s_delay_alu instid0(VALU_DEP_1) | instskip(NEXT) | instid1(VALU_DEP_1)
	v_mul_lo_u32 v5, v5, s0
	v_sub_nc_u32_e32 v8, v4, v5
	s_delay_alu instid0(VALU_DEP_1) | instskip(SKIP_2) | instid1(VALU_DEP_2)
	v_mad_u64_u32 v[4:5], null, v8, s4, v[62:63]
	v_mad_u64_u32 v[5:6], null, v8, s5, v[1:2]
	;; [unrolled: 1-line block ×3, first 2 shown]
	v_dual_mov_b32 v62, v4 :: v_dual_mov_b32 v1, v5
	s_delay_alu instid0(VALU_DEP_2)
	v_mov_b32_e32 v0, v6
.LBB10_78:
	v_cmp_ne_u32_e32 vcc_lo, 1, v3
	v_add_nc_u32_e32 v4, 0x80, v47
	s_cbranch_vccnz .LBB10_84
; %bb.79:
	v_mov_b32_e32 v72, 0
	v_mov_b32_e32 v58, 0
	;; [unrolled: 1-line block ×3, first 2 shown]
	s_cmp_lg_u32 s43, 0
	s_mov_b32 s2, 0
	s_cbranch_scc0 .LBB10_85
; %bb.80:
	s_min_u32 s3, s64, 15
	v_dual_mov_b32 v60, 0 :: v_dual_mov_b32 v5, v4
	s_add_i32 s0, s3, 1
	v_mov_b32_e32 v58, 0
	v_mov_b32_e32 v72, 0
	s_and_b32 s4, s0, 30
	s_add_u32 s0, s44, 0xffffffec
	s_addc_u32 s1, s45, -1
	s_set_inst_prefetch_distance 0x1
	.p2align	6
.LBB10_81:                              ; =>This Inner Loop Header: Depth=1
	s_clause 0x2
	s_load_b128 s[8:11], s[0:1], 0x18
	s_load_b64 s[6:7], s[0:1], 0x28
	s_load_b128 s[12:15], s[0:1], 0xd8
	s_waitcnt lgkmcnt(0)
	v_mul_hi_u32 v6, s9, v5
	s_delay_alu instid0(VALU_DEP_1) | instskip(NEXT) | instid1(VALU_DEP_1)
	v_add_nc_u32_e32 v6, v5, v6
	v_lshrrev_b32_e32 v6, s10, v6
	s_delay_alu instid0(VALU_DEP_1)
	v_mul_hi_u32 v7, s6, v6
	v_mul_lo_u32 v8, v6, s8
	s_load_b64 s[8:9], s[0:1], 0xe8
	s_add_u32 s0, s0, 24
	s_addc_u32 s1, s1, 0
	s_add_i32 s4, s4, -2
	s_delay_alu instid0(SALU_CYCLE_1) | instskip(NEXT) | instid1(VALU_DEP_2)
	s_cmp_lg_u32 s4, 0
	v_add_nc_u32_e32 v7, v6, v7
	s_delay_alu instid0(VALU_DEP_2) | instskip(NEXT) | instid1(VALU_DEP_2)
	v_sub_nc_u32_e32 v8, v5, v8
	v_lshrrev_b32_e32 v5, s7, v7
	s_delay_alu instid0(VALU_DEP_2) | instskip(NEXT) | instid1(VALU_DEP_2)
	v_mul_lo_u32 v9, v8, s12
	v_mul_lo_u32 v7, v5, s11
	s_delay_alu instid0(VALU_DEP_1) | instskip(SKIP_2) | instid1(VALU_DEP_3)
	v_sub_nc_u32_e32 v6, v6, v7
	v_mul_lo_u32 v7, v8, s13
	v_mul_lo_u32 v8, v8, s14
	;; [unrolled: 1-line block ×3, first 2 shown]
	s_waitcnt lgkmcnt(0)
	v_mul_lo_u32 v11, v6, s8
	v_mul_lo_u32 v6, v6, s9
	s_delay_alu instid0(VALU_DEP_3) | instskip(NEXT) | instid1(VALU_DEP_3)
	v_add3_u32 v72, v9, v72, v10
	v_add3_u32 v58, v7, v58, v11
	s_delay_alu instid0(VALU_DEP_3)
	v_add3_u32 v60, v8, v60, v6
	s_cbranch_scc1 .LBB10_81
; %bb.82:
	s_set_inst_prefetch_distance 0x2
	s_bitcmp1_b32 s3, 0
	s_cselect_b32 s3, -1, 0
	s_delay_alu instid0(SALU_CYCLE_1)
	s_and_b32 vcc_lo, exec_lo, s3
	s_cbranch_vccnz .LBB10_85
; %bb.83:
	s_clause 0x3
	s_load_b64 s[4:5], s[0:1], 0x18
	s_load_b32 s3, s[0:1], 0x20
	s_load_b64 s[6:7], s[0:1], 0xd8
	s_load_b32 s0, s[0:1], 0xe0
	s_waitcnt lgkmcnt(0)
	v_mul_hi_u32 v6, s5, v5
	s_delay_alu instid0(VALU_DEP_1) | instskip(NEXT) | instid1(VALU_DEP_1)
	v_add_nc_u32_e32 v6, v5, v6
	v_lshrrev_b32_e32 v6, s3, v6
	s_delay_alu instid0(VALU_DEP_1) | instskip(NEXT) | instid1(VALU_DEP_1)
	v_mul_lo_u32 v6, v6, s4
	v_sub_nc_u32_e32 v9, v5, v6
	s_delay_alu instid0(VALU_DEP_1) | instskip(SKIP_2) | instid1(VALU_DEP_3)
	v_mad_u64_u32 v[5:6], null, v9, s6, v[72:73]
	v_mad_u64_u32 v[6:7], null, v9, s7, v[58:59]
	;; [unrolled: 1-line block ×3, first 2 shown]
	v_mov_b32_e32 v72, v5
	s_delay_alu instid0(VALU_DEP_3) | instskip(NEXT) | instid1(VALU_DEP_3)
	v_mov_b32_e32 v58, v6
	v_mov_b32_e32 v60, v7
	s_branch .LBB10_85
.LBB10_84:
	s_mov_b32 s2, -1
                                        ; implicit-def: $vgpr72
                                        ; implicit-def: $vgpr58
                                        ; implicit-def: $vgpr60
.LBB10_85:
	s_delay_alu instid0(SALU_CYCLE_1)
	s_and_not1_b32 vcc_lo, exec_lo, s2
	s_cbranch_vccnz .LBB10_88
; %bb.86:
	s_clause 0x1
	s_load_b128 s[0:3], s[44:45], 0x4
	s_load_b128 s[4:7], s[44:45], 0xc4
	s_cmp_lt_u32 s43, 2
	s_waitcnt lgkmcnt(0)
	v_mul_hi_u32 v5, s1, v4
	s_delay_alu instid0(VALU_DEP_1) | instskip(NEXT) | instid1(VALU_DEP_1)
	v_add_nc_u32_e32 v5, v4, v5
	v_lshrrev_b32_e32 v5, s2, v5
	s_delay_alu instid0(VALU_DEP_1) | instskip(NEXT) | instid1(VALU_DEP_1)
	v_mul_lo_u32 v6, v5, s0
	v_sub_nc_u32_e32 v4, v4, v6
	s_delay_alu instid0(VALU_DEP_1)
	v_mul_lo_u32 v72, v4, s4
	v_mul_lo_u32 v58, v4, s5
	;; [unrolled: 1-line block ×3, first 2 shown]
	s_cbranch_scc1 .LBB10_88
; %bb.87:
	s_clause 0x1
	s_load_b128 s[0:3], s[44:45], 0x10
	s_load_b128 s[4:7], s[44:45], 0xd0
	s_waitcnt lgkmcnt(0)
	v_mul_hi_u32 v4, s1, v5
	s_delay_alu instid0(VALU_DEP_1) | instskip(NEXT) | instid1(VALU_DEP_1)
	v_add_nc_u32_e32 v4, v5, v4
	v_lshrrev_b32_e32 v4, s2, v4
	s_delay_alu instid0(VALU_DEP_1) | instskip(NEXT) | instid1(VALU_DEP_1)
	v_mul_lo_u32 v4, v4, s0
	v_sub_nc_u32_e32 v8, v5, v4
	s_delay_alu instid0(VALU_DEP_1) | instskip(SKIP_2) | instid1(VALU_DEP_3)
	v_mad_u64_u32 v[4:5], null, v8, s4, v[72:73]
	v_mad_u64_u32 v[5:6], null, v8, s5, v[58:59]
	;; [unrolled: 1-line block ×3, first 2 shown]
	v_mov_b32_e32 v72, v4
	s_delay_alu instid0(VALU_DEP_3) | instskip(NEXT) | instid1(VALU_DEP_3)
	v_mov_b32_e32 v58, v5
	v_mov_b32_e32 v60, v6
.LBB10_88:
	v_cmp_ne_u32_e32 vcc_lo, 1, v3
	v_add_nc_u32_e32 v4, 0x100, v47
	s_cbranch_vccnz .LBB10_94
; %bb.89:
	v_dual_mov_b32 v73, 0 :: v_dual_mov_b32 v74, 0
	v_mov_b32_e32 v61, 0
	s_cmp_lg_u32 s43, 0
	s_mov_b32 s2, 0
	s_cbranch_scc0 .LBB10_95
; %bb.90:
	s_min_u32 s3, s64, 15
	v_dual_mov_b32 v74, 0 :: v_dual_mov_b32 v61, 0
	s_add_i32 s0, s3, 1
	v_mov_b32_e32 v73, 0
	v_mov_b32_e32 v5, v4
	s_and_b32 s4, s0, 30
	s_add_u32 s0, s44, 0xffffffec
	s_addc_u32 s1, s45, -1
	s_set_inst_prefetch_distance 0x1
	.p2align	6
.LBB10_91:                              ; =>This Inner Loop Header: Depth=1
	s_clause 0x2
	s_load_b128 s[8:11], s[0:1], 0x18
	s_load_b64 s[6:7], s[0:1], 0x28
	s_load_b128 s[12:15], s[0:1], 0xd8
	s_waitcnt lgkmcnt(0)
	v_mul_hi_u32 v6, s9, v5
	s_delay_alu instid0(VALU_DEP_1) | instskip(NEXT) | instid1(VALU_DEP_1)
	v_add_nc_u32_e32 v6, v5, v6
	v_lshrrev_b32_e32 v6, s10, v6
	s_delay_alu instid0(VALU_DEP_1)
	v_mul_hi_u32 v7, s6, v6
	v_mul_lo_u32 v8, v6, s8
	s_load_b64 s[8:9], s[0:1], 0xe8
	s_add_u32 s0, s0, 24
	s_addc_u32 s1, s1, 0
	s_add_i32 s4, s4, -2
	s_delay_alu instid0(SALU_CYCLE_1) | instskip(NEXT) | instid1(VALU_DEP_2)
	s_cmp_lg_u32 s4, 0
	v_add_nc_u32_e32 v7, v6, v7
	s_delay_alu instid0(VALU_DEP_2) | instskip(NEXT) | instid1(VALU_DEP_2)
	v_sub_nc_u32_e32 v8, v5, v8
	v_lshrrev_b32_e32 v5, s7, v7
	s_delay_alu instid0(VALU_DEP_2) | instskip(NEXT) | instid1(VALU_DEP_2)
	v_mul_lo_u32 v9, v8, s12
	v_mul_lo_u32 v7, v5, s11
	s_delay_alu instid0(VALU_DEP_1) | instskip(SKIP_2) | instid1(VALU_DEP_3)
	v_sub_nc_u32_e32 v6, v6, v7
	v_mul_lo_u32 v7, v8, s13
	v_mul_lo_u32 v8, v8, s14
	;; [unrolled: 1-line block ×3, first 2 shown]
	s_waitcnt lgkmcnt(0)
	v_mul_lo_u32 v11, v6, s8
	v_mul_lo_u32 v6, v6, s9
	s_delay_alu instid0(VALU_DEP_3) | instskip(NEXT) | instid1(VALU_DEP_3)
	v_add3_u32 v73, v9, v73, v10
	v_add3_u32 v61, v7, v61, v11
	s_delay_alu instid0(VALU_DEP_3)
	v_add3_u32 v74, v8, v74, v6
	s_cbranch_scc1 .LBB10_91
; %bb.92:
	s_set_inst_prefetch_distance 0x2
	s_bitcmp1_b32 s3, 0
	s_cselect_b32 s3, -1, 0
	s_delay_alu instid0(SALU_CYCLE_1)
	s_and_b32 vcc_lo, exec_lo, s3
	s_cbranch_vccnz .LBB10_95
; %bb.93:
	s_clause 0x3
	s_load_b64 s[4:5], s[0:1], 0x18
	s_load_b32 s3, s[0:1], 0x20
	s_load_b64 s[6:7], s[0:1], 0xd8
	s_load_b32 s0, s[0:1], 0xe0
	s_waitcnt lgkmcnt(0)
	v_mul_hi_u32 v6, s5, v5
	s_delay_alu instid0(VALU_DEP_1) | instskip(NEXT) | instid1(VALU_DEP_1)
	v_add_nc_u32_e32 v6, v5, v6
	v_lshrrev_b32_e32 v6, s3, v6
	s_delay_alu instid0(VALU_DEP_1) | instskip(NEXT) | instid1(VALU_DEP_1)
	v_mul_lo_u32 v6, v6, s4
	v_sub_nc_u32_e32 v9, v5, v6
	s_delay_alu instid0(VALU_DEP_1) | instskip(SKIP_2) | instid1(VALU_DEP_3)
	v_mad_u64_u32 v[5:6], null, v9, s6, v[73:74]
	v_mad_u64_u32 v[6:7], null, v9, s7, v[61:62]
	;; [unrolled: 1-line block ×3, first 2 shown]
	v_mov_b32_e32 v73, v5
	s_delay_alu instid0(VALU_DEP_2)
	v_dual_mov_b32 v61, v6 :: v_dual_mov_b32 v74, v7
	s_branch .LBB10_95
.LBB10_94:
	s_mov_b32 s2, -1
                                        ; implicit-def: $vgpr73
                                        ; implicit-def: $vgpr61
                                        ; implicit-def: $vgpr74
.LBB10_95:
	s_delay_alu instid0(SALU_CYCLE_1)
	s_and_not1_b32 vcc_lo, exec_lo, s2
	s_cbranch_vccnz .LBB10_98
; %bb.96:
	s_clause 0x1
	s_load_b128 s[0:3], s[44:45], 0x4
	s_load_b128 s[4:7], s[44:45], 0xc4
	s_cmp_lt_u32 s43, 2
	s_waitcnt lgkmcnt(0)
	v_mul_hi_u32 v5, s1, v4
	s_delay_alu instid0(VALU_DEP_1) | instskip(NEXT) | instid1(VALU_DEP_1)
	v_add_nc_u32_e32 v5, v4, v5
	v_lshrrev_b32_e32 v5, s2, v5
	s_delay_alu instid0(VALU_DEP_1) | instskip(NEXT) | instid1(VALU_DEP_1)
	v_mul_lo_u32 v6, v5, s0
	v_sub_nc_u32_e32 v4, v4, v6
	s_delay_alu instid0(VALU_DEP_1)
	v_mul_lo_u32 v73, v4, s4
	v_mul_lo_u32 v61, v4, s5
	;; [unrolled: 1-line block ×3, first 2 shown]
	s_cbranch_scc1 .LBB10_98
; %bb.97:
	s_clause 0x1
	s_load_b128 s[0:3], s[44:45], 0x10
	s_load_b128 s[4:7], s[44:45], 0xd0
	s_waitcnt lgkmcnt(0)
	v_mul_hi_u32 v4, s1, v5
	s_delay_alu instid0(VALU_DEP_1) | instskip(NEXT) | instid1(VALU_DEP_1)
	v_add_nc_u32_e32 v4, v5, v4
	v_lshrrev_b32_e32 v4, s2, v4
	s_delay_alu instid0(VALU_DEP_1) | instskip(NEXT) | instid1(VALU_DEP_1)
	v_mul_lo_u32 v4, v4, s0
	v_sub_nc_u32_e32 v8, v5, v4
	s_delay_alu instid0(VALU_DEP_1) | instskip(SKIP_2) | instid1(VALU_DEP_3)
	v_mad_u64_u32 v[4:5], null, v8, s4, v[73:74]
	v_mad_u64_u32 v[5:6], null, v8, s5, v[61:62]
	;; [unrolled: 1-line block ×3, first 2 shown]
	v_mov_b32_e32 v73, v4
	s_delay_alu instid0(VALU_DEP_2)
	v_dual_mov_b32 v61, v5 :: v_dual_mov_b32 v74, v6
.LBB10_98:
	v_cmp_ne_u32_e32 vcc_lo, 1, v3
	s_cbranch_vccnz .LBB10_104
; %bb.99:
	v_dual_mov_b32 v75, 0 :: v_dual_mov_b32 v76, 0
	v_mov_b32_e32 v77, 0
	s_cmp_lg_u32 s43, 0
	s_mov_b32 s2, 0
	s_cbranch_scc0 .LBB10_105
; %bb.100:
	s_min_u32 s3, s64, 15
	v_dual_mov_b32 v76, 0 :: v_dual_mov_b32 v77, 0
	s_add_i32 s0, s3, 1
	v_mov_b32_e32 v75, 0
	v_mov_b32_e32 v3, v2
	s_and_b32 s4, s0, 30
	s_add_u32 s0, s44, 0xffffffec
	s_addc_u32 s1, s45, -1
	s_set_inst_prefetch_distance 0x1
	.p2align	6
.LBB10_101:                             ; =>This Inner Loop Header: Depth=1
	s_clause 0x2
	s_load_b128 s[8:11], s[0:1], 0x18
	s_load_b64 s[6:7], s[0:1], 0x28
	s_load_b128 s[12:15], s[0:1], 0xd8
	s_waitcnt lgkmcnt(0)
	v_mul_hi_u32 v4, s9, v3
	s_delay_alu instid0(VALU_DEP_1) | instskip(NEXT) | instid1(VALU_DEP_1)
	v_add_nc_u32_e32 v4, v3, v4
	v_lshrrev_b32_e32 v4, s10, v4
	s_delay_alu instid0(VALU_DEP_1)
	v_mul_hi_u32 v5, s6, v4
	v_mul_lo_u32 v6, v4, s8
	s_load_b64 s[8:9], s[0:1], 0xe8
	s_add_u32 s0, s0, 24
	s_addc_u32 s1, s1, 0
	s_add_i32 s4, s4, -2
	s_delay_alu instid0(SALU_CYCLE_1) | instskip(NEXT) | instid1(VALU_DEP_2)
	s_cmp_lg_u32 s4, 0
	v_add_nc_u32_e32 v5, v4, v5
	s_delay_alu instid0(VALU_DEP_2) | instskip(NEXT) | instid1(VALU_DEP_2)
	v_sub_nc_u32_e32 v6, v3, v6
	v_lshrrev_b32_e32 v3, s7, v5
	s_delay_alu instid0(VALU_DEP_2) | instskip(NEXT) | instid1(VALU_DEP_2)
	v_mul_lo_u32 v7, v6, s12
	v_mul_lo_u32 v5, v3, s11
	s_delay_alu instid0(VALU_DEP_1) | instskip(SKIP_2) | instid1(VALU_DEP_3)
	v_sub_nc_u32_e32 v4, v4, v5
	v_mul_lo_u32 v5, v6, s13
	v_mul_lo_u32 v6, v6, s14
	;; [unrolled: 1-line block ×3, first 2 shown]
	s_waitcnt lgkmcnt(0)
	v_mul_lo_u32 v9, v4, s8
	v_mul_lo_u32 v4, v4, s9
	s_delay_alu instid0(VALU_DEP_3) | instskip(NEXT) | instid1(VALU_DEP_3)
	v_add3_u32 v75, v7, v75, v8
	v_add3_u32 v77, v5, v77, v9
	s_delay_alu instid0(VALU_DEP_3)
	v_add3_u32 v76, v6, v76, v4
	s_cbranch_scc1 .LBB10_101
; %bb.102:
	s_set_inst_prefetch_distance 0x2
	s_bitcmp1_b32 s3, 0
	s_cselect_b32 s3, -1, 0
	s_delay_alu instid0(SALU_CYCLE_1)
	s_and_b32 vcc_lo, exec_lo, s3
	s_cbranch_vccnz .LBB10_105
; %bb.103:
	s_clause 0x3
	s_load_b64 s[4:5], s[0:1], 0x18
	s_load_b32 s3, s[0:1], 0x20
	s_load_b64 s[6:7], s[0:1], 0xd8
	s_load_b32 s0, s[0:1], 0xe0
	s_waitcnt lgkmcnt(0)
	v_mul_hi_u32 v4, s5, v3
	s_delay_alu instid0(VALU_DEP_1) | instskip(NEXT) | instid1(VALU_DEP_1)
	v_add_nc_u32_e32 v4, v3, v4
	v_lshrrev_b32_e32 v4, s3, v4
	s_delay_alu instid0(VALU_DEP_1) | instskip(NEXT) | instid1(VALU_DEP_1)
	v_mul_lo_u32 v4, v4, s4
	v_sub_nc_u32_e32 v7, v3, v4
	s_delay_alu instid0(VALU_DEP_1) | instskip(SKIP_2) | instid1(VALU_DEP_3)
	v_mad_u64_u32 v[3:4], null, v7, s6, v[75:76]
	v_mad_u64_u32 v[4:5], null, v7, s7, v[77:78]
	;; [unrolled: 1-line block ×3, first 2 shown]
	v_mov_b32_e32 v75, v3
	s_delay_alu instid0(VALU_DEP_2)
	v_dual_mov_b32 v77, v4 :: v_dual_mov_b32 v76, v5
	s_branch .LBB10_105
.LBB10_104:
	s_mov_b32 s2, -1
                                        ; implicit-def: $vgpr75
                                        ; implicit-def: $vgpr77
                                        ; implicit-def: $vgpr76
.LBB10_105:
	s_delay_alu instid0(SALU_CYCLE_1)
	s_and_not1_b32 vcc_lo, exec_lo, s2
	s_cbranch_vccnz .LBB10_108
; %bb.106:
	s_clause 0x1
	s_load_b128 s[0:3], s[44:45], 0x4
	s_load_b128 s[4:7], s[44:45], 0xc4
	s_cmp_lt_u32 s43, 2
	s_waitcnt lgkmcnt(0)
	v_mul_hi_u32 v3, s1, v2
	s_delay_alu instid0(VALU_DEP_1) | instskip(NEXT) | instid1(VALU_DEP_1)
	v_add_nc_u32_e32 v3, v2, v3
	v_lshrrev_b32_e32 v3, s2, v3
	s_delay_alu instid0(VALU_DEP_1) | instskip(NEXT) | instid1(VALU_DEP_1)
	v_mul_lo_u32 v4, v3, s0
	v_sub_nc_u32_e32 v2, v2, v4
	s_delay_alu instid0(VALU_DEP_1)
	v_mul_lo_u32 v75, v2, s4
	v_mul_lo_u32 v77, v2, s5
	;; [unrolled: 1-line block ×3, first 2 shown]
	s_cbranch_scc1 .LBB10_108
; %bb.107:
	s_clause 0x1
	s_load_b128 s[0:3], s[44:45], 0x10
	s_load_b128 s[4:7], s[44:45], 0xd0
	s_waitcnt lgkmcnt(0)
	v_mul_hi_u32 v2, s1, v3
	s_delay_alu instid0(VALU_DEP_1) | instskip(NEXT) | instid1(VALU_DEP_1)
	v_add_nc_u32_e32 v2, v3, v2
	v_lshrrev_b32_e32 v2, s2, v2
	s_delay_alu instid0(VALU_DEP_1) | instskip(NEXT) | instid1(VALU_DEP_1)
	v_mul_lo_u32 v2, v2, s0
	v_sub_nc_u32_e32 v6, v3, v2
	s_delay_alu instid0(VALU_DEP_1) | instskip(SKIP_2) | instid1(VALU_DEP_3)
	v_mad_u64_u32 v[2:3], null, v6, s4, v[75:76]
	v_mad_u64_u32 v[3:4], null, v6, s5, v[77:78]
	;; [unrolled: 1-line block ×3, first 2 shown]
	v_mov_b32_e32 v75, v2
	s_delay_alu instid0(VALU_DEP_2)
	v_dual_mov_b32 v77, v3 :: v_dual_mov_b32 v76, v4
.LBB10_108:
	s_clause 0x2
	s_load_b128 s[48:51], s[44:45], 0x188
	s_load_b64 s[46:47], s[44:45], 0x198
	s_load_b32 s0, s[44:45], 0x1a0
	s_waitcnt lgkmcnt(0)
	global_load_b64 v[56:57], v1, s[50:51]
	global_load_b64 v[45:46], v0, s[46:47]
	s_bitcmp1_b32 s0, 0
	s_cselect_b32 s0, -1, 0
	s_delay_alu instid0(SALU_CYCLE_1)
	s_xor_b32 s43, s0, -1
	s_mov_b32 s0, -1
	s_and_b32 vcc_lo, exec_lo, s43
	s_cbranch_vccz .LBB10_110
; %bb.109:
	s_waitcnt vmcnt(1)
	v_dual_mov_b32 v0, v56 :: v_dual_mov_b32 v1, v57
	s_waitcnt vmcnt(0)
	v_dual_mov_b32 v2, v45 :: v_dual_mov_b32 v3, v46
	s_getpc_b64 s[0:1]
	s_add_u32 s0, s0, _ZN12_GLOBAL__N_111calc_igammaIdEET_S1_S1_@rel32@lo+4
	s_addc_u32 s1, s1, _ZN12_GLOBAL__N_111calc_igammaIdEET_S1_S1_@rel32@hi+12
	s_delay_alu instid0(SALU_CYCLE_1)
	s_swappc_b64 s[30:31], s[0:1]
	v_dual_mov_b32 v43, v0 :: v_dual_mov_b32 v44, v1
	s_cbranch_execz .LBB10_111
	s_branch .LBB10_112
.LBB10_110:
                                        ; implicit-def: $vgpr43_vgpr44
	s_and_not1_b32 vcc_lo, exec_lo, s0
	s_cbranch_vccnz .LBB10_112
.LBB10_111:
	s_waitcnt vmcnt(1)
	v_dual_mov_b32 v0, v56 :: v_dual_mov_b32 v1, v57
	s_waitcnt vmcnt(0)
	v_dual_mov_b32 v2, v45 :: v_dual_mov_b32 v3, v46
	s_getpc_b64 s[0:1]
	s_add_u32 s0, s0, _ZN12_GLOBAL__N_112calc_igammacIdEET_S1_S1_@rel32@lo+4
	s_addc_u32 s1, s1, _ZN12_GLOBAL__N_112calc_igammacIdEET_S1_S1_@rel32@hi+12
	s_delay_alu instid0(SALU_CYCLE_1)
	s_swappc_b64 s[30:31], s[0:1]
	v_dual_mov_b32 v43, v0 :: v_dual_mov_b32 v44, v1
.LBB10_112:
	global_load_b64 v[58:59], v58, s[50:51]
	global_load_b64 v[56:57], v60, s[46:47]
	s_and_b32 vcc_lo, exec_lo, s43
	s_cbranch_vccz .LBB10_114
; %bb.113:
	s_waitcnt vmcnt(1)
	v_dual_mov_b32 v0, v58 :: v_dual_mov_b32 v1, v59
	s_waitcnt vmcnt(0)
	v_dual_mov_b32 v2, v56 :: v_dual_mov_b32 v3, v57
	s_getpc_b64 s[0:1]
	s_add_u32 s0, s0, _ZN12_GLOBAL__N_111calc_igammaIdEET_S1_S1_@rel32@lo+4
	s_addc_u32 s1, s1, _ZN12_GLOBAL__N_111calc_igammaIdEET_S1_S1_@rel32@hi+12
	s_delay_alu instid0(SALU_CYCLE_1)
	s_swappc_b64 s[30:31], s[0:1]
	v_dual_mov_b32 v45, v0 :: v_dual_mov_b32 v46, v1
	s_cbranch_execz .LBB10_115
	s_branch .LBB10_116
.LBB10_114:
                                        ; implicit-def: $vgpr45_vgpr46
.LBB10_115:
	s_waitcnt vmcnt(1)
	v_dual_mov_b32 v0, v58 :: v_dual_mov_b32 v1, v59
	s_waitcnt vmcnt(0)
	v_dual_mov_b32 v2, v56 :: v_dual_mov_b32 v3, v57
	s_getpc_b64 s[0:1]
	s_add_u32 s0, s0, _ZN12_GLOBAL__N_112calc_igammacIdEET_S1_S1_@rel32@lo+4
	s_addc_u32 s1, s1, _ZN12_GLOBAL__N_112calc_igammacIdEET_S1_S1_@rel32@hi+12
	s_delay_alu instid0(SALU_CYCLE_1)
	s_swappc_b64 s[30:31], s[0:1]
	v_dual_mov_b32 v45, v0 :: v_dual_mov_b32 v46, v1
.LBB10_116:
	global_load_b64 v[60:61], v61, s[50:51]
	global_load_b64 v[58:59], v74, s[46:47]
	s_and_b32 vcc_lo, exec_lo, s43
	s_cbranch_vccz .LBB10_118
; %bb.117:
	s_waitcnt vmcnt(1)
	v_dual_mov_b32 v0, v60 :: v_dual_mov_b32 v1, v61
	s_waitcnt vmcnt(0)
	v_dual_mov_b32 v2, v58 :: v_dual_mov_b32 v3, v59
	s_getpc_b64 s[0:1]
	s_add_u32 s0, s0, _ZN12_GLOBAL__N_111calc_igammaIdEET_S1_S1_@rel32@lo+4
	s_addc_u32 s1, s1, _ZN12_GLOBAL__N_111calc_igammaIdEET_S1_S1_@rel32@hi+12
	s_delay_alu instid0(SALU_CYCLE_1)
	s_swappc_b64 s[30:31], s[0:1]
	v_dual_mov_b32 v56, v0 :: v_dual_mov_b32 v57, v1
	s_cbranch_execz .LBB10_119
	s_branch .LBB10_120
.LBB10_118:
                                        ; implicit-def: $vgpr56_vgpr57
.LBB10_119:
	s_waitcnt vmcnt(1)
	v_dual_mov_b32 v0, v60 :: v_dual_mov_b32 v1, v61
	s_waitcnt vmcnt(0)
	v_dual_mov_b32 v2, v58 :: v_dual_mov_b32 v3, v59
	s_getpc_b64 s[0:1]
	s_add_u32 s0, s0, _ZN12_GLOBAL__N_112calc_igammacIdEET_S1_S1_@rel32@lo+4
	s_addc_u32 s1, s1, _ZN12_GLOBAL__N_112calc_igammacIdEET_S1_S1_@rel32@hi+12
	s_delay_alu instid0(SALU_CYCLE_1)
	s_swappc_b64 s[30:31], s[0:1]
	v_dual_mov_b32 v56, v0 :: v_dual_mov_b32 v57, v1
.LBB10_120:
	global_load_b64 v[60:61], v77, s[50:51]
	global_load_b64 v[58:59], v76, s[46:47]
	s_and_b32 vcc_lo, exec_lo, s43
	s_cbranch_vccz .LBB10_122
; %bb.121:
	s_waitcnt vmcnt(1)
	v_dual_mov_b32 v0, v60 :: v_dual_mov_b32 v1, v61
	s_waitcnt vmcnt(0)
	v_dual_mov_b32 v2, v58 :: v_dual_mov_b32 v3, v59
	s_getpc_b64 s[0:1]
	s_add_u32 s0, s0, _ZN12_GLOBAL__N_111calc_igammaIdEET_S1_S1_@rel32@lo+4
	s_addc_u32 s1, s1, _ZN12_GLOBAL__N_111calc_igammaIdEET_S1_S1_@rel32@hi+12
	s_delay_alu instid0(SALU_CYCLE_1)
	s_swappc_b64 s[30:31], s[0:1]
	s_cbranch_execz .LBB10_123
	s_branch .LBB10_124
.LBB10_122:
                                        ; implicit-def: $vgpr0_vgpr1
.LBB10_123:
	s_waitcnt vmcnt(1)
	v_dual_mov_b32 v0, v60 :: v_dual_mov_b32 v1, v61
	s_waitcnt vmcnt(0)
	v_dual_mov_b32 v2, v58 :: v_dual_mov_b32 v3, v59
	s_getpc_b64 s[0:1]
	s_add_u32 s0, s0, _ZN12_GLOBAL__N_112calc_igammacIdEET_S1_S1_@rel32@lo+4
	s_addc_u32 s1, s1, _ZN12_GLOBAL__N_112calc_igammacIdEET_S1_S1_@rel32@hi+12
	s_delay_alu instid0(SALU_CYCLE_1)
	s_swappc_b64 s[30:31], s[0:1]
.LBB10_124:
	s_waitcnt vmcnt(8)
	global_store_b64 v62, v[43:44], s[48:49]
	s_waitcnt vmcnt(6)
	global_store_b64 v72, v[45:46], s[48:49]
	s_waitcnt vmcnt(4)
	s_clause 0x1
	global_store_b64 v73, v[56:57], s[48:49]
	global_store_b64 v75, v[0:1], s[48:49]
	s_endpgm
	.section	.rodata,"a",@progbits
	.p2align	6, 0x0
	.amdhsa_kernel _ZN2at6native32elementwise_kernel_manual_unrollILi128ELi4EZNS0_22gpu_kernel_impl_nocastIN12_GLOBAL__N_110CalcIgammaIdEEEEvRNS_18TensorIteratorBaseERKT_EUlibE_EEviT1_
		.amdhsa_group_segment_fixed_size 0
		.amdhsa_private_segment_fixed_size 240
		.amdhsa_kernarg_size 432
		.amdhsa_user_sgpr_count 15
		.amdhsa_user_sgpr_dispatch_ptr 0
		.amdhsa_user_sgpr_queue_ptr 0
		.amdhsa_user_sgpr_kernarg_segment_ptr 1
		.amdhsa_user_sgpr_dispatch_id 0
		.amdhsa_user_sgpr_private_segment_size 0
		.amdhsa_wavefront_size32 1
		.amdhsa_uses_dynamic_stack 0
		.amdhsa_enable_private_segment 1
		.amdhsa_system_sgpr_workgroup_id_x 1
		.amdhsa_system_sgpr_workgroup_id_y 0
		.amdhsa_system_sgpr_workgroup_id_z 0
		.amdhsa_system_sgpr_workgroup_info 0
		.amdhsa_system_vgpr_workitem_id 0
		.amdhsa_next_free_vgpr 104
		.amdhsa_next_free_sgpr 73
		.amdhsa_reserve_vcc 1
		.amdhsa_float_round_mode_32 0
		.amdhsa_float_round_mode_16_64 0
		.amdhsa_float_denorm_mode_32 3
		.amdhsa_float_denorm_mode_16_64 3
		.amdhsa_dx10_clamp 1
		.amdhsa_ieee_mode 1
		.amdhsa_fp16_overflow 0
		.amdhsa_workgroup_processor_mode 1
		.amdhsa_memory_ordered 1
		.amdhsa_forward_progress 0
		.amdhsa_shared_vgpr_count 0
		.amdhsa_exception_fp_ieee_invalid_op 0
		.amdhsa_exception_fp_denorm_src 0
		.amdhsa_exception_fp_ieee_div_zero 0
		.amdhsa_exception_fp_ieee_overflow 0
		.amdhsa_exception_fp_ieee_underflow 0
		.amdhsa_exception_fp_ieee_inexact 0
		.amdhsa_exception_int_div_zero 0
	.end_amdhsa_kernel
	.section	.text._ZN2at6native32elementwise_kernel_manual_unrollILi128ELi4EZNS0_22gpu_kernel_impl_nocastIN12_GLOBAL__N_110CalcIgammaIdEEEEvRNS_18TensorIteratorBaseERKT_EUlibE_EEviT1_,"axG",@progbits,_ZN2at6native32elementwise_kernel_manual_unrollILi128ELi4EZNS0_22gpu_kernel_impl_nocastIN12_GLOBAL__N_110CalcIgammaIdEEEEvRNS_18TensorIteratorBaseERKT_EUlibE_EEviT1_,comdat
.Lfunc_end10:
	.size	_ZN2at6native32elementwise_kernel_manual_unrollILi128ELi4EZNS0_22gpu_kernel_impl_nocastIN12_GLOBAL__N_110CalcIgammaIdEEEEvRNS_18TensorIteratorBaseERKT_EUlibE_EEviT1_, .Lfunc_end10-_ZN2at6native32elementwise_kernel_manual_unrollILi128ELi4EZNS0_22gpu_kernel_impl_nocastIN12_GLOBAL__N_110CalcIgammaIdEEEEvRNS_18TensorIteratorBaseERKT_EUlibE_EEviT1_
                                        ; -- End function
	.section	.AMDGPU.csdata,"",@progbits
; Kernel info:
; codeLenInByte = 6784
; NumSgprs: 75
; NumVgprs: 104
; ScratchSize: 240
; MemoryBound: 0
; FloatMode: 240
; IeeeMode: 1
; LDSByteSize: 0 bytes/workgroup (compile time only)
; SGPRBlocks: 9
; VGPRBlocks: 12
; NumSGPRsForWavesPerEU: 75
; NumVGPRsForWavesPerEU: 104
; Occupancy: 12
; WaveLimiterHint : 1
; COMPUTE_PGM_RSRC2:SCRATCH_EN: 1
; COMPUTE_PGM_RSRC2:USER_SGPR: 15
; COMPUTE_PGM_RSRC2:TRAP_HANDLER: 0
; COMPUTE_PGM_RSRC2:TGID_X_EN: 1
; COMPUTE_PGM_RSRC2:TGID_Y_EN: 0
; COMPUTE_PGM_RSRC2:TGID_Z_EN: 0
; COMPUTE_PGM_RSRC2:TIDIG_COMP_CNT: 0
	.section	.text._ZN2at6native32elementwise_kernel_manual_unrollILi128ELi4EZNS0_15gpu_kernel_implIN12_GLOBAL__N_110CalcIgammaIdEEEEvRNS_18TensorIteratorBaseERKT_EUlibE_EEviT1_,"axG",@progbits,_ZN2at6native32elementwise_kernel_manual_unrollILi128ELi4EZNS0_15gpu_kernel_implIN12_GLOBAL__N_110CalcIgammaIdEEEEvRNS_18TensorIteratorBaseERKT_EUlibE_EEviT1_,comdat
	.globl	_ZN2at6native32elementwise_kernel_manual_unrollILi128ELi4EZNS0_15gpu_kernel_implIN12_GLOBAL__N_110CalcIgammaIdEEEEvRNS_18TensorIteratorBaseERKT_EUlibE_EEviT1_ ; -- Begin function _ZN2at6native32elementwise_kernel_manual_unrollILi128ELi4EZNS0_15gpu_kernel_implIN12_GLOBAL__N_110CalcIgammaIdEEEEvRNS_18TensorIteratorBaseERKT_EUlibE_EEviT1_
	.p2align	8
	.type	_ZN2at6native32elementwise_kernel_manual_unrollILi128ELi4EZNS0_15gpu_kernel_implIN12_GLOBAL__N_110CalcIgammaIdEEEEvRNS_18TensorIteratorBaseERKT_EUlibE_EEviT1_,@function
_ZN2at6native32elementwise_kernel_manual_unrollILi128ELi4EZNS0_15gpu_kernel_implIN12_GLOBAL__N_110CalcIgammaIdEEEEvRNS_18TensorIteratorBaseERKT_EUlibE_EEviT1_: ; @_ZN2at6native32elementwise_kernel_manual_unrollILi128ELi4EZNS0_15gpu_kernel_implIN12_GLOBAL__N_110CalcIgammaIdEEEEvRNS_18TensorIteratorBaseERKT_EUlibE_EEviT1_
; %bb.0:
	s_clause 0x4
	s_load_b32 s54, s[0:1], 0x2c
	s_load_b32 s59, s[0:1], 0x0
	s_load_b128 s[44:47], s[0:1], 0x8
	s_load_b64 s[52:53], s[0:1], 0x18
	s_load_b128 s[48:51], s[0:1], 0x20
	v_lshl_or_b32 v47, s15, 9, v0
	s_mov_b32 s55, 0
	s_mov_b32 s58, 0
	s_mov_b32 s32, 0
	s_mov_b32 s0, exec_lo
	v_or_b32_e32 v0, 0x180, v47
	s_waitcnt lgkmcnt(0)
	s_lshr_b32 s56, s54, 16
	s_lshr_b32 s43, s54, 8
	;; [unrolled: 1-line block ×3, first 2 shown]
	v_cmpx_le_i32_e64 s59, v0
	s_xor_b32 s57, exec_lo, s0
	s_cbranch_execz .LBB11_1569
; %bb.1:
	s_bitcmp1_b32 s54, 0
	s_mov_b32 s1, -1
	s_cselect_b32 s0, -1, 0
	s_mov_b32 s64, 0
	s_xor_b32 s58, s0, -1
	s_mov_b32 s62, 0
	s_mov_b32 s61, 0
	;; [unrolled: 1-line block ×3, first 2 shown]
	s_mov_b32 s63, exec_lo
	v_cmpx_gt_i32_e64 s59, v47
	s_cbranch_execz .LBB11_385
; %bb.2:
	v_mul_lo_u32 v0, v47, s49
	v_and_b32_e64 v2, 0xff, s56
	s_delay_alu instid0(VALU_DEP_1) | instskip(NEXT) | instid1(VALU_DEP_3)
	v_cmp_gt_i16_e32 vcc_lo, 11, v2
	v_ashrrev_i32_e32 v1, 31, v0
	v_add_co_u32 v0, s0, s46, v0
	s_delay_alu instid0(VALU_DEP_1)
	v_add_co_ci_u32_e64 v1, s0, s47, v1, s0
	s_cbranch_vccnz .LBB11_9
; %bb.3:
	v_cmp_lt_i16_e32 vcc_lo, 25, v2
	s_cbranch_vccz .LBB11_11
; %bb.4:
	v_cmp_lt_i16_e32 vcc_lo, 28, v2
	s_cbranch_vccz .LBB11_12
	;; [unrolled: 3-line block ×4, first 2 shown]
; %bb.7:
	v_cmp_eq_u16_e32 vcc_lo, 46, v2
	s_mov_b32 s1, 0
	s_cbranch_vccz .LBB11_14
; %bb.8:
	global_load_b32 v3, v[0:1], off
	s_mov_b32 s0, -1
	s_waitcnt vmcnt(0)
	v_lshlrev_b32_e32 v3, 16, v3
	s_delay_alu instid0(VALU_DEP_1)
	v_cvt_f64_f32_e32 v[43:44], v3
	s_branch .LBB11_16
.LBB11_9:
	s_mov_b32 s0, 0
                                        ; implicit-def: $vgpr43_vgpr44
	s_and_b32 vcc_lo, exec_lo, s1
	s_cbranch_vccnz .LBB11_80
.LBB11_10:
	s_and_not1_b32 vcc_lo, exec_lo, s0
	s_cbranch_vccz .LBB11_127
	s_branch .LBB11_382
.LBB11_11:
	s_mov_b32 s0, 0
                                        ; implicit-def: $vgpr43_vgpr44
	s_and_b32 vcc_lo, exec_lo, s1
	s_cbranch_vccnz .LBB11_47
	s_branch .LBB11_79
.LBB11_12:
	s_mov_b32 s0, 0
                                        ; implicit-def: $vgpr43_vgpr44
	s_branch .LBB11_26
.LBB11_13:
	s_mov_b32 s0, 0
                                        ; implicit-def: $vgpr43_vgpr44
	s_branch .LBB11_21
.LBB11_14:
	s_mov_b32 s62, -1
.LBB11_15:
	s_mov_b32 s0, 0
                                        ; implicit-def: $vgpr43_vgpr44
.LBB11_16:
	s_and_b32 vcc_lo, exec_lo, s1
	s_cbranch_vccz .LBB11_20
; %bb.17:
	v_cmp_eq_u16_e32 vcc_lo, 44, v2
	s_cbranch_vccz .LBB11_19
; %bb.18:
	global_load_u8 v5, v[0:1], off
	s_mov_b32 s62, 0
	s_mov_b32 s0, -1
	s_waitcnt vmcnt(0)
	v_cmp_ne_u32_e32 vcc_lo, 0xff, v5
	v_lshlrev_b32_e32 v3, 23, v5
	s_delay_alu instid0(VALU_DEP_1) | instskip(NEXT) | instid1(VALU_DEP_1)
	v_cvt_f64_f32_e32 v[3:4], v3
	v_cndmask_b32_e32 v4, 0x7ff80000, v4, vcc_lo
	s_delay_alu instid0(VALU_DEP_2) | instskip(SKIP_1) | instid1(VALU_DEP_3)
	v_cndmask_b32_e32 v3, 0x20000000, v3, vcc_lo
	v_cmp_ne_u32_e32 vcc_lo, 0, v5
	v_cndmask_b32_e32 v44, 0x38000000, v4, vcc_lo
	s_delay_alu instid0(VALU_DEP_3)
	v_cndmask_b32_e32 v43, 0, v3, vcc_lo
	s_branch .LBB11_20
.LBB11_19:
	s_mov_b32 s62, -1
                                        ; implicit-def: $vgpr43_vgpr44
.LBB11_20:
	s_mov_b32 s1, 0
.LBB11_21:
	s_delay_alu instid0(SALU_CYCLE_1)
	s_and_b32 vcc_lo, exec_lo, s1
	s_cbranch_vccz .LBB11_25
; %bb.22:
	v_cmp_eq_u16_e32 vcc_lo, 29, v2
	s_cbranch_vccz .LBB11_24
; %bb.23:
	global_load_b64 v[3:4], v[0:1], off
	s_mov_b32 s0, -1
	s_mov_b32 s62, 0
	s_mov_b32 s1, 0
	s_waitcnt vmcnt(0)
	v_cvt_f64_u32_e32 v[4:5], v4
	v_cvt_f64_u32_e32 v[6:7], v3
	s_delay_alu instid0(VALU_DEP_2) | instskip(NEXT) | instid1(VALU_DEP_1)
	v_ldexp_f64 v[4:5], v[4:5], 32
	v_add_f64 v[43:44], v[4:5], v[6:7]
	s_branch .LBB11_26
.LBB11_24:
	s_mov_b32 s62, -1
                                        ; implicit-def: $vgpr43_vgpr44
.LBB11_25:
	s_mov_b32 s1, 0
.LBB11_26:
	s_delay_alu instid0(SALU_CYCLE_1)
	s_and_b32 vcc_lo, exec_lo, s1
	s_cbranch_vccz .LBB11_46
; %bb.27:
	v_cmp_gt_i16_e32 vcc_lo, 27, v2
	s_cbranch_vccnz .LBB11_30
; %bb.28:
	v_cmp_lt_i16_e32 vcc_lo, 27, v2
	s_cbranch_vccz .LBB11_31
; %bb.29:
	global_load_b32 v3, v[0:1], off
	s_mov_b32 s0, 0
	s_waitcnt vmcnt(0)
	v_cvt_f64_u32_e32 v[43:44], v3
	s_branch .LBB11_32
.LBB11_30:
	s_mov_b32 s0, -1
                                        ; implicit-def: $vgpr43_vgpr44
	s_branch .LBB11_35
.LBB11_31:
	s_mov_b32 s0, -1
                                        ; implicit-def: $vgpr43_vgpr44
.LBB11_32:
	s_delay_alu instid0(SALU_CYCLE_1)
	s_and_not1_b32 vcc_lo, exec_lo, s0
	s_cbranch_vccnz .LBB11_34
; %bb.33:
	global_load_u16 v3, v[0:1], off
	s_waitcnt vmcnt(0)
	v_cvt_f64_u32_e32 v[43:44], v3
.LBB11_34:
	s_mov_b32 s0, 0
.LBB11_35:
	s_delay_alu instid0(SALU_CYCLE_1)
	s_and_not1_b32 vcc_lo, exec_lo, s0
	s_cbranch_vccnz .LBB11_45
; %bb.36:
	global_load_u8 v3, v[0:1], off
	s_mov_b32 s2, 0
	s_mov_b32 s3, exec_lo
                                        ; implicit-def: $sgpr0_sgpr1
	s_waitcnt vmcnt(0)
	v_cmpx_lt_i16_e32 0x7f, v3
	s_xor_b32 s3, exec_lo, s3
	s_cbranch_execz .LBB11_40
; %bb.37:
	s_mov_b32 s4, -1
	s_mov_b32 s2, exec_lo
                                        ; implicit-def: $sgpr0_sgpr1
	v_cmpx_eq_u16_e32 0x80, v3
; %bb.38:
	s_mov_b32 s1, 0x7ff80000
	s_brev_b32 s0, 4
	s_xor_b32 s4, exec_lo, -1
; %bb.39:
	s_or_b32 exec_lo, exec_lo, s2
	s_delay_alu instid0(SALU_CYCLE_1)
	s_and_b32 s2, s4, exec_lo
.LBB11_40:
	s_or_saveexec_b32 s3, s3
	v_dual_mov_b32 v44, s1 :: v_dual_mov_b32 v43, s0
	s_xor_b32 exec_lo, exec_lo, s3
; %bb.41:
	v_cmp_ne_u16_e32 vcc_lo, 0, v3
	v_mov_b32_e32 v43, 0
	v_mov_b32_e32 v44, 0
	s_and_not1_b32 s0, s2, exec_lo
	s_and_b32 s1, vcc_lo, exec_lo
	s_delay_alu instid0(SALU_CYCLE_1)
	s_or_b32 s2, s0, s1
; %bb.42:
	s_or_b32 exec_lo, exec_lo, s3
	s_and_saveexec_b32 s0, s2
	s_cbranch_execz .LBB11_44
; %bb.43:
	v_and_b32_e32 v4, 0xffff, v3
	v_lshlrev_b32_e32 v3, 24, v3
	s_delay_alu instid0(VALU_DEP_2) | instskip(NEXT) | instid1(VALU_DEP_2)
	v_and_b32_e32 v5, 7, v4
	v_and_b32_e32 v3, 0x80000000, v3
	s_delay_alu instid0(VALU_DEP_2) | instskip(NEXT) | instid1(VALU_DEP_1)
	v_clz_i32_u32_e32 v6, v5
	v_min_u32_e32 v6, 32, v6
	s_delay_alu instid0(VALU_DEP_1) | instskip(SKIP_1) | instid1(VALU_DEP_2)
	v_subrev_nc_u32_e32 v7, 28, v6
	v_sub_nc_u32_e32 v6, 29, v6
	v_lshlrev_b32_e32 v7, v7, v4
	v_bfe_u32 v4, v4, 3, 4
	s_delay_alu instid0(VALU_DEP_2) | instskip(NEXT) | instid1(VALU_DEP_2)
	v_and_b32_e32 v7, 7, v7
	v_cmp_eq_u32_e32 vcc_lo, 0, v4
	s_delay_alu instid0(VALU_DEP_2) | instskip(NEXT) | instid1(VALU_DEP_1)
	v_dual_cndmask_b32 v4, v4, v6 :: v_dual_cndmask_b32 v5, v5, v7
	v_lshl_add_u32 v4, v4, 23, 0x3b800000
	s_delay_alu instid0(VALU_DEP_2) | instskip(NEXT) | instid1(VALU_DEP_1)
	v_lshlrev_b32_e32 v5, 20, v5
	v_or3_b32 v3, v3, v4, v5
	s_delay_alu instid0(VALU_DEP_1)
	v_cvt_f64_f32_e32 v[43:44], v3
.LBB11_44:
	s_or_b32 exec_lo, exec_lo, s0
.LBB11_45:
	s_mov_b32 s0, -1
.LBB11_46:
	s_branch .LBB11_79
.LBB11_47:
	v_cmp_lt_i16_e32 vcc_lo, 22, v2
	s_cbranch_vccz .LBB11_59
; %bb.48:
	v_cmp_gt_i16_e32 vcc_lo, 24, v2
	s_cbranch_vccnz .LBB11_60
; %bb.49:
	v_cmp_lt_i16_e32 vcc_lo, 24, v2
	s_cbranch_vccz .LBB11_61
; %bb.50:
	global_load_u8 v3, v[0:1], off
	s_mov_b32 s2, 0
	s_mov_b32 s3, exec_lo
                                        ; implicit-def: $sgpr0_sgpr1
	s_waitcnt vmcnt(0)
	v_cmpx_lt_i16_e32 0x7f, v3
	s_xor_b32 s3, exec_lo, s3
	s_cbranch_execz .LBB11_54
; %bb.51:
	s_mov_b32 s4, -1
	s_mov_b32 s2, exec_lo
                                        ; implicit-def: $sgpr0_sgpr1
	v_cmpx_eq_u16_e32 0x80, v3
; %bb.52:
	s_mov_b32 s1, 0x7ff80000
	s_brev_b32 s0, 4
	s_xor_b32 s4, exec_lo, -1
; %bb.53:
	s_or_b32 exec_lo, exec_lo, s2
	s_delay_alu instid0(SALU_CYCLE_1)
	s_and_b32 s2, s4, exec_lo
.LBB11_54:
	s_or_saveexec_b32 s3, s3
	v_dual_mov_b32 v44, s1 :: v_dual_mov_b32 v43, s0
	s_xor_b32 exec_lo, exec_lo, s3
; %bb.55:
	v_cmp_ne_u16_e32 vcc_lo, 0, v3
	v_mov_b32_e32 v43, 0
	v_mov_b32_e32 v44, 0
	s_and_not1_b32 s0, s2, exec_lo
	s_and_b32 s1, vcc_lo, exec_lo
	s_delay_alu instid0(SALU_CYCLE_1)
	s_or_b32 s2, s0, s1
; %bb.56:
	s_or_b32 exec_lo, exec_lo, s3
	s_and_saveexec_b32 s0, s2
	s_cbranch_execz .LBB11_58
; %bb.57:
	v_and_b32_e32 v4, 0xffff, v3
	v_lshlrev_b32_e32 v3, 24, v3
	s_delay_alu instid0(VALU_DEP_2) | instskip(NEXT) | instid1(VALU_DEP_2)
	v_and_b32_e32 v5, 3, v4
	v_and_b32_e32 v3, 0x80000000, v3
	s_delay_alu instid0(VALU_DEP_2) | instskip(NEXT) | instid1(VALU_DEP_1)
	v_clz_i32_u32_e32 v6, v5
	v_min_u32_e32 v6, 32, v6
	s_delay_alu instid0(VALU_DEP_1) | instskip(SKIP_1) | instid1(VALU_DEP_2)
	v_subrev_nc_u32_e32 v7, 29, v6
	v_sub_nc_u32_e32 v6, 30, v6
	v_lshlrev_b32_e32 v7, v7, v4
	v_bfe_u32 v4, v4, 2, 5
	s_delay_alu instid0(VALU_DEP_2) | instskip(NEXT) | instid1(VALU_DEP_2)
	v_and_b32_e32 v7, 3, v7
	v_cmp_eq_u32_e32 vcc_lo, 0, v4
	s_delay_alu instid0(VALU_DEP_2) | instskip(NEXT) | instid1(VALU_DEP_1)
	v_dual_cndmask_b32 v4, v4, v6 :: v_dual_cndmask_b32 v5, v5, v7
	v_lshl_add_u32 v4, v4, 23, 0x37800000
	s_delay_alu instid0(VALU_DEP_2) | instskip(NEXT) | instid1(VALU_DEP_1)
	v_lshlrev_b32_e32 v5, 21, v5
	v_or3_b32 v3, v3, v4, v5
	s_delay_alu instid0(VALU_DEP_1)
	v_cvt_f64_f32_e32 v[43:44], v3
.LBB11_58:
	s_or_b32 exec_lo, exec_lo, s0
	s_mov_b32 s0, 0
	s_branch .LBB11_62
.LBB11_59:
	s_mov_b32 s1, -1
                                        ; implicit-def: $vgpr43_vgpr44
	s_branch .LBB11_68
.LBB11_60:
	s_mov_b32 s0, -1
                                        ; implicit-def: $vgpr43_vgpr44
	s_branch .LBB11_65
.LBB11_61:
	s_mov_b32 s0, -1
                                        ; implicit-def: $vgpr43_vgpr44
.LBB11_62:
	s_delay_alu instid0(SALU_CYCLE_1)
	s_and_b32 vcc_lo, exec_lo, s0
	s_cbranch_vccz .LBB11_64
; %bb.63:
	global_load_u8 v3, v[0:1], off
	s_waitcnt vmcnt(0)
	v_lshlrev_b32_e32 v3, 24, v3
	s_delay_alu instid0(VALU_DEP_1) | instskip(NEXT) | instid1(VALU_DEP_1)
	v_and_b32_e32 v4, 0x7f000000, v3
	v_clz_i32_u32_e32 v5, v4
	v_add_nc_u32_e32 v7, 0x1000000, v4
	v_cmp_ne_u32_e32 vcc_lo, 0, v4
	s_delay_alu instid0(VALU_DEP_3) | instskip(NEXT) | instid1(VALU_DEP_1)
	v_min_u32_e32 v5, 32, v5
	v_sub_nc_u32_e64 v5, v5, 4 clamp
	s_delay_alu instid0(VALU_DEP_1) | instskip(SKIP_1) | instid1(VALU_DEP_2)
	v_lshlrev_b32_e32 v6, v5, v4
	v_lshlrev_b32_e32 v5, 23, v5
	v_lshrrev_b32_e32 v6, 4, v6
	s_delay_alu instid0(VALU_DEP_1) | instskip(SKIP_1) | instid1(VALU_DEP_2)
	v_sub_nc_u32_e32 v5, v6, v5
	v_ashrrev_i32_e32 v6, 8, v7
	v_add_nc_u32_e32 v5, 0x3c000000, v5
	s_delay_alu instid0(VALU_DEP_1) | instskip(NEXT) | instid1(VALU_DEP_1)
	v_and_or_b32 v5, 0x7f800000, v6, v5
	v_cndmask_b32_e32 v4, 0, v5, vcc_lo
	s_delay_alu instid0(VALU_DEP_1) | instskip(NEXT) | instid1(VALU_DEP_1)
	v_and_or_b32 v3, 0x80000000, v3, v4
	v_cvt_f64_f32_e32 v[43:44], v3
.LBB11_64:
	s_mov_b32 s0, 0
.LBB11_65:
	s_delay_alu instid0(SALU_CYCLE_1)
	s_and_not1_b32 vcc_lo, exec_lo, s0
	s_cbranch_vccnz .LBB11_67
; %bb.66:
	global_load_u8 v3, v[0:1], off
	s_waitcnt vmcnt(0)
	v_lshlrev_b32_e32 v4, 25, v3
	v_lshlrev_b16 v3, 8, v3
	s_delay_alu instid0(VALU_DEP_2) | instskip(NEXT) | instid1(VALU_DEP_2)
	v_lshrrev_b32_e32 v5, 4, v4
	v_and_or_b32 v6, 0x7f00, v3, 0.5
	v_bfe_i32 v3, v3, 0, 16
	s_delay_alu instid0(VALU_DEP_3) | instskip(NEXT) | instid1(VALU_DEP_1)
	v_or_b32_e32 v5, 0x70000000, v5
	v_dual_add_f32 v6, -0.5, v6 :: v_dual_mul_f32 v5, 0x7800000, v5
	v_cmp_gt_u32_e32 vcc_lo, 0x8000000, v4
	s_delay_alu instid0(VALU_DEP_2) | instskip(NEXT) | instid1(VALU_DEP_1)
	v_cndmask_b32_e32 v4, v5, v6, vcc_lo
	v_and_or_b32 v3, 0x80000000, v3, v4
	s_delay_alu instid0(VALU_DEP_1)
	v_cvt_f64_f32_e32 v[43:44], v3
.LBB11_67:
	s_mov_b32 s1, 0
	s_mov_b32 s0, -1
.LBB11_68:
	s_and_not1_b32 vcc_lo, exec_lo, s1
	s_cbranch_vccnz .LBB11_79
; %bb.69:
	v_cmp_lt_i16_e32 vcc_lo, 14, v2
	s_cbranch_vccz .LBB11_72
; %bb.70:
	v_cmp_eq_u16_e32 vcc_lo, 15, v2
	s_cbranch_vccz .LBB11_73
; %bb.71:
	global_load_u16 v3, v[0:1], off
	s_mov_b32 s0, -1
	s_mov_b32 s62, 0
	s_waitcnt vmcnt(0)
	v_lshlrev_b32_e32 v3, 16, v3
	s_delay_alu instid0(VALU_DEP_1)
	v_cvt_f64_f32_e32 v[43:44], v3
	s_branch .LBB11_74
.LBB11_72:
	s_mov_b32 s1, -1
                                        ; implicit-def: $vgpr43_vgpr44
	s_branch .LBB11_75
.LBB11_73:
	s_mov_b32 s62, -1
                                        ; implicit-def: $vgpr43_vgpr44
.LBB11_74:
	s_mov_b32 s1, 0
.LBB11_75:
	s_delay_alu instid0(SALU_CYCLE_1)
	s_and_b32 vcc_lo, exec_lo, s1
	s_cbranch_vccz .LBB11_79
; %bb.76:
	v_cmp_eq_u16_e32 vcc_lo, 11, v2
	s_cbranch_vccz .LBB11_78
; %bb.77:
	global_load_u8 v3, v[0:1], off
	v_mov_b32_e32 v43, 0
	s_mov_b32 s62, 0
	s_mov_b32 s0, -1
	s_waitcnt vmcnt(0)
	v_cmp_ne_u16_e32 vcc_lo, 0, v3
	v_cndmask_b32_e64 v44, 0, 0x3ff00000, vcc_lo
	s_branch .LBB11_79
.LBB11_78:
	s_mov_b32 s62, -1
                                        ; implicit-def: $vgpr43_vgpr44
.LBB11_79:
	s_branch .LBB11_10
.LBB11_80:
	v_cmp_gt_i16_e32 vcc_lo, 5, v2
	s_cbranch_vccnz .LBB11_85
; %bb.81:
	v_cmp_gt_i16_e32 vcc_lo, 8, v2
	s_cbranch_vccnz .LBB11_86
; %bb.82:
	v_cmp_gt_i16_e32 vcc_lo, 9, v2
	s_cbranch_vccnz .LBB11_87
; %bb.83:
	v_cmp_lt_i16_e32 vcc_lo, 9, v2
	s_cbranch_vccz .LBB11_88
; %bb.84:
	global_load_b64 v[43:44], v[0:1], off
	s_mov_b32 s0, 0
	s_branch .LBB11_89
.LBB11_85:
                                        ; implicit-def: $vgpr43_vgpr44
	s_branch .LBB11_107
.LBB11_86:
	s_mov_b32 s0, -1
                                        ; implicit-def: $vgpr43_vgpr44
	s_branch .LBB11_95
.LBB11_87:
	s_mov_b32 s0, -1
                                        ; implicit-def: $vgpr43_vgpr44
	s_branch .LBB11_92
.LBB11_88:
	s_mov_b32 s0, -1
                                        ; implicit-def: $vgpr43_vgpr44
.LBB11_89:
	s_delay_alu instid0(SALU_CYCLE_1)
	s_and_not1_b32 vcc_lo, exec_lo, s0
	s_cbranch_vccnz .LBB11_91
; %bb.90:
	global_load_b32 v3, v[0:1], off
	s_waitcnt vmcnt(0)
	v_cvt_f64_f32_e32 v[43:44], v3
.LBB11_91:
	s_mov_b32 s0, 0
.LBB11_92:
	s_delay_alu instid0(SALU_CYCLE_1)
	s_and_not1_b32 vcc_lo, exec_lo, s0
	s_cbranch_vccnz .LBB11_94
; %bb.93:
	global_load_b32 v3, v[0:1], off
	s_waitcnt vmcnt(0)
	v_cvt_f32_f16_e32 v3, v3
	s_delay_alu instid0(VALU_DEP_1)
	v_cvt_f64_f32_e32 v[43:44], v3
.LBB11_94:
	s_mov_b32 s0, 0
.LBB11_95:
	s_delay_alu instid0(SALU_CYCLE_1)
	s_and_not1_b32 vcc_lo, exec_lo, s0
	s_cbranch_vccnz .LBB11_106
; %bb.96:
	v_cmp_gt_i16_e32 vcc_lo, 6, v2
	s_cbranch_vccnz .LBB11_99
; %bb.97:
	v_cmp_lt_i16_e32 vcc_lo, 6, v2
	s_cbranch_vccz .LBB11_100
; %bb.98:
	global_load_b64 v[43:44], v[0:1], off
	s_mov_b32 s0, 0
	s_branch .LBB11_101
.LBB11_99:
	s_mov_b32 s0, -1
                                        ; implicit-def: $vgpr43_vgpr44
	s_branch .LBB11_104
.LBB11_100:
	s_mov_b32 s0, -1
                                        ; implicit-def: $vgpr43_vgpr44
.LBB11_101:
	s_delay_alu instid0(SALU_CYCLE_1)
	s_and_not1_b32 vcc_lo, exec_lo, s0
	s_cbranch_vccnz .LBB11_103
; %bb.102:
	global_load_b32 v3, v[0:1], off
	s_waitcnt vmcnt(0)
	v_cvt_f64_f32_e32 v[43:44], v3
.LBB11_103:
	s_mov_b32 s0, 0
.LBB11_104:
	s_delay_alu instid0(SALU_CYCLE_1)
	s_and_not1_b32 vcc_lo, exec_lo, s0
	s_cbranch_vccnz .LBB11_106
; %bb.105:
	global_load_u16 v3, v[0:1], off
	s_waitcnt vmcnt(0)
	v_cvt_f32_f16_e32 v3, v3
	s_delay_alu instid0(VALU_DEP_1)
	v_cvt_f64_f32_e32 v[43:44], v3
.LBB11_106:
	s_cbranch_execnz .LBB11_126
.LBB11_107:
	v_cmp_gt_i16_e32 vcc_lo, 2, v2
	s_cbranch_vccnz .LBB11_111
; %bb.108:
	v_cmp_gt_i16_e32 vcc_lo, 3, v2
	s_cbranch_vccnz .LBB11_112
; %bb.109:
	v_cmp_lt_i16_e32 vcc_lo, 3, v2
	s_cbranch_vccz .LBB11_113
; %bb.110:
	global_load_b64 v[3:4], v[0:1], off
	s_mov_b32 s0, 0
	s_waitcnt vmcnt(0)
	v_cvt_f64_i32_e32 v[4:5], v4
	v_cvt_f64_u32_e32 v[6:7], v3
	s_delay_alu instid0(VALU_DEP_2) | instskip(NEXT) | instid1(VALU_DEP_1)
	v_ldexp_f64 v[4:5], v[4:5], 32
	v_add_f64 v[43:44], v[4:5], v[6:7]
	s_branch .LBB11_114
.LBB11_111:
	s_mov_b32 s0, -1
                                        ; implicit-def: $vgpr43_vgpr44
	s_branch .LBB11_120
.LBB11_112:
	s_mov_b32 s0, -1
                                        ; implicit-def: $vgpr43_vgpr44
	s_branch .LBB11_117
.LBB11_113:
	s_mov_b32 s0, -1
                                        ; implicit-def: $vgpr43_vgpr44
.LBB11_114:
	s_delay_alu instid0(SALU_CYCLE_1)
	s_and_not1_b32 vcc_lo, exec_lo, s0
	s_cbranch_vccnz .LBB11_116
; %bb.115:
	global_load_b32 v3, v[0:1], off
	s_waitcnt vmcnt(0)
	v_cvt_f64_i32_e32 v[43:44], v3
.LBB11_116:
	s_mov_b32 s0, 0
.LBB11_117:
	s_delay_alu instid0(SALU_CYCLE_1)
	s_and_not1_b32 vcc_lo, exec_lo, s0
	s_cbranch_vccnz .LBB11_119
; %bb.118:
	global_load_i16 v3, v[0:1], off
	s_waitcnt vmcnt(0)
	v_cvt_f64_i32_e32 v[43:44], v3
.LBB11_119:
	s_mov_b32 s0, 0
.LBB11_120:
	s_delay_alu instid0(SALU_CYCLE_1)
	s_and_not1_b32 vcc_lo, exec_lo, s0
	s_cbranch_vccnz .LBB11_126
; %bb.121:
	v_cmp_lt_i16_e32 vcc_lo, 0, v2
	s_mov_b32 s0, 0
	s_cbranch_vccz .LBB11_123
; %bb.122:
	global_load_i8 v2, v[0:1], off
	s_waitcnt vmcnt(0)
	v_cvt_f64_i32_e32 v[43:44], v2
	s_branch .LBB11_124
.LBB11_123:
	s_mov_b32 s0, -1
                                        ; implicit-def: $vgpr43_vgpr44
.LBB11_124:
	s_delay_alu instid0(SALU_CYCLE_1)
	s_and_not1_b32 vcc_lo, exec_lo, s0
	s_cbranch_vccnz .LBB11_126
; %bb.125:
	global_load_u8 v0, v[0:1], off
	s_waitcnt vmcnt(0)
	v_cvt_f64_u32_e32 v[43:44], v0
.LBB11_126:
.LBB11_127:
	v_mul_lo_u32 v0, v47, s50
	v_cmp_lt_i16_e64 s0, s51, 11
	s_delay_alu instid0(VALU_DEP_2) | instskip(SKIP_1) | instid1(VALU_DEP_2)
	v_ashrrev_i32_e32 v1, 31, v0
	v_add_co_u32 v0, vcc_lo, s52, v0
	v_add_co_ci_u32_e32 v1, vcc_lo, s53, v1, vcc_lo
	s_delay_alu instid0(VALU_DEP_4)
	s_and_b32 vcc_lo, exec_lo, s0
	s_cbranch_vccnz .LBB11_134
; %bb.128:
	v_cmp_gt_i16_e64 s0, s51, 25
	s_delay_alu instid0(VALU_DEP_1)
	s_and_b32 vcc_lo, exec_lo, s0
	s_cbranch_vccz .LBB11_138
; %bb.129:
	v_cmp_gt_i16_e64 s0, s51, 28
	s_delay_alu instid0(VALU_DEP_1)
	s_and_b32 vcc_lo, exec_lo, s0
	s_cbranch_vccz .LBB11_150
	;; [unrolled: 5-line block ×4, first 2 shown]
; %bb.132:
	v_cmp_eq_u16_e64 s0, s51, 46
	s_mov_b32 s1, 0
	s_delay_alu instid0(VALU_DEP_1)
	s_and_b32 vcc_lo, exec_lo, s0
	s_cbranch_vccz .LBB11_156
; %bb.133:
	global_load_b32 v2, v[0:1], off
	s_mov_b32 s0, -1
	s_waitcnt vmcnt(0)
	v_lshlrev_b32_e32 v2, 16, v2
	s_delay_alu instid0(VALU_DEP_1)
	v_cvt_f64_f32_e32 v[45:46], v2
	s_branch .LBB11_158
.LBB11_134:
	s_mov_b32 s0, 0
                                        ; implicit-def: $vgpr45_vgpr46
	s_cbranch_execnz .LBB11_334
.LBB11_135:
	s_and_not1_b32 vcc_lo, exec_lo, s0
	s_cbranch_vccnz .LBB11_382
.LBB11_136:
	s_and_b32 vcc_lo, exec_lo, s58
	s_cbranch_vccz .LBB11_139
; %bb.137:
	s_waitcnt vmcnt(0)
	v_dual_mov_b32 v0, v43 :: v_dual_mov_b32 v1, v44
	s_delay_alu instid0(VALU_DEP_2) | instskip(SKIP_3) | instid1(SALU_CYCLE_1)
	v_dual_mov_b32 v2, v45 :: v_dual_mov_b32 v3, v46
	s_getpc_b64 s[0:1]
	s_add_u32 s0, s0, _ZN12_GLOBAL__N_111calc_igammaIdEET_S1_S1_@rel32@lo+4
	s_addc_u32 s1, s1, _ZN12_GLOBAL__N_111calc_igammaIdEET_S1_S1_@rel32@hi+12
	s_swappc_b64 s[30:31], s[0:1]
	s_mov_b32 s0, 0
	s_branch .LBB11_140
.LBB11_138:
	s_mov_b32 s1, -1
	s_mov_b32 s0, 0
                                        ; implicit-def: $vgpr45_vgpr46
	s_branch .LBB11_300
.LBB11_139:
	s_mov_b32 s0, -1
                                        ; implicit-def: $vgpr0_vgpr1
.LBB11_140:
	s_delay_alu instid0(SALU_CYCLE_1)
	s_and_not1_b32 vcc_lo, exec_lo, s0
	s_cbranch_vccnz .LBB11_142
; %bb.141:
	s_waitcnt vmcnt(0)
	v_dual_mov_b32 v0, v43 :: v_dual_mov_b32 v1, v44
	s_delay_alu instid0(VALU_DEP_2) | instskip(SKIP_3) | instid1(SALU_CYCLE_1)
	v_dual_mov_b32 v2, v45 :: v_dual_mov_b32 v3, v46
	s_getpc_b64 s[0:1]
	s_add_u32 s0, s0, _ZN12_GLOBAL__N_112calc_igammacIdEET_S1_S1_@rel32@lo+4
	s_addc_u32 s1, s1, _ZN12_GLOBAL__N_112calc_igammacIdEET_S1_S1_@rel32@hi+12
	s_swappc_b64 s[30:31], s[0:1]
.LBB11_142:
	v_mul_lo_u32 v2, v47, s48
	v_and_b32_e64 v6, 0xff, s43
	s_delay_alu instid0(VALU_DEP_1) | instskip(NEXT) | instid1(VALU_DEP_3)
	v_cmp_gt_i16_e32 vcc_lo, 11, v6
	v_ashrrev_i32_e32 v3, 31, v2
	v_add_co_u32 v4, s0, s44, v2
	s_delay_alu instid0(VALU_DEP_1)
	v_add_co_ci_u32_e64 v5, s0, s45, v3, s0
	s_cbranch_vccnz .LBB11_149
; %bb.143:
	v_cmp_lt_i16_e32 vcc_lo, 25, v6
	s_cbranch_vccz .LBB11_151
; %bb.144:
	v_cmp_lt_i16_e32 vcc_lo, 28, v6
	s_cbranch_vccz .LBB11_153
	;; [unrolled: 3-line block ×4, first 2 shown]
; %bb.147:
	v_cmp_eq_u16_e32 vcc_lo, 46, v6
	s_mov_b32 s2, 0
	s_mov_b32 s0, -1
	s_mov_b32 s1, 0
	s_cbranch_vccz .LBB11_162
; %bb.148:
	v_cvt_f32_f64_e32 v2, v[0:1]
	s_mov_b32 s1, -1
	s_mov_b32 s0, 0
	s_delay_alu instid0(VALU_DEP_1) | instskip(SKIP_1) | instid1(VALU_DEP_2)
	v_bfe_u32 v3, v2, 16, 1
	v_cmp_o_f32_e32 vcc_lo, v2, v2
	v_add3_u32 v3, v2, v3, 0x7fff
	s_delay_alu instid0(VALU_DEP_1) | instskip(NEXT) | instid1(VALU_DEP_1)
	v_lshrrev_b32_e32 v3, 16, v3
	v_cndmask_b32_e32 v2, 0x7fc0, v3, vcc_lo
	global_store_b32 v[4:5], v2, off
	s_branch .LBB11_162
.LBB11_149:
	s_mov_b32 s2, -1
	s_mov_b32 s0, 0
	s_mov_b32 s1, 0
	s_branch .LBB11_231
.LBB11_150:
	s_mov_b32 s1, -1
	s_mov_b32 s0, 0
                                        ; implicit-def: $vgpr45_vgpr46
	s_branch .LBB11_279
.LBB11_151:
	s_mov_b32 s2, -1
	s_mov_b32 s0, 0
	s_mov_b32 s1, 0
	s_branch .LBB11_189
.LBB11_152:
	s_mov_b32 s1, -1
	s_mov_b32 s0, 0
                                        ; implicit-def: $vgpr45_vgpr46
	s_branch .LBB11_274
.LBB11_153:
	s_mov_b32 s2, -1
	s_mov_b32 s0, 0
	s_mov_b32 s1, 0
	s_branch .LBB11_172
.LBB11_154:
	s_mov_b32 s1, -1
	s_branch .LBB11_157
.LBB11_155:
	s_mov_b32 s2, -1
	s_mov_b32 s0, 0
	s_mov_b32 s1, 0
	s_branch .LBB11_168
.LBB11_156:
	s_mov_b32 s61, -1
.LBB11_157:
	s_mov_b32 s0, 0
                                        ; implicit-def: $vgpr45_vgpr46
.LBB11_158:
	s_and_b32 vcc_lo, exec_lo, s1
	s_cbranch_vccz .LBB11_273
; %bb.159:
	v_cmp_eq_u16_e64 s1, s51, 44
	s_delay_alu instid0(VALU_DEP_1)
	s_and_b32 vcc_lo, exec_lo, s1
	s_cbranch_vccz .LBB11_272
; %bb.160:
	global_load_u8 v4, v[0:1], off
	s_mov_b32 s61, 0
	s_mov_b32 s0, -1
	s_waitcnt vmcnt(0)
	v_cmp_ne_u32_e32 vcc_lo, 0xff, v4
	v_lshlrev_b32_e32 v2, 23, v4
	s_delay_alu instid0(VALU_DEP_1) | instskip(NEXT) | instid1(VALU_DEP_1)
	v_cvt_f64_f32_e32 v[2:3], v2
	v_cndmask_b32_e32 v3, 0x7ff80000, v3, vcc_lo
	s_delay_alu instid0(VALU_DEP_2) | instskip(SKIP_1) | instid1(VALU_DEP_3)
	v_cndmask_b32_e32 v2, 0x20000000, v2, vcc_lo
	v_cmp_ne_u32_e32 vcc_lo, 0, v4
	v_cndmask_b32_e32 v46, 0x38000000, v3, vcc_lo
	s_delay_alu instid0(VALU_DEP_3)
	v_cndmask_b32_e32 v45, 0, v2, vcc_lo
	s_branch .LBB11_273
.LBB11_161:
	s_mov_b32 s2, -1
	s_mov_b32 s0, 0
	s_mov_b32 s1, 0
.LBB11_162:
	s_and_b32 vcc_lo, exec_lo, s2
	s_cbranch_vccz .LBB11_167
; %bb.163:
	v_cmp_eq_u16_e32 vcc_lo, 44, v6
	s_mov_b32 s0, -1
	s_cbranch_vccz .LBB11_167
; %bb.164:
	v_cvt_f32_f64_e32 v2, v[0:1]
	v_mov_b32_e32 v3, 0xff
	s_mov_b32 s1, exec_lo
	s_delay_alu instid0(VALU_DEP_2) | instskip(NEXT) | instid1(VALU_DEP_1)
	v_bfe_u32 v7, v2, 23, 8
	v_cmpx_ne_u32_e32 0xff, v7
; %bb.165:
	v_and_b32_e32 v3, 0x400000, v2
	v_and_or_b32 v7, 0x3fffff, v2, v7
	v_lshrrev_b32_e32 v2, 23, v2
	s_delay_alu instid0(VALU_DEP_3) | instskip(NEXT) | instid1(VALU_DEP_3)
	v_cmp_ne_u32_e32 vcc_lo, 0, v3
	v_cmp_ne_u32_e64 s0, 0, v7
	s_delay_alu instid0(VALU_DEP_1) | instskip(NEXT) | instid1(SALU_CYCLE_1)
	s_and_b32 s0, vcc_lo, s0
	v_cndmask_b32_e64 v3, 0, 1, s0
	s_delay_alu instid0(VALU_DEP_1)
	v_add_nc_u32_e32 v3, v2, v3
; %bb.166:
	s_or_b32 exec_lo, exec_lo, s1
	s_mov_b32 s1, -1
	s_mov_b32 s0, 0
	global_store_b8 v[4:5], v3, off
.LBB11_167:
	s_mov_b32 s2, 0
.LBB11_168:
	s_delay_alu instid0(SALU_CYCLE_1)
	s_and_b32 vcc_lo, exec_lo, s2
	s_cbranch_vccz .LBB11_171
; %bb.169:
	v_cmp_eq_u16_e32 vcc_lo, 29, v6
	s_mov_b32 s0, -1
	s_cbranch_vccz .LBB11_171
; %bb.170:
	v_trunc_f64_e32 v[2:3], v[0:1]
	s_mov_b32 s1, -1
	s_mov_b32 s0, 0
	s_mov_b32 s2, 0
	s_delay_alu instid0(VALU_DEP_1) | instskip(NEXT) | instid1(VALU_DEP_1)
	v_ldexp_f64 v[7:8], v[2:3], 0xffffffe0
	v_floor_f64_e32 v[7:8], v[7:8]
	s_delay_alu instid0(VALU_DEP_1) | instskip(SKIP_1) | instid1(VALU_DEP_2)
	v_fma_f64 v[2:3], 0xc1f00000, v[7:8], v[2:3]
	v_cvt_u32_f64_e32 v8, v[7:8]
	v_cvt_u32_f64_e32 v7, v[2:3]
	global_store_b64 v[4:5], v[7:8], off
	s_branch .LBB11_172
.LBB11_171:
	s_mov_b32 s2, 0
.LBB11_172:
	s_delay_alu instid0(SALU_CYCLE_1)
	s_and_b32 vcc_lo, exec_lo, s2
	s_cbranch_vccz .LBB11_188
; %bb.173:
	v_cmp_gt_i16_e32 vcc_lo, 27, v6
	s_mov_b32 s1, -1
	s_cbranch_vccnz .LBB11_179
; %bb.174:
	v_cmp_lt_i16_e32 vcc_lo, 27, v6
	s_cbranch_vccz .LBB11_176
; %bb.175:
	v_cvt_u32_f64_e32 v2, v[0:1]
	s_mov_b32 s1, 0
	global_store_b32 v[4:5], v2, off
.LBB11_176:
	s_and_not1_b32 vcc_lo, exec_lo, s1
	s_cbranch_vccnz .LBB11_178
; %bb.177:
	v_cvt_u32_f64_e32 v2, v[0:1]
	global_store_b16 v[4:5], v2, off
.LBB11_178:
	s_mov_b32 s1, 0
.LBB11_179:
	s_delay_alu instid0(SALU_CYCLE_1)
	s_and_not1_b32 vcc_lo, exec_lo, s1
	s_cbranch_vccnz .LBB11_187
; %bb.180:
	v_cvt_f32_f64_e32 v2, v[0:1]
	v_mov_b32_e32 v7, 0x80
	s_mov_b32 s1, exec_lo
	s_delay_alu instid0(VALU_DEP_2) | instskip(NEXT) | instid1(VALU_DEP_1)
	v_and_b32_e32 v3, 0x7fffffff, v2
	v_cmpx_gt_u32_e32 0x43800000, v3
	s_cbranch_execz .LBB11_186
; %bb.181:
	v_cmp_lt_u32_e32 vcc_lo, 0x3bffffff, v3
	s_mov_b32 s2, 0
                                        ; implicit-def: $vgpr3
	s_and_saveexec_b32 s3, vcc_lo
	s_delay_alu instid0(SALU_CYCLE_1)
	s_xor_b32 s3, exec_lo, s3
	s_cbranch_execz .LBB11_411
; %bb.182:
	v_bfe_u32 v3, v2, 20, 1
	s_mov_b32 s2, exec_lo
	s_delay_alu instid0(VALU_DEP_1) | instskip(NEXT) | instid1(VALU_DEP_1)
	v_add3_u32 v3, v2, v3, 0x487ffff
	v_lshrrev_b32_e32 v3, 20, v3
	s_or_saveexec_b32 s3, s3
                                        ; implicit-def: $sgpr4
	s_delay_alu instid0(SALU_CYCLE_1)
	s_xor_b32 exec_lo, exec_lo, s3
	s_cbranch_execnz .LBB11_412
.LBB11_183:
	s_or_b32 exec_lo, exec_lo, s3
	v_mov_b32_e32 v7, s4
	s_and_saveexec_b32 s3, s2
.LBB11_184:
	v_lshrrev_b32_e32 v2, 24, v2
	s_delay_alu instid0(VALU_DEP_1)
	v_and_or_b32 v7, 0x80, v2, v3
.LBB11_185:
	s_or_b32 exec_lo, exec_lo, s3
.LBB11_186:
	s_delay_alu instid0(SALU_CYCLE_1)
	s_or_b32 exec_lo, exec_lo, s1
	global_store_b8 v[4:5], v7, off
.LBB11_187:
	s_mov_b32 s1, -1
.LBB11_188:
	s_mov_b32 s2, 0
.LBB11_189:
	s_delay_alu instid0(SALU_CYCLE_1)
	s_and_b32 vcc_lo, exec_lo, s2
	s_cbranch_vccz .LBB11_230
; %bb.190:
	v_cmp_lt_i16_e32 vcc_lo, 22, v6
	s_mov_b32 s2, -1
	s_cbranch_vccz .LBB11_222
; %bb.191:
	v_cmp_gt_i16_e32 vcc_lo, 24, v6
	s_mov_b32 s1, -1
	s_cbranch_vccnz .LBB11_211
; %bb.192:
	v_cmp_lt_i16_e32 vcc_lo, 24, v6
	s_cbranch_vccz .LBB11_200
; %bb.193:
	v_cvt_f32_f64_e32 v2, v[0:1]
	v_mov_b32_e32 v7, 0x80
	s_mov_b32 s1, exec_lo
	s_delay_alu instid0(VALU_DEP_2) | instskip(NEXT) | instid1(VALU_DEP_1)
	v_and_b32_e32 v3, 0x7fffffff, v2
	v_cmpx_gt_u32_e32 0x47800000, v3
	s_cbranch_execz .LBB11_199
; %bb.194:
	v_cmp_lt_u32_e32 vcc_lo, 0x37ffffff, v3
	s_mov_b32 s2, 0
                                        ; implicit-def: $vgpr3
	s_and_saveexec_b32 s3, vcc_lo
	s_delay_alu instid0(SALU_CYCLE_1)
	s_xor_b32 s3, exec_lo, s3
	s_cbranch_execz .LBB11_530
; %bb.195:
	v_bfe_u32 v3, v2, 21, 1
	s_mov_b32 s2, exec_lo
	s_delay_alu instid0(VALU_DEP_1) | instskip(NEXT) | instid1(VALU_DEP_1)
	v_add3_u32 v3, v2, v3, 0x88fffff
	v_lshrrev_b32_e32 v3, 21, v3
	s_or_saveexec_b32 s3, s3
                                        ; implicit-def: $sgpr4
	s_delay_alu instid0(SALU_CYCLE_1)
	s_xor_b32 exec_lo, exec_lo, s3
	s_cbranch_execnz .LBB11_531
.LBB11_196:
	s_or_b32 exec_lo, exec_lo, s3
	v_mov_b32_e32 v7, s4
	s_and_saveexec_b32 s3, s2
.LBB11_197:
	v_lshrrev_b32_e32 v2, 24, v2
	s_delay_alu instid0(VALU_DEP_1)
	v_and_or_b32 v7, 0x80, v2, v3
.LBB11_198:
	s_or_b32 exec_lo, exec_lo, s3
.LBB11_199:
	s_delay_alu instid0(SALU_CYCLE_1)
	s_or_b32 exec_lo, exec_lo, s1
	s_mov_b32 s1, 0
	global_store_b8 v[4:5], v7, off
.LBB11_200:
	s_and_b32 vcc_lo, exec_lo, s1
	s_cbranch_vccz .LBB11_210
; %bb.201:
	v_cvt_f32_f64_e32 v2, v[0:1]
	s_mov_b32 s1, exec_lo
                                        ; implicit-def: $vgpr3
	s_delay_alu instid0(VALU_DEP_1) | instskip(NEXT) | instid1(VALU_DEP_1)
	v_and_b32_e32 v7, 0x7fffffff, v2
	v_cmpx_gt_u32_e32 0x43f00000, v7
	s_xor_b32 s1, exec_lo, s1
	s_cbranch_execz .LBB11_207
; %bb.202:
	s_mov_b32 s2, exec_lo
                                        ; implicit-def: $vgpr3
	v_cmpx_lt_u32_e32 0x3c7fffff, v7
	s_xor_b32 s2, exec_lo, s2
; %bb.203:
	v_bfe_u32 v3, v2, 20, 1
	s_delay_alu instid0(VALU_DEP_1) | instskip(NEXT) | instid1(VALU_DEP_1)
	v_add3_u32 v3, v2, v3, 0x407ffff
	v_and_b32_e32 v7, 0xff00000, v3
	v_lshrrev_b32_e32 v3, 20, v3
	s_delay_alu instid0(VALU_DEP_2) | instskip(NEXT) | instid1(VALU_DEP_2)
	v_cmp_ne_u32_e32 vcc_lo, 0x7f00000, v7
	v_cndmask_b32_e32 v3, 0x7e, v3, vcc_lo
; %bb.204:
	s_and_not1_saveexec_b32 s2, s2
; %bb.205:
	v_add_f32_e64 v3, 0x46800000, |v2|
; %bb.206:
	s_or_b32 exec_lo, exec_lo, s2
                                        ; implicit-def: $vgpr7
.LBB11_207:
	s_and_not1_saveexec_b32 s1, s1
; %bb.208:
	v_mov_b32_e32 v3, 0x7f
	v_cmp_lt_u32_e32 vcc_lo, 0x7f800000, v7
	s_delay_alu instid0(VALU_DEP_2)
	v_cndmask_b32_e32 v3, 0x7e, v3, vcc_lo
; %bb.209:
	s_or_b32 exec_lo, exec_lo, s1
	v_lshrrev_b32_e32 v2, 24, v2
	s_delay_alu instid0(VALU_DEP_1)
	v_and_or_b32 v2, 0x80, v2, v3
	global_store_b8 v[4:5], v2, off
.LBB11_210:
	s_mov_b32 s1, 0
.LBB11_211:
	s_delay_alu instid0(SALU_CYCLE_1)
	s_and_not1_b32 vcc_lo, exec_lo, s1
	s_cbranch_vccnz .LBB11_221
; %bb.212:
	v_cvt_f32_f64_e32 v2, v[0:1]
	s_mov_b32 s1, exec_lo
                                        ; implicit-def: $vgpr3
	s_delay_alu instid0(VALU_DEP_1) | instskip(NEXT) | instid1(VALU_DEP_1)
	v_and_b32_e32 v7, 0x7fffffff, v2
	v_cmpx_gt_u32_e32 0x47800000, v7
	s_xor_b32 s1, exec_lo, s1
	s_cbranch_execz .LBB11_218
; %bb.213:
	s_mov_b32 s2, exec_lo
                                        ; implicit-def: $vgpr3
	v_cmpx_lt_u32_e32 0x387fffff, v7
	s_xor_b32 s2, exec_lo, s2
; %bb.214:
	v_bfe_u32 v3, v2, 21, 1
	s_delay_alu instid0(VALU_DEP_1) | instskip(NEXT) | instid1(VALU_DEP_1)
	v_add3_u32 v3, v2, v3, 0x80fffff
	v_lshrrev_b32_e32 v3, 21, v3
; %bb.215:
	s_and_not1_saveexec_b32 s2, s2
; %bb.216:
	v_add_f32_e64 v3, 0x43000000, |v2|
; %bb.217:
	s_or_b32 exec_lo, exec_lo, s2
                                        ; implicit-def: $vgpr7
.LBB11_218:
	s_and_not1_saveexec_b32 s1, s1
; %bb.219:
	v_mov_b32_e32 v3, 0x7f
	v_cmp_lt_u32_e32 vcc_lo, 0x7f800000, v7
	s_delay_alu instid0(VALU_DEP_2)
	v_cndmask_b32_e32 v3, 0x7c, v3, vcc_lo
; %bb.220:
	s_or_b32 exec_lo, exec_lo, s1
	v_lshrrev_b32_e32 v2, 24, v2
	s_delay_alu instid0(VALU_DEP_1)
	v_and_or_b32 v2, 0x80, v2, v3
	global_store_b8 v[4:5], v2, off
.LBB11_221:
	s_mov_b32 s2, 0
	s_mov_b32 s1, -1
.LBB11_222:
	s_and_not1_b32 vcc_lo, exec_lo, s2
	s_cbranch_vccnz .LBB11_230
; %bb.223:
	v_cmp_lt_i16_e32 vcc_lo, 14, v6
	s_mov_b32 s2, -1
	s_cbranch_vccz .LBB11_227
; %bb.224:
	v_cmp_eq_u16_e32 vcc_lo, 15, v6
	s_mov_b32 s0, -1
	s_cbranch_vccz .LBB11_226
; %bb.225:
	v_cvt_f32_f64_e32 v2, v[0:1]
	s_mov_b32 s1, -1
	s_mov_b32 s0, 0
	s_delay_alu instid0(VALU_DEP_1) | instskip(SKIP_1) | instid1(VALU_DEP_2)
	v_bfe_u32 v3, v2, 16, 1
	v_cmp_o_f32_e32 vcc_lo, v2, v2
	v_add3_u32 v3, v2, v3, 0x7fff
	s_delay_alu instid0(VALU_DEP_1) | instskip(NEXT) | instid1(VALU_DEP_1)
	v_lshrrev_b32_e32 v3, 16, v3
	v_cndmask_b32_e32 v2, 0x7fc0, v3, vcc_lo
	global_store_b16 v[4:5], v2, off
.LBB11_226:
	s_mov_b32 s2, 0
.LBB11_227:
	s_delay_alu instid0(SALU_CYCLE_1)
	s_and_b32 vcc_lo, exec_lo, s2
	s_cbranch_vccz .LBB11_230
; %bb.228:
	v_cmp_eq_u16_e32 vcc_lo, 11, v6
	s_mov_b32 s0, -1
	s_cbranch_vccz .LBB11_230
; %bb.229:
	v_cmp_neq_f64_e32 vcc_lo, 0, v[0:1]
	s_mov_b32 s1, -1
	s_mov_b32 s0, 0
	v_cndmask_b32_e64 v2, 0, 1, vcc_lo
	global_store_b8 v[4:5], v2, off
.LBB11_230:
	s_mov_b32 s2, 0
.LBB11_231:
	s_delay_alu instid0(SALU_CYCLE_1)
	s_and_b32 vcc_lo, exec_lo, s2
	s_cbranch_vccz .LBB11_270
; %bb.232:
	v_cmp_gt_i16_e32 vcc_lo, 5, v6
	s_mov_b32 s1, -1
	s_cbranch_vccnz .LBB11_253
; %bb.233:
	v_cmp_gt_i16_e32 vcc_lo, 8, v6
	s_cbranch_vccnz .LBB11_243
; %bb.234:
	v_cmp_gt_i16_e32 vcc_lo, 9, v6
	s_cbranch_vccnz .LBB11_240
; %bb.235:
	v_cmp_lt_i16_e32 vcc_lo, 9, v6
	s_cbranch_vccz .LBB11_237
; %bb.236:
	v_mov_b32_e32 v2, 0
	s_mov_b32 s1, 0
	s_delay_alu instid0(VALU_DEP_1)
	v_mov_b32_e32 v3, v2
	global_store_b128 v[4:5], v[0:3], off
.LBB11_237:
	s_and_not1_b32 vcc_lo, exec_lo, s1
	s_cbranch_vccnz .LBB11_239
; %bb.238:
	v_cvt_f32_f64_e32 v2, v[0:1]
	v_mov_b32_e32 v3, 0
	global_store_b64 v[4:5], v[2:3], off
.LBB11_239:
	s_mov_b32 s1, 0
.LBB11_240:
	s_delay_alu instid0(SALU_CYCLE_1)
	s_and_not1_b32 vcc_lo, exec_lo, s1
	s_cbranch_vccnz .LBB11_242
; %bb.241:
	v_cvt_f32_f64_e32 v2, v[0:1]
	s_delay_alu instid0(VALU_DEP_1) | instskip(NEXT) | instid1(VALU_DEP_1)
	v_cvt_f16_f32_e32 v2, v2
	v_and_b32_e32 v2, 0xffff, v2
	global_store_b32 v[4:5], v2, off
.LBB11_242:
	s_mov_b32 s1, 0
.LBB11_243:
	s_delay_alu instid0(SALU_CYCLE_1)
	s_and_not1_b32 vcc_lo, exec_lo, s1
	s_cbranch_vccnz .LBB11_252
; %bb.244:
	v_cmp_gt_i16_e32 vcc_lo, 6, v6
	s_mov_b32 s1, -1
	s_cbranch_vccnz .LBB11_250
; %bb.245:
	v_cmp_lt_i16_e32 vcc_lo, 6, v6
	s_cbranch_vccz .LBB11_247
; %bb.246:
	s_mov_b32 s1, 0
	global_store_b64 v[4:5], v[0:1], off
.LBB11_247:
	s_and_not1_b32 vcc_lo, exec_lo, s1
	s_cbranch_vccnz .LBB11_249
; %bb.248:
	v_cvt_f32_f64_e32 v2, v[0:1]
	global_store_b32 v[4:5], v2, off
.LBB11_249:
	s_mov_b32 s1, 0
.LBB11_250:
	s_delay_alu instid0(SALU_CYCLE_1)
	s_and_not1_b32 vcc_lo, exec_lo, s1
	s_cbranch_vccnz .LBB11_252
; %bb.251:
	v_cvt_f32_f64_e32 v2, v[0:1]
	s_delay_alu instid0(VALU_DEP_1)
	v_cvt_f16_f32_e32 v2, v2
	global_store_b16 v[4:5], v2, off
.LBB11_252:
	s_mov_b32 s1, 0
.LBB11_253:
	s_delay_alu instid0(SALU_CYCLE_1)
	s_and_not1_b32 vcc_lo, exec_lo, s1
	s_cbranch_vccnz .LBB11_269
; %bb.254:
	v_cmp_gt_i16_e32 vcc_lo, 2, v6
	s_mov_b32 s1, -1
	s_cbranch_vccnz .LBB11_264
; %bb.255:
	v_cmp_gt_i16_e32 vcc_lo, 3, v6
	s_cbranch_vccnz .LBB11_261
; %bb.256:
	v_cmp_lt_i16_e32 vcc_lo, 3, v6
	s_cbranch_vccz .LBB11_258
; %bb.257:
	v_trunc_f64_e32 v[2:3], v[0:1]
	s_mov_b32 s1, 0
	s_delay_alu instid0(VALU_DEP_1) | instskip(NEXT) | instid1(VALU_DEP_1)
	v_ldexp_f64 v[7:8], v[2:3], 0xffffffe0
	v_floor_f64_e32 v[7:8], v[7:8]
	s_delay_alu instid0(VALU_DEP_1) | instskip(SKIP_1) | instid1(VALU_DEP_2)
	v_fma_f64 v[2:3], 0xc1f00000, v[7:8], v[2:3]
	v_cvt_i32_f64_e32 v8, v[7:8]
	v_cvt_u32_f64_e32 v7, v[2:3]
	global_store_b64 v[4:5], v[7:8], off
.LBB11_258:
	s_and_not1_b32 vcc_lo, exec_lo, s1
	s_cbranch_vccnz .LBB11_260
; %bb.259:
	v_cvt_i32_f64_e32 v2, v[0:1]
	global_store_b32 v[4:5], v2, off
.LBB11_260:
	s_mov_b32 s1, 0
.LBB11_261:
	s_delay_alu instid0(SALU_CYCLE_1)
	s_and_not1_b32 vcc_lo, exec_lo, s1
	s_cbranch_vccnz .LBB11_263
; %bb.262:
	v_cvt_i32_f64_e32 v2, v[0:1]
	global_store_b16 v[4:5], v2, off
.LBB11_263:
	s_mov_b32 s1, 0
.LBB11_264:
	s_delay_alu instid0(SALU_CYCLE_1)
	s_and_not1_b32 vcc_lo, exec_lo, s1
	s_cbranch_vccnz .LBB11_269
; %bb.265:
	v_cmp_lt_i16_e32 vcc_lo, 0, v6
	s_mov_b32 s1, -1
	s_cbranch_vccz .LBB11_267
; %bb.266:
	v_cvt_i32_f64_e32 v2, v[0:1]
	s_mov_b32 s1, 0
	global_store_b8 v[4:5], v2, off
.LBB11_267:
	s_and_not1_b32 vcc_lo, exec_lo, s1
	s_cbranch_vccnz .LBB11_269
; %bb.268:
	v_trunc_f64_e32 v[0:1], v[0:1]
	s_delay_alu instid0(VALU_DEP_1) | instskip(NEXT) | instid1(VALU_DEP_1)
	v_ldexp_f64 v[2:3], v[0:1], 0xffffffe0
	v_floor_f64_e32 v[2:3], v[2:3]
	s_delay_alu instid0(VALU_DEP_1) | instskip(NEXT) | instid1(VALU_DEP_1)
	v_fma_f64 v[0:1], 0xc1f00000, v[2:3], v[0:1]
	v_cvt_u32_f64_e32 v0, v[0:1]
	global_store_b8 v[4:5], v0, off
.LBB11_269:
	s_mov_b32 s1, -1
.LBB11_270:
	s_delay_alu instid0(SALU_CYCLE_1)
	s_and_not1_b32 vcc_lo, exec_lo, s1
	s_cbranch_vccnz .LBB11_383
; %bb.271:
	v_add_nc_u32_e32 v47, 0x80, v47
	s_mov_b32 s1, -1
	s_branch .LBB11_384
.LBB11_272:
	s_mov_b32 s61, -1
                                        ; implicit-def: $vgpr45_vgpr46
.LBB11_273:
	s_mov_b32 s1, 0
.LBB11_274:
	s_delay_alu instid0(SALU_CYCLE_1)
	s_and_b32 vcc_lo, exec_lo, s1
	s_cbranch_vccz .LBB11_278
; %bb.275:
	v_cmp_eq_u16_e64 s1, s51, 29
	s_delay_alu instid0(VALU_DEP_1)
	s_and_b32 vcc_lo, exec_lo, s1
	s_cbranch_vccz .LBB11_277
; %bb.276:
	global_load_b64 v[2:3], v[0:1], off
	s_mov_b32 s0, -1
	s_mov_b32 s61, 0
	s_mov_b32 s1, 0
	s_waitcnt vmcnt(0)
	v_cvt_f64_u32_e32 v[3:4], v3
	v_cvt_f64_u32_e32 v[5:6], v2
	s_delay_alu instid0(VALU_DEP_2) | instskip(NEXT) | instid1(VALU_DEP_1)
	v_ldexp_f64 v[3:4], v[3:4], 32
	v_add_f64 v[45:46], v[3:4], v[5:6]
	s_branch .LBB11_279
.LBB11_277:
	s_mov_b32 s61, -1
                                        ; implicit-def: $vgpr45_vgpr46
.LBB11_278:
	s_mov_b32 s1, 0
.LBB11_279:
	s_delay_alu instid0(SALU_CYCLE_1)
	s_and_b32 vcc_lo, exec_lo, s1
	s_cbranch_vccz .LBB11_299
; %bb.280:
	v_cmp_lt_i16_e64 s0, s51, 27
	s_delay_alu instid0(VALU_DEP_1)
	s_and_b32 vcc_lo, exec_lo, s0
	s_cbranch_vccnz .LBB11_283
; %bb.281:
	v_cmp_gt_i16_e64 s0, s51, 27
	s_delay_alu instid0(VALU_DEP_1)
	s_and_b32 vcc_lo, exec_lo, s0
	s_cbranch_vccz .LBB11_284
; %bb.282:
	global_load_b32 v2, v[0:1], off
	s_mov_b32 s0, 0
	s_waitcnt vmcnt(0)
	v_cvt_f64_u32_e32 v[45:46], v2
	s_branch .LBB11_285
.LBB11_283:
	s_mov_b32 s0, -1
                                        ; implicit-def: $vgpr45_vgpr46
	s_branch .LBB11_288
.LBB11_284:
	s_mov_b32 s0, -1
                                        ; implicit-def: $vgpr45_vgpr46
.LBB11_285:
	s_delay_alu instid0(SALU_CYCLE_1)
	s_and_not1_b32 vcc_lo, exec_lo, s0
	s_cbranch_vccnz .LBB11_287
; %bb.286:
	global_load_u16 v2, v[0:1], off
	s_waitcnt vmcnt(0)
	v_cvt_f64_u32_e32 v[45:46], v2
.LBB11_287:
	s_mov_b32 s0, 0
.LBB11_288:
	s_delay_alu instid0(SALU_CYCLE_1)
	s_and_not1_b32 vcc_lo, exec_lo, s0
	s_cbranch_vccnz .LBB11_298
; %bb.289:
	global_load_u8 v2, v[0:1], off
	s_mov_b32 s2, 0
	s_mov_b32 s3, exec_lo
                                        ; implicit-def: $sgpr0_sgpr1
	s_waitcnt vmcnt(0)
	v_cmpx_lt_i16_e32 0x7f, v2
	s_xor_b32 s3, exec_lo, s3
	s_cbranch_execz .LBB11_293
; %bb.290:
	s_mov_b32 s4, -1
	s_mov_b32 s2, exec_lo
                                        ; implicit-def: $sgpr0_sgpr1
	v_cmpx_eq_u16_e32 0x80, v2
; %bb.291:
	s_mov_b32 s1, 0x7ff80000
	s_brev_b32 s0, 4
	s_xor_b32 s4, exec_lo, -1
; %bb.292:
	s_or_b32 exec_lo, exec_lo, s2
	s_delay_alu instid0(SALU_CYCLE_1)
	s_and_b32 s2, s4, exec_lo
.LBB11_293:
	s_or_saveexec_b32 s3, s3
	v_dual_mov_b32 v46, s1 :: v_dual_mov_b32 v45, s0
	s_xor_b32 exec_lo, exec_lo, s3
; %bb.294:
	v_cmp_ne_u16_e32 vcc_lo, 0, v2
	v_mov_b32_e32 v45, 0
	v_mov_b32_e32 v46, 0
	s_and_not1_b32 s0, s2, exec_lo
	s_and_b32 s1, vcc_lo, exec_lo
	s_delay_alu instid0(SALU_CYCLE_1)
	s_or_b32 s2, s0, s1
; %bb.295:
	s_or_b32 exec_lo, exec_lo, s3
	s_and_saveexec_b32 s0, s2
	s_cbranch_execz .LBB11_297
; %bb.296:
	v_and_b32_e32 v3, 0xffff, v2
	v_lshlrev_b32_e32 v2, 24, v2
	s_delay_alu instid0(VALU_DEP_2) | instskip(NEXT) | instid1(VALU_DEP_2)
	v_and_b32_e32 v4, 7, v3
	v_and_b32_e32 v2, 0x80000000, v2
	s_delay_alu instid0(VALU_DEP_2) | instskip(NEXT) | instid1(VALU_DEP_1)
	v_clz_i32_u32_e32 v5, v4
	v_min_u32_e32 v5, 32, v5
	s_delay_alu instid0(VALU_DEP_1) | instskip(SKIP_1) | instid1(VALU_DEP_2)
	v_subrev_nc_u32_e32 v6, 28, v5
	v_sub_nc_u32_e32 v5, 29, v5
	v_lshlrev_b32_e32 v6, v6, v3
	v_bfe_u32 v3, v3, 3, 4
	s_delay_alu instid0(VALU_DEP_2) | instskip(NEXT) | instid1(VALU_DEP_2)
	v_and_b32_e32 v6, 7, v6
	v_cmp_eq_u32_e32 vcc_lo, 0, v3
	s_delay_alu instid0(VALU_DEP_2) | instskip(NEXT) | instid1(VALU_DEP_1)
	v_dual_cndmask_b32 v3, v3, v5 :: v_dual_cndmask_b32 v4, v4, v6
	v_lshl_add_u32 v3, v3, 23, 0x3b800000
	s_delay_alu instid0(VALU_DEP_2) | instskip(NEXT) | instid1(VALU_DEP_1)
	v_lshlrev_b32_e32 v4, 20, v4
	v_or3_b32 v2, v2, v3, v4
	s_delay_alu instid0(VALU_DEP_1)
	v_cvt_f64_f32_e32 v[45:46], v2
.LBB11_297:
	s_or_b32 exec_lo, exec_lo, s0
.LBB11_298:
	s_mov_b32 s0, -1
.LBB11_299:
	s_mov_b32 s1, 0
.LBB11_300:
	s_delay_alu instid0(SALU_CYCLE_1)
	s_and_b32 vcc_lo, exec_lo, s1
	s_cbranch_vccz .LBB11_333
; %bb.301:
	v_cmp_gt_i16_e64 s1, s51, 22
	s_delay_alu instid0(VALU_DEP_1)
	s_and_b32 vcc_lo, exec_lo, s1
	s_cbranch_vccz .LBB11_313
; %bb.302:
	v_cmp_lt_i16_e64 s0, s51, 24
	s_delay_alu instid0(VALU_DEP_1)
	s_and_b32 vcc_lo, exec_lo, s0
	s_cbranch_vccnz .LBB11_314
; %bb.303:
	v_cmp_gt_i16_e64 s0, s51, 24
	s_delay_alu instid0(VALU_DEP_1)
	s_and_b32 vcc_lo, exec_lo, s0
	s_cbranch_vccz .LBB11_315
; %bb.304:
	global_load_u8 v2, v[0:1], off
	s_mov_b32 s2, 0
	s_mov_b32 s3, exec_lo
                                        ; implicit-def: $sgpr0_sgpr1
	s_waitcnt vmcnt(0)
	v_cmpx_lt_i16_e32 0x7f, v2
	s_xor_b32 s3, exec_lo, s3
	s_cbranch_execz .LBB11_308
; %bb.305:
	s_mov_b32 s4, -1
	s_mov_b32 s2, exec_lo
                                        ; implicit-def: $sgpr0_sgpr1
	v_cmpx_eq_u16_e32 0x80, v2
; %bb.306:
	s_mov_b32 s1, 0x7ff80000
	s_brev_b32 s0, 4
	s_xor_b32 s4, exec_lo, -1
; %bb.307:
	s_or_b32 exec_lo, exec_lo, s2
	s_delay_alu instid0(SALU_CYCLE_1)
	s_and_b32 s2, s4, exec_lo
.LBB11_308:
	s_or_saveexec_b32 s3, s3
	v_dual_mov_b32 v46, s1 :: v_dual_mov_b32 v45, s0
	s_xor_b32 exec_lo, exec_lo, s3
; %bb.309:
	v_cmp_ne_u16_e32 vcc_lo, 0, v2
	v_mov_b32_e32 v45, 0
	v_mov_b32_e32 v46, 0
	s_and_not1_b32 s0, s2, exec_lo
	s_and_b32 s1, vcc_lo, exec_lo
	s_delay_alu instid0(SALU_CYCLE_1)
	s_or_b32 s2, s0, s1
; %bb.310:
	s_or_b32 exec_lo, exec_lo, s3
	s_and_saveexec_b32 s0, s2
	s_cbranch_execz .LBB11_312
; %bb.311:
	v_and_b32_e32 v3, 0xffff, v2
	v_lshlrev_b32_e32 v2, 24, v2
	s_delay_alu instid0(VALU_DEP_2) | instskip(NEXT) | instid1(VALU_DEP_2)
	v_and_b32_e32 v4, 3, v3
	v_and_b32_e32 v2, 0x80000000, v2
	s_delay_alu instid0(VALU_DEP_2) | instskip(NEXT) | instid1(VALU_DEP_1)
	v_clz_i32_u32_e32 v5, v4
	v_min_u32_e32 v5, 32, v5
	s_delay_alu instid0(VALU_DEP_1) | instskip(SKIP_1) | instid1(VALU_DEP_2)
	v_subrev_nc_u32_e32 v6, 29, v5
	v_sub_nc_u32_e32 v5, 30, v5
	v_lshlrev_b32_e32 v6, v6, v3
	v_bfe_u32 v3, v3, 2, 5
	s_delay_alu instid0(VALU_DEP_2) | instskip(NEXT) | instid1(VALU_DEP_2)
	v_and_b32_e32 v6, 3, v6
	v_cmp_eq_u32_e32 vcc_lo, 0, v3
	s_delay_alu instid0(VALU_DEP_2) | instskip(NEXT) | instid1(VALU_DEP_1)
	v_dual_cndmask_b32 v3, v3, v5 :: v_dual_cndmask_b32 v4, v4, v6
	v_lshl_add_u32 v3, v3, 23, 0x37800000
	s_delay_alu instid0(VALU_DEP_2) | instskip(NEXT) | instid1(VALU_DEP_1)
	v_lshlrev_b32_e32 v4, 21, v4
	v_or3_b32 v2, v2, v3, v4
	s_delay_alu instid0(VALU_DEP_1)
	v_cvt_f64_f32_e32 v[45:46], v2
.LBB11_312:
	s_or_b32 exec_lo, exec_lo, s0
	s_mov_b32 s0, 0
	s_branch .LBB11_316
.LBB11_313:
	s_mov_b32 s1, -1
                                        ; implicit-def: $vgpr45_vgpr46
	s_branch .LBB11_322
.LBB11_314:
	s_mov_b32 s0, -1
                                        ; implicit-def: $vgpr45_vgpr46
	s_branch .LBB11_319
.LBB11_315:
	s_mov_b32 s0, -1
                                        ; implicit-def: $vgpr45_vgpr46
.LBB11_316:
	s_delay_alu instid0(SALU_CYCLE_1)
	s_and_b32 vcc_lo, exec_lo, s0
	s_cbranch_vccz .LBB11_318
; %bb.317:
	global_load_u8 v2, v[0:1], off
	s_waitcnt vmcnt(0)
	v_lshlrev_b32_e32 v2, 24, v2
	s_delay_alu instid0(VALU_DEP_1) | instskip(NEXT) | instid1(VALU_DEP_1)
	v_and_b32_e32 v3, 0x7f000000, v2
	v_clz_i32_u32_e32 v4, v3
	v_add_nc_u32_e32 v6, 0x1000000, v3
	v_cmp_ne_u32_e32 vcc_lo, 0, v3
	s_delay_alu instid0(VALU_DEP_3) | instskip(NEXT) | instid1(VALU_DEP_1)
	v_min_u32_e32 v4, 32, v4
	v_sub_nc_u32_e64 v4, v4, 4 clamp
	s_delay_alu instid0(VALU_DEP_1) | instskip(SKIP_1) | instid1(VALU_DEP_2)
	v_lshlrev_b32_e32 v5, v4, v3
	v_lshlrev_b32_e32 v4, 23, v4
	v_lshrrev_b32_e32 v5, 4, v5
	s_delay_alu instid0(VALU_DEP_1) | instskip(SKIP_1) | instid1(VALU_DEP_2)
	v_sub_nc_u32_e32 v4, v5, v4
	v_ashrrev_i32_e32 v5, 8, v6
	v_add_nc_u32_e32 v4, 0x3c000000, v4
	s_delay_alu instid0(VALU_DEP_1) | instskip(NEXT) | instid1(VALU_DEP_1)
	v_and_or_b32 v4, 0x7f800000, v5, v4
	v_cndmask_b32_e32 v3, 0, v4, vcc_lo
	s_delay_alu instid0(VALU_DEP_1) | instskip(NEXT) | instid1(VALU_DEP_1)
	v_and_or_b32 v2, 0x80000000, v2, v3
	v_cvt_f64_f32_e32 v[45:46], v2
.LBB11_318:
	s_mov_b32 s0, 0
.LBB11_319:
	s_delay_alu instid0(SALU_CYCLE_1)
	s_and_not1_b32 vcc_lo, exec_lo, s0
	s_cbranch_vccnz .LBB11_321
; %bb.320:
	global_load_u8 v2, v[0:1], off
	s_waitcnt vmcnt(0)
	v_lshlrev_b32_e32 v3, 25, v2
	v_lshlrev_b16 v2, 8, v2
	s_delay_alu instid0(VALU_DEP_2) | instskip(NEXT) | instid1(VALU_DEP_2)
	v_lshrrev_b32_e32 v4, 4, v3
	v_and_or_b32 v5, 0x7f00, v2, 0.5
	v_bfe_i32 v2, v2, 0, 16
	s_delay_alu instid0(VALU_DEP_3) | instskip(NEXT) | instid1(VALU_DEP_1)
	v_or_b32_e32 v4, 0x70000000, v4
	v_dual_add_f32 v5, -0.5, v5 :: v_dual_mul_f32 v4, 0x7800000, v4
	v_cmp_gt_u32_e32 vcc_lo, 0x8000000, v3
	s_delay_alu instid0(VALU_DEP_2) | instskip(NEXT) | instid1(VALU_DEP_1)
	v_cndmask_b32_e32 v3, v4, v5, vcc_lo
	v_and_or_b32 v2, 0x80000000, v2, v3
	s_delay_alu instid0(VALU_DEP_1)
	v_cvt_f64_f32_e32 v[45:46], v2
.LBB11_321:
	s_mov_b32 s1, 0
	s_mov_b32 s0, -1
.LBB11_322:
	s_and_not1_b32 vcc_lo, exec_lo, s1
	s_cbranch_vccnz .LBB11_333
; %bb.323:
	v_cmp_gt_i16_e64 s1, s51, 14
	s_delay_alu instid0(VALU_DEP_1)
	s_and_b32 vcc_lo, exec_lo, s1
	s_cbranch_vccz .LBB11_326
; %bb.324:
	v_cmp_eq_u16_e64 s1, s51, 15
	s_delay_alu instid0(VALU_DEP_1)
	s_and_b32 vcc_lo, exec_lo, s1
	s_cbranch_vccz .LBB11_327
; %bb.325:
	global_load_u16 v2, v[0:1], off
	s_mov_b32 s0, -1
	s_mov_b32 s61, 0
	s_waitcnt vmcnt(0)
	v_lshlrev_b32_e32 v2, 16, v2
	s_delay_alu instid0(VALU_DEP_1)
	v_cvt_f64_f32_e32 v[45:46], v2
	s_branch .LBB11_328
.LBB11_326:
	s_mov_b32 s1, -1
                                        ; implicit-def: $vgpr45_vgpr46
	s_branch .LBB11_329
.LBB11_327:
	s_mov_b32 s61, -1
                                        ; implicit-def: $vgpr45_vgpr46
.LBB11_328:
	s_mov_b32 s1, 0
.LBB11_329:
	s_delay_alu instid0(SALU_CYCLE_1)
	s_and_b32 vcc_lo, exec_lo, s1
	s_cbranch_vccz .LBB11_333
; %bb.330:
	v_cmp_eq_u16_e64 s1, s51, 11
	s_delay_alu instid0(VALU_DEP_1)
	s_and_b32 vcc_lo, exec_lo, s1
	s_cbranch_vccz .LBB11_332
; %bb.331:
	global_load_u8 v2, v[0:1], off
	v_mov_b32_e32 v45, 0
	s_mov_b32 s61, 0
	s_mov_b32 s0, -1
	s_waitcnt vmcnt(0)
	v_cmp_ne_u16_e32 vcc_lo, 0, v2
	v_cndmask_b32_e64 v46, 0, 0x3ff00000, vcc_lo
	s_branch .LBB11_333
.LBB11_332:
	s_mov_b32 s61, -1
                                        ; implicit-def: $vgpr45_vgpr46
.LBB11_333:
	s_branch .LBB11_135
.LBB11_334:
	v_cmp_lt_i16_e64 s0, s51, 5
	s_delay_alu instid0(VALU_DEP_1)
	s_and_b32 vcc_lo, exec_lo, s0
	s_cbranch_vccnz .LBB11_339
; %bb.335:
	v_cmp_lt_i16_e64 s0, s51, 8
	s_delay_alu instid0(VALU_DEP_1)
	s_and_b32 vcc_lo, exec_lo, s0
	s_cbranch_vccnz .LBB11_340
; %bb.336:
	;; [unrolled: 5-line block ×3, first 2 shown]
	v_cmp_gt_i16_e64 s0, s51, 9
	s_delay_alu instid0(VALU_DEP_1)
	s_and_b32 vcc_lo, exec_lo, s0
	s_cbranch_vccz .LBB11_342
; %bb.338:
	global_load_b64 v[45:46], v[0:1], off
	s_mov_b32 s0, 0
	s_branch .LBB11_343
.LBB11_339:
	s_mov_b32 s0, -1
                                        ; implicit-def: $vgpr45_vgpr46
	s_branch .LBB11_361
.LBB11_340:
	s_mov_b32 s0, -1
                                        ; implicit-def: $vgpr45_vgpr46
	s_branch .LBB11_349
.LBB11_341:
	s_mov_b32 s0, -1
                                        ; implicit-def: $vgpr45_vgpr46
	s_branch .LBB11_346
.LBB11_342:
	s_mov_b32 s0, -1
                                        ; implicit-def: $vgpr45_vgpr46
.LBB11_343:
	s_delay_alu instid0(SALU_CYCLE_1)
	s_and_not1_b32 vcc_lo, exec_lo, s0
	s_cbranch_vccnz .LBB11_345
; %bb.344:
	global_load_b32 v2, v[0:1], off
	s_waitcnt vmcnt(0)
	v_cvt_f64_f32_e32 v[45:46], v2
.LBB11_345:
	s_mov_b32 s0, 0
.LBB11_346:
	s_delay_alu instid0(SALU_CYCLE_1)
	s_and_not1_b32 vcc_lo, exec_lo, s0
	s_cbranch_vccnz .LBB11_348
; %bb.347:
	global_load_b32 v2, v[0:1], off
	s_waitcnt vmcnt(0)
	v_cvt_f32_f16_e32 v2, v2
	s_delay_alu instid0(VALU_DEP_1)
	v_cvt_f64_f32_e32 v[45:46], v2
.LBB11_348:
	s_mov_b32 s0, 0
.LBB11_349:
	s_delay_alu instid0(SALU_CYCLE_1)
	s_and_not1_b32 vcc_lo, exec_lo, s0
	s_cbranch_vccnz .LBB11_360
; %bb.350:
	v_cmp_lt_i16_e64 s0, s51, 6
	s_delay_alu instid0(VALU_DEP_1)
	s_and_b32 vcc_lo, exec_lo, s0
	s_cbranch_vccnz .LBB11_353
; %bb.351:
	v_cmp_gt_i16_e64 s0, s51, 6
	s_delay_alu instid0(VALU_DEP_1)
	s_and_b32 vcc_lo, exec_lo, s0
	s_cbranch_vccz .LBB11_354
; %bb.352:
	global_load_b64 v[45:46], v[0:1], off
	s_mov_b32 s0, 0
	s_branch .LBB11_355
.LBB11_353:
	s_mov_b32 s0, -1
                                        ; implicit-def: $vgpr45_vgpr46
	s_branch .LBB11_358
.LBB11_354:
	s_mov_b32 s0, -1
                                        ; implicit-def: $vgpr45_vgpr46
.LBB11_355:
	s_delay_alu instid0(SALU_CYCLE_1)
	s_and_not1_b32 vcc_lo, exec_lo, s0
	s_cbranch_vccnz .LBB11_357
; %bb.356:
	global_load_b32 v2, v[0:1], off
	s_waitcnt vmcnt(0)
	v_cvt_f64_f32_e32 v[45:46], v2
.LBB11_357:
	s_mov_b32 s0, 0
.LBB11_358:
	s_delay_alu instid0(SALU_CYCLE_1)
	s_and_not1_b32 vcc_lo, exec_lo, s0
	s_cbranch_vccnz .LBB11_360
; %bb.359:
	global_load_u16 v2, v[0:1], off
	s_waitcnt vmcnt(0)
	v_cvt_f32_f16_e32 v2, v2
	s_delay_alu instid0(VALU_DEP_1)
	v_cvt_f64_f32_e32 v[45:46], v2
.LBB11_360:
	s_mov_b32 s0, 0
.LBB11_361:
	s_delay_alu instid0(SALU_CYCLE_1)
	s_and_not1_b32 vcc_lo, exec_lo, s0
	s_cbranch_vccnz .LBB11_381
; %bb.362:
	v_cmp_lt_i16_e64 s0, s51, 2
	s_delay_alu instid0(VALU_DEP_1)
	s_and_b32 vcc_lo, exec_lo, s0
	s_cbranch_vccnz .LBB11_366
; %bb.363:
	v_cmp_lt_i16_e64 s0, s51, 3
	s_delay_alu instid0(VALU_DEP_1)
	s_and_b32 vcc_lo, exec_lo, s0
	s_cbranch_vccnz .LBB11_367
; %bb.364:
	v_cmp_gt_i16_e64 s0, s51, 3
	s_delay_alu instid0(VALU_DEP_1)
	s_and_b32 vcc_lo, exec_lo, s0
	s_cbranch_vccz .LBB11_368
; %bb.365:
	global_load_b64 v[2:3], v[0:1], off
	s_mov_b32 s0, 0
	s_waitcnt vmcnt(0)
	v_cvt_f64_i32_e32 v[3:4], v3
	v_cvt_f64_u32_e32 v[5:6], v2
	s_delay_alu instid0(VALU_DEP_2) | instskip(NEXT) | instid1(VALU_DEP_1)
	v_ldexp_f64 v[3:4], v[3:4], 32
	v_add_f64 v[45:46], v[3:4], v[5:6]
	s_branch .LBB11_369
.LBB11_366:
	s_mov_b32 s0, -1
                                        ; implicit-def: $vgpr45_vgpr46
	s_branch .LBB11_375
.LBB11_367:
	s_mov_b32 s0, -1
                                        ; implicit-def: $vgpr45_vgpr46
	s_branch .LBB11_372
.LBB11_368:
	s_mov_b32 s0, -1
                                        ; implicit-def: $vgpr45_vgpr46
.LBB11_369:
	s_delay_alu instid0(SALU_CYCLE_1)
	s_and_not1_b32 vcc_lo, exec_lo, s0
	s_cbranch_vccnz .LBB11_371
; %bb.370:
	global_load_b32 v2, v[0:1], off
	s_waitcnt vmcnt(0)
	v_cvt_f64_i32_e32 v[45:46], v2
.LBB11_371:
	s_mov_b32 s0, 0
.LBB11_372:
	s_delay_alu instid0(SALU_CYCLE_1)
	s_and_not1_b32 vcc_lo, exec_lo, s0
	s_cbranch_vccnz .LBB11_374
; %bb.373:
	global_load_i16 v2, v[0:1], off
	s_waitcnt vmcnt(0)
	v_cvt_f64_i32_e32 v[45:46], v2
.LBB11_374:
	s_mov_b32 s0, 0
.LBB11_375:
	s_delay_alu instid0(SALU_CYCLE_1)
	s_and_not1_b32 vcc_lo, exec_lo, s0
	s_cbranch_vccnz .LBB11_381
; %bb.376:
	v_cmp_gt_i16_e64 s0, s51, 0
	s_delay_alu instid0(VALU_DEP_1)
	s_and_b32 vcc_lo, exec_lo, s0
	s_mov_b32 s0, 0
	s_cbranch_vccz .LBB11_378
; %bb.377:
	global_load_i8 v2, v[0:1], off
	s_waitcnt vmcnt(0)
	v_cvt_f64_i32_e32 v[45:46], v2
	s_branch .LBB11_379
.LBB11_378:
	s_mov_b32 s0, -1
                                        ; implicit-def: $vgpr45_vgpr46
.LBB11_379:
	s_delay_alu instid0(SALU_CYCLE_1)
	s_and_not1_b32 vcc_lo, exec_lo, s0
	s_cbranch_vccnz .LBB11_381
; %bb.380:
	global_load_u8 v0, v[0:1], off
	s_waitcnt vmcnt(0)
	v_cvt_f64_u32_e32 v[45:46], v0
.LBB11_381:
	s_branch .LBB11_136
.LBB11_382:
	s_mov_b32 s0, 0
.LBB11_383:
	s_mov_b32 s1, 0
                                        ; implicit-def: $vgpr47
.LBB11_384:
	s_and_b32 s60, s0, exec_lo
	s_and_b32 s61, s61, exec_lo
	;; [unrolled: 1-line block ×3, first 2 shown]
	s_or_not1_b32 s1, s1, exec_lo
.LBB11_385:
	s_or_b32 exec_lo, exec_lo, s63
	s_mov_b32 s2, 0
	s_mov_b32 s0, 0
                                        ; implicit-def: $vgpr2
                                        ; implicit-def: $vgpr0_vgpr1
                                        ; implicit-def: $vgpr43_vgpr44
	s_and_saveexec_b32 s63, s1
	s_cbranch_execz .LBB11_1261
; %bb.386:
	s_mov_b32 s2, -1
	s_mov_b32 s64, s62
	s_mov_b32 s66, s61
	;; [unrolled: 1-line block ×3, first 2 shown]
	s_mov_b32 s67, exec_lo
	v_cmpx_gt_i32_e64 s59, v47
	s_cbranch_execz .LBB11_780
; %bb.387:
	v_mul_lo_u32 v0, v47, s49
	v_and_b32_e64 v2, 0xff, s56
	s_delay_alu instid0(VALU_DEP_1) | instskip(NEXT) | instid1(VALU_DEP_3)
	v_cmp_gt_i16_e32 vcc_lo, 11, v2
	v_ashrrev_i32_e32 v1, 31, v0
	v_add_co_u32 v0, s0, s46, v0
	s_delay_alu instid0(VALU_DEP_1)
	v_add_co_ci_u32_e64 v1, s0, s47, v1, s0
	s_cbranch_vccnz .LBB11_394
; %bb.388:
	v_cmp_lt_i16_e32 vcc_lo, 25, v2
	s_cbranch_vccz .LBB11_403
; %bb.389:
	v_cmp_lt_i16_e32 vcc_lo, 28, v2
	s_cbranch_vccz .LBB11_405
	;; [unrolled: 3-line block ×4, first 2 shown]
; %bb.392:
	v_cmp_eq_u16_e32 vcc_lo, 46, v2
	s_mov_b32 s1, 0
	s_cbranch_vccz .LBB11_413
; %bb.393:
	global_load_b32 v3, v[0:1], off
	s_mov_b32 s0, -1
	s_mov_b32 s64, 0
	s_waitcnt vmcnt(0)
	v_lshlrev_b32_e32 v3, 16, v3
	s_delay_alu instid0(VALU_DEP_1)
	v_cvt_f64_f32_e32 v[43:44], v3
	s_branch .LBB11_415
.LBB11_394:
	s_mov_b32 s0, 0
	s_mov_b32 s64, s62
                                        ; implicit-def: $vgpr43_vgpr44
	s_cbranch_execnz .LBB11_481
.LBB11_395:
	s_and_not1_b32 vcc_lo, exec_lo, s0
	s_cbranch_vccnz .LBB11_529
.LBB11_396:
	v_mul_lo_u32 v0, v47, s50
	v_cmp_lt_i16_e64 s0, s51, 11
	s_delay_alu instid0(VALU_DEP_2) | instskip(SKIP_1) | instid1(VALU_DEP_2)
	v_ashrrev_i32_e32 v1, 31, v0
	v_add_co_u32 v0, vcc_lo, s52, v0
	v_add_co_ci_u32_e32 v1, vcc_lo, s53, v1, vcc_lo
	s_delay_alu instid0(VALU_DEP_4)
	s_and_b32 vcc_lo, exec_lo, s0
	s_cbranch_vccnz .LBB11_404
; %bb.397:
	v_cmp_gt_i16_e64 s0, s51, 25
	s_delay_alu instid0(VALU_DEP_1)
	s_and_b32 vcc_lo, exec_lo, s0
	s_cbranch_vccz .LBB11_406
; %bb.398:
	v_cmp_gt_i16_e64 s0, s51, 28
	s_delay_alu instid0(VALU_DEP_1)
	s_and_b32 vcc_lo, exec_lo, s0
	s_cbranch_vccz .LBB11_408
	;; [unrolled: 5-line block ×4, first 2 shown]
; %bb.401:
	v_cmp_eq_u16_e64 s0, s51, 46
	s_mov_b32 s1, 0
	s_delay_alu instid0(VALU_DEP_1)
	s_and_b32 vcc_lo, exec_lo, s0
	s_cbranch_vccz .LBB11_532
; %bb.402:
	global_load_b32 v2, v[0:1], off
	s_mov_b32 s0, -1
	s_mov_b32 s66, 0
	s_waitcnt vmcnt(0)
	v_lshlrev_b32_e32 v2, 16, v2
	s_delay_alu instid0(VALU_DEP_1)
	v_cvt_f64_f32_e32 v[45:46], v2
	s_branch .LBB11_534
.LBB11_403:
	s_mov_b32 s1, -1
	s_mov_b32 s0, 0
	s_mov_b32 s64, s62
                                        ; implicit-def: $vgpr43_vgpr44
	s_branch .LBB11_447
.LBB11_404:
	s_mov_b32 s1, -1
	s_mov_b32 s0, 0
	s_mov_b32 s66, s61
                                        ; implicit-def: $vgpr45_vgpr46
	s_branch .LBB11_599
.LBB11_405:
	s_mov_b32 s1, -1
	s_mov_b32 s0, 0
	s_mov_b32 s64, s62
                                        ; implicit-def: $vgpr43_vgpr44
	s_branch .LBB11_426
.LBB11_406:
	s_mov_b32 s1, -1
	s_mov_b32 s0, 0
	s_mov_b32 s66, s61
                                        ; implicit-def: $vgpr45_vgpr46
	s_branch .LBB11_565
.LBB11_407:
	s_mov_b32 s1, -1
	s_mov_b32 s0, 0
	s_mov_b32 s64, s62
                                        ; implicit-def: $vgpr43_vgpr44
	s_branch .LBB11_421
.LBB11_408:
	s_mov_b32 s1, -1
	s_mov_b32 s0, 0
	s_mov_b32 s66, s61
                                        ; implicit-def: $vgpr45_vgpr46
	s_branch .LBB11_544
.LBB11_409:
	s_mov_b32 s1, -1
	s_mov_b32 s0, 0
	s_mov_b32 s64, s62
	s_branch .LBB11_414
.LBB11_410:
	s_mov_b32 s1, -1
	s_mov_b32 s0, 0
	s_mov_b32 s66, s61
                                        ; implicit-def: $vgpr45_vgpr46
	s_branch .LBB11_539
.LBB11_411:
	s_or_saveexec_b32 s3, s3
                                        ; implicit-def: $sgpr4
	s_delay_alu instid0(SALU_CYCLE_1)
	s_xor_b32 exec_lo, exec_lo, s3
	s_cbranch_execz .LBB11_183
.LBB11_412:
	v_add_f32_e64 v3, 0x46000000, |v2|
	s_and_not1_b32 s2, s2, exec_lo
	s_mov_b32 s4, 0
	s_delay_alu instid0(VALU_DEP_1) | instskip(NEXT) | instid1(VALU_DEP_1)
	v_and_b32_e32 v3, 0xff, v3
	v_cmp_ne_u32_e32 vcc_lo, 0, v3
	s_and_b32 s5, vcc_lo, exec_lo
	s_delay_alu instid0(SALU_CYCLE_1)
	s_or_b32 s2, s2, s5
	s_or_b32 exec_lo, exec_lo, s3
	v_mov_b32_e32 v7, s4
	s_and_saveexec_b32 s3, s2
	s_cbranch_execnz .LBB11_184
	s_branch .LBB11_185
.LBB11_413:
	s_mov_b32 s64, -1
	s_mov_b32 s0, 0
.LBB11_414:
                                        ; implicit-def: $vgpr43_vgpr44
.LBB11_415:
	s_and_b32 vcc_lo, exec_lo, s1
	s_cbranch_vccz .LBB11_420
; %bb.416:
	v_cmp_eq_u16_e32 vcc_lo, 44, v2
	s_cbranch_vccz .LBB11_419
; %bb.417:
	global_load_u8 v5, v[0:1], off
	s_mov_b32 s64, 0
	s_mov_b32 s0, -1
	s_waitcnt vmcnt(0)
	v_cmp_ne_u32_e32 vcc_lo, 0xff, v5
	v_lshlrev_b32_e32 v3, 23, v5
	s_delay_alu instid0(VALU_DEP_1) | instskip(NEXT) | instid1(VALU_DEP_1)
	v_cvt_f64_f32_e32 v[3:4], v3
	v_cndmask_b32_e32 v4, 0x7ff80000, v4, vcc_lo
	s_delay_alu instid0(VALU_DEP_2) | instskip(SKIP_1) | instid1(VALU_DEP_3)
	v_cndmask_b32_e32 v3, 0x20000000, v3, vcc_lo
	v_cmp_ne_u32_e32 vcc_lo, 0, v5
	v_cndmask_b32_e32 v44, 0x38000000, v4, vcc_lo
	s_delay_alu instid0(VALU_DEP_3)
	v_cndmask_b32_e32 v43, 0, v3, vcc_lo
	s_branch .LBB11_420
.LBB11_418:
	s_mov_b32 s1, -1
	s_mov_b32 s0, 0
	s_mov_b32 s66, s61
	s_branch .LBB11_533
.LBB11_419:
	s_mov_b32 s64, -1
                                        ; implicit-def: $vgpr43_vgpr44
.LBB11_420:
	s_mov_b32 s1, 0
.LBB11_421:
	s_delay_alu instid0(SALU_CYCLE_1)
	s_and_b32 vcc_lo, exec_lo, s1
	s_cbranch_vccz .LBB11_425
; %bb.422:
	v_cmp_eq_u16_e32 vcc_lo, 29, v2
	s_cbranch_vccz .LBB11_424
; %bb.423:
	global_load_b64 v[3:4], v[0:1], off
	s_mov_b32 s0, -1
	s_mov_b32 s64, 0
	s_mov_b32 s1, 0
	s_waitcnt vmcnt(0)
	v_cvt_f64_u32_e32 v[4:5], v4
	v_cvt_f64_u32_e32 v[6:7], v3
	s_delay_alu instid0(VALU_DEP_2) | instskip(NEXT) | instid1(VALU_DEP_1)
	v_ldexp_f64 v[4:5], v[4:5], 32
	v_add_f64 v[43:44], v[4:5], v[6:7]
	s_branch .LBB11_426
.LBB11_424:
	s_mov_b32 s64, -1
                                        ; implicit-def: $vgpr43_vgpr44
.LBB11_425:
	s_mov_b32 s1, 0
.LBB11_426:
	s_delay_alu instid0(SALU_CYCLE_1)
	s_and_b32 vcc_lo, exec_lo, s1
	s_cbranch_vccz .LBB11_446
; %bb.427:
	v_cmp_gt_i16_e32 vcc_lo, 27, v2
	s_cbranch_vccnz .LBB11_430
; %bb.428:
	v_cmp_lt_i16_e32 vcc_lo, 27, v2
	s_cbranch_vccz .LBB11_431
; %bb.429:
	global_load_b32 v3, v[0:1], off
	s_mov_b32 s0, 0
	s_waitcnt vmcnt(0)
	v_cvt_f64_u32_e32 v[43:44], v3
	s_branch .LBB11_432
.LBB11_430:
	s_mov_b32 s0, -1
                                        ; implicit-def: $vgpr43_vgpr44
	s_branch .LBB11_435
.LBB11_431:
	s_mov_b32 s0, -1
                                        ; implicit-def: $vgpr43_vgpr44
.LBB11_432:
	s_delay_alu instid0(SALU_CYCLE_1)
	s_and_not1_b32 vcc_lo, exec_lo, s0
	s_cbranch_vccnz .LBB11_434
; %bb.433:
	global_load_u16 v3, v[0:1], off
	s_waitcnt vmcnt(0)
	v_cvt_f64_u32_e32 v[43:44], v3
.LBB11_434:
	s_mov_b32 s0, 0
.LBB11_435:
	s_delay_alu instid0(SALU_CYCLE_1)
	s_and_not1_b32 vcc_lo, exec_lo, s0
	s_cbranch_vccnz .LBB11_445
; %bb.436:
	global_load_u8 v3, v[0:1], off
	s_mov_b32 s2, 0
	s_mov_b32 s3, exec_lo
                                        ; implicit-def: $sgpr0_sgpr1
	s_waitcnt vmcnt(0)
	v_cmpx_lt_i16_e32 0x7f, v3
	s_xor_b32 s3, exec_lo, s3
	s_cbranch_execz .LBB11_440
; %bb.437:
	s_mov_b32 s4, -1
	s_mov_b32 s2, exec_lo
                                        ; implicit-def: $sgpr0_sgpr1
	v_cmpx_eq_u16_e32 0x80, v3
; %bb.438:
	s_mov_b32 s1, 0x7ff80000
	s_brev_b32 s0, 4
	s_xor_b32 s4, exec_lo, -1
; %bb.439:
	s_or_b32 exec_lo, exec_lo, s2
	s_delay_alu instid0(SALU_CYCLE_1)
	s_and_b32 s2, s4, exec_lo
.LBB11_440:
	s_or_saveexec_b32 s3, s3
	v_dual_mov_b32 v44, s1 :: v_dual_mov_b32 v43, s0
	s_xor_b32 exec_lo, exec_lo, s3
; %bb.441:
	v_cmp_ne_u16_e32 vcc_lo, 0, v3
	v_mov_b32_e32 v43, 0
	v_mov_b32_e32 v44, 0
	s_and_not1_b32 s0, s2, exec_lo
	s_and_b32 s1, vcc_lo, exec_lo
	s_delay_alu instid0(SALU_CYCLE_1)
	s_or_b32 s2, s0, s1
; %bb.442:
	s_or_b32 exec_lo, exec_lo, s3
	s_and_saveexec_b32 s0, s2
	s_cbranch_execz .LBB11_444
; %bb.443:
	v_and_b32_e32 v4, 0xffff, v3
	v_lshlrev_b32_e32 v3, 24, v3
	s_delay_alu instid0(VALU_DEP_2) | instskip(NEXT) | instid1(VALU_DEP_2)
	v_and_b32_e32 v5, 7, v4
	v_and_b32_e32 v3, 0x80000000, v3
	s_delay_alu instid0(VALU_DEP_2) | instskip(NEXT) | instid1(VALU_DEP_1)
	v_clz_i32_u32_e32 v6, v5
	v_min_u32_e32 v6, 32, v6
	s_delay_alu instid0(VALU_DEP_1) | instskip(SKIP_1) | instid1(VALU_DEP_2)
	v_subrev_nc_u32_e32 v7, 28, v6
	v_sub_nc_u32_e32 v6, 29, v6
	v_lshlrev_b32_e32 v7, v7, v4
	v_bfe_u32 v4, v4, 3, 4
	s_delay_alu instid0(VALU_DEP_2) | instskip(NEXT) | instid1(VALU_DEP_2)
	v_and_b32_e32 v7, 7, v7
	v_cmp_eq_u32_e32 vcc_lo, 0, v4
	s_delay_alu instid0(VALU_DEP_2) | instskip(NEXT) | instid1(VALU_DEP_1)
	v_dual_cndmask_b32 v4, v4, v6 :: v_dual_cndmask_b32 v5, v5, v7
	v_lshl_add_u32 v4, v4, 23, 0x3b800000
	s_delay_alu instid0(VALU_DEP_2) | instskip(NEXT) | instid1(VALU_DEP_1)
	v_lshlrev_b32_e32 v5, 20, v5
	v_or3_b32 v3, v3, v4, v5
	s_delay_alu instid0(VALU_DEP_1)
	v_cvt_f64_f32_e32 v[43:44], v3
.LBB11_444:
	s_or_b32 exec_lo, exec_lo, s0
.LBB11_445:
	s_mov_b32 s0, -1
.LBB11_446:
	s_mov_b32 s1, 0
.LBB11_447:
	s_delay_alu instid0(SALU_CYCLE_1)
	s_and_b32 vcc_lo, exec_lo, s1
	s_cbranch_vccz .LBB11_480
; %bb.448:
	v_cmp_lt_i16_e32 vcc_lo, 22, v2
	s_cbranch_vccz .LBB11_460
; %bb.449:
	v_cmp_gt_i16_e32 vcc_lo, 24, v2
	s_cbranch_vccnz .LBB11_461
; %bb.450:
	v_cmp_lt_i16_e32 vcc_lo, 24, v2
	s_cbranch_vccz .LBB11_462
; %bb.451:
	global_load_u8 v3, v[0:1], off
	s_mov_b32 s2, 0
	s_mov_b32 s3, exec_lo
                                        ; implicit-def: $sgpr0_sgpr1
	s_waitcnt vmcnt(0)
	v_cmpx_lt_i16_e32 0x7f, v3
	s_xor_b32 s3, exec_lo, s3
	s_cbranch_execz .LBB11_455
; %bb.452:
	s_mov_b32 s4, -1
	s_mov_b32 s2, exec_lo
                                        ; implicit-def: $sgpr0_sgpr1
	v_cmpx_eq_u16_e32 0x80, v3
; %bb.453:
	s_mov_b32 s1, 0x7ff80000
	s_brev_b32 s0, 4
	s_xor_b32 s4, exec_lo, -1
; %bb.454:
	s_or_b32 exec_lo, exec_lo, s2
	s_delay_alu instid0(SALU_CYCLE_1)
	s_and_b32 s2, s4, exec_lo
.LBB11_455:
	s_or_saveexec_b32 s3, s3
	v_dual_mov_b32 v44, s1 :: v_dual_mov_b32 v43, s0
	s_xor_b32 exec_lo, exec_lo, s3
; %bb.456:
	v_cmp_ne_u16_e32 vcc_lo, 0, v3
	v_mov_b32_e32 v43, 0
	v_mov_b32_e32 v44, 0
	s_and_not1_b32 s0, s2, exec_lo
	s_and_b32 s1, vcc_lo, exec_lo
	s_delay_alu instid0(SALU_CYCLE_1)
	s_or_b32 s2, s0, s1
; %bb.457:
	s_or_b32 exec_lo, exec_lo, s3
	s_and_saveexec_b32 s0, s2
	s_cbranch_execz .LBB11_459
; %bb.458:
	v_and_b32_e32 v4, 0xffff, v3
	v_lshlrev_b32_e32 v3, 24, v3
	s_delay_alu instid0(VALU_DEP_2) | instskip(NEXT) | instid1(VALU_DEP_2)
	v_and_b32_e32 v5, 3, v4
	v_and_b32_e32 v3, 0x80000000, v3
	s_delay_alu instid0(VALU_DEP_2) | instskip(NEXT) | instid1(VALU_DEP_1)
	v_clz_i32_u32_e32 v6, v5
	v_min_u32_e32 v6, 32, v6
	s_delay_alu instid0(VALU_DEP_1) | instskip(SKIP_1) | instid1(VALU_DEP_2)
	v_subrev_nc_u32_e32 v7, 29, v6
	v_sub_nc_u32_e32 v6, 30, v6
	v_lshlrev_b32_e32 v7, v7, v4
	v_bfe_u32 v4, v4, 2, 5
	s_delay_alu instid0(VALU_DEP_2) | instskip(NEXT) | instid1(VALU_DEP_2)
	v_and_b32_e32 v7, 3, v7
	v_cmp_eq_u32_e32 vcc_lo, 0, v4
	s_delay_alu instid0(VALU_DEP_2) | instskip(NEXT) | instid1(VALU_DEP_1)
	v_dual_cndmask_b32 v4, v4, v6 :: v_dual_cndmask_b32 v5, v5, v7
	v_lshl_add_u32 v4, v4, 23, 0x37800000
	s_delay_alu instid0(VALU_DEP_2) | instskip(NEXT) | instid1(VALU_DEP_1)
	v_lshlrev_b32_e32 v5, 21, v5
	v_or3_b32 v3, v3, v4, v5
	s_delay_alu instid0(VALU_DEP_1)
	v_cvt_f64_f32_e32 v[43:44], v3
.LBB11_459:
	s_or_b32 exec_lo, exec_lo, s0
	s_mov_b32 s0, 0
	s_branch .LBB11_463
.LBB11_460:
	s_mov_b32 s1, -1
                                        ; implicit-def: $vgpr43_vgpr44
	s_branch .LBB11_469
.LBB11_461:
	s_mov_b32 s0, -1
                                        ; implicit-def: $vgpr43_vgpr44
	s_branch .LBB11_466
.LBB11_462:
	s_mov_b32 s0, -1
                                        ; implicit-def: $vgpr43_vgpr44
.LBB11_463:
	s_delay_alu instid0(SALU_CYCLE_1)
	s_and_b32 vcc_lo, exec_lo, s0
	s_cbranch_vccz .LBB11_465
; %bb.464:
	global_load_u8 v3, v[0:1], off
	s_waitcnt vmcnt(0)
	v_lshlrev_b32_e32 v3, 24, v3
	s_delay_alu instid0(VALU_DEP_1) | instskip(NEXT) | instid1(VALU_DEP_1)
	v_and_b32_e32 v4, 0x7f000000, v3
	v_clz_i32_u32_e32 v5, v4
	v_add_nc_u32_e32 v7, 0x1000000, v4
	v_cmp_ne_u32_e32 vcc_lo, 0, v4
	s_delay_alu instid0(VALU_DEP_3) | instskip(NEXT) | instid1(VALU_DEP_1)
	v_min_u32_e32 v5, 32, v5
	v_sub_nc_u32_e64 v5, v5, 4 clamp
	s_delay_alu instid0(VALU_DEP_1) | instskip(SKIP_1) | instid1(VALU_DEP_2)
	v_lshlrev_b32_e32 v6, v5, v4
	v_lshlrev_b32_e32 v5, 23, v5
	v_lshrrev_b32_e32 v6, 4, v6
	s_delay_alu instid0(VALU_DEP_1) | instskip(SKIP_1) | instid1(VALU_DEP_2)
	v_sub_nc_u32_e32 v5, v6, v5
	v_ashrrev_i32_e32 v6, 8, v7
	v_add_nc_u32_e32 v5, 0x3c000000, v5
	s_delay_alu instid0(VALU_DEP_1) | instskip(NEXT) | instid1(VALU_DEP_1)
	v_and_or_b32 v5, 0x7f800000, v6, v5
	v_cndmask_b32_e32 v4, 0, v5, vcc_lo
	s_delay_alu instid0(VALU_DEP_1) | instskip(NEXT) | instid1(VALU_DEP_1)
	v_and_or_b32 v3, 0x80000000, v3, v4
	v_cvt_f64_f32_e32 v[43:44], v3
.LBB11_465:
	s_mov_b32 s0, 0
.LBB11_466:
	s_delay_alu instid0(SALU_CYCLE_1)
	s_and_not1_b32 vcc_lo, exec_lo, s0
	s_cbranch_vccnz .LBB11_468
; %bb.467:
	global_load_u8 v3, v[0:1], off
	s_waitcnt vmcnt(0)
	v_lshlrev_b32_e32 v4, 25, v3
	v_lshlrev_b16 v3, 8, v3
	s_delay_alu instid0(VALU_DEP_2) | instskip(NEXT) | instid1(VALU_DEP_2)
	v_lshrrev_b32_e32 v5, 4, v4
	v_and_or_b32 v6, 0x7f00, v3, 0.5
	v_bfe_i32 v3, v3, 0, 16
	s_delay_alu instid0(VALU_DEP_3) | instskip(NEXT) | instid1(VALU_DEP_1)
	v_or_b32_e32 v5, 0x70000000, v5
	v_dual_add_f32 v6, -0.5, v6 :: v_dual_mul_f32 v5, 0x7800000, v5
	v_cmp_gt_u32_e32 vcc_lo, 0x8000000, v4
	s_delay_alu instid0(VALU_DEP_2) | instskip(NEXT) | instid1(VALU_DEP_1)
	v_cndmask_b32_e32 v4, v5, v6, vcc_lo
	v_and_or_b32 v3, 0x80000000, v3, v4
	s_delay_alu instid0(VALU_DEP_1)
	v_cvt_f64_f32_e32 v[43:44], v3
.LBB11_468:
	s_mov_b32 s1, 0
	s_mov_b32 s0, -1
.LBB11_469:
	s_and_not1_b32 vcc_lo, exec_lo, s1
	s_cbranch_vccnz .LBB11_480
; %bb.470:
	v_cmp_lt_i16_e32 vcc_lo, 14, v2
	s_cbranch_vccz .LBB11_473
; %bb.471:
	v_cmp_eq_u16_e32 vcc_lo, 15, v2
	s_cbranch_vccz .LBB11_474
; %bb.472:
	global_load_u16 v3, v[0:1], off
	s_mov_b32 s0, -1
	s_mov_b32 s64, 0
	s_waitcnt vmcnt(0)
	v_lshlrev_b32_e32 v3, 16, v3
	s_delay_alu instid0(VALU_DEP_1)
	v_cvt_f64_f32_e32 v[43:44], v3
	s_branch .LBB11_475
.LBB11_473:
	s_mov_b32 s1, -1
                                        ; implicit-def: $vgpr43_vgpr44
	s_branch .LBB11_476
.LBB11_474:
	s_mov_b32 s64, -1
                                        ; implicit-def: $vgpr43_vgpr44
.LBB11_475:
	s_mov_b32 s1, 0
.LBB11_476:
	s_delay_alu instid0(SALU_CYCLE_1)
	s_and_b32 vcc_lo, exec_lo, s1
	s_cbranch_vccz .LBB11_480
; %bb.477:
	v_cmp_eq_u16_e32 vcc_lo, 11, v2
	s_cbranch_vccz .LBB11_479
; %bb.478:
	global_load_u8 v3, v[0:1], off
	s_waitcnt vmcnt(1)
	v_mov_b32_e32 v43, 0
	s_mov_b32 s64, 0
	s_mov_b32 s0, -1
	s_waitcnt vmcnt(0)
	v_cmp_ne_u16_e32 vcc_lo, 0, v3
	v_cndmask_b32_e64 v44, 0, 0x3ff00000, vcc_lo
	s_branch .LBB11_480
.LBB11_479:
	s_mov_b32 s64, -1
                                        ; implicit-def: $vgpr43_vgpr44
.LBB11_480:
	s_branch .LBB11_395
.LBB11_481:
	v_cmp_gt_i16_e32 vcc_lo, 5, v2
	s_cbranch_vccnz .LBB11_486
; %bb.482:
	v_cmp_gt_i16_e32 vcc_lo, 8, v2
	s_cbranch_vccnz .LBB11_487
; %bb.483:
	;; [unrolled: 3-line block ×3, first 2 shown]
	v_cmp_lt_i16_e32 vcc_lo, 9, v2
	s_cbranch_vccz .LBB11_489
; %bb.485:
	global_load_b64 v[43:44], v[0:1], off
	s_mov_b32 s0, 0
	s_branch .LBB11_490
.LBB11_486:
	s_mov_b32 s0, -1
                                        ; implicit-def: $vgpr43_vgpr44
	s_branch .LBB11_508
.LBB11_487:
	s_mov_b32 s0, -1
                                        ; implicit-def: $vgpr43_vgpr44
	s_branch .LBB11_496
.LBB11_488:
	s_mov_b32 s0, -1
                                        ; implicit-def: $vgpr43_vgpr44
	s_branch .LBB11_493
.LBB11_489:
	s_mov_b32 s0, -1
                                        ; implicit-def: $vgpr43_vgpr44
.LBB11_490:
	s_delay_alu instid0(SALU_CYCLE_1)
	s_and_not1_b32 vcc_lo, exec_lo, s0
	s_cbranch_vccnz .LBB11_492
; %bb.491:
	global_load_b32 v3, v[0:1], off
	s_waitcnt vmcnt(0)
	v_cvt_f64_f32_e32 v[43:44], v3
.LBB11_492:
	s_mov_b32 s0, 0
.LBB11_493:
	s_delay_alu instid0(SALU_CYCLE_1)
	s_and_not1_b32 vcc_lo, exec_lo, s0
	s_cbranch_vccnz .LBB11_495
; %bb.494:
	global_load_b32 v3, v[0:1], off
	s_waitcnt vmcnt(0)
	v_cvt_f32_f16_e32 v3, v3
	s_delay_alu instid0(VALU_DEP_1)
	v_cvt_f64_f32_e32 v[43:44], v3
.LBB11_495:
	s_mov_b32 s0, 0
.LBB11_496:
	s_delay_alu instid0(SALU_CYCLE_1)
	s_and_not1_b32 vcc_lo, exec_lo, s0
	s_cbranch_vccnz .LBB11_507
; %bb.497:
	v_cmp_gt_i16_e32 vcc_lo, 6, v2
	s_cbranch_vccnz .LBB11_500
; %bb.498:
	v_cmp_lt_i16_e32 vcc_lo, 6, v2
	s_cbranch_vccz .LBB11_501
; %bb.499:
	global_load_b64 v[43:44], v[0:1], off
	s_mov_b32 s0, 0
	s_branch .LBB11_502
.LBB11_500:
	s_mov_b32 s0, -1
                                        ; implicit-def: $vgpr43_vgpr44
	s_branch .LBB11_505
.LBB11_501:
	s_mov_b32 s0, -1
                                        ; implicit-def: $vgpr43_vgpr44
.LBB11_502:
	s_delay_alu instid0(SALU_CYCLE_1)
	s_and_not1_b32 vcc_lo, exec_lo, s0
	s_cbranch_vccnz .LBB11_504
; %bb.503:
	global_load_b32 v3, v[0:1], off
	s_waitcnt vmcnt(0)
	v_cvt_f64_f32_e32 v[43:44], v3
.LBB11_504:
	s_mov_b32 s0, 0
.LBB11_505:
	s_delay_alu instid0(SALU_CYCLE_1)
	s_and_not1_b32 vcc_lo, exec_lo, s0
	s_cbranch_vccnz .LBB11_507
; %bb.506:
	global_load_u16 v3, v[0:1], off
	s_waitcnt vmcnt(0)
	v_cvt_f32_f16_e32 v3, v3
	s_delay_alu instid0(VALU_DEP_1)
	v_cvt_f64_f32_e32 v[43:44], v3
.LBB11_507:
	s_mov_b32 s0, 0
.LBB11_508:
	s_delay_alu instid0(SALU_CYCLE_1)
	s_and_not1_b32 vcc_lo, exec_lo, s0
	s_cbranch_vccnz .LBB11_528
; %bb.509:
	v_cmp_gt_i16_e32 vcc_lo, 2, v2
	s_cbranch_vccnz .LBB11_513
; %bb.510:
	v_cmp_gt_i16_e32 vcc_lo, 3, v2
	s_cbranch_vccnz .LBB11_514
; %bb.511:
	v_cmp_lt_i16_e32 vcc_lo, 3, v2
	s_cbranch_vccz .LBB11_515
; %bb.512:
	global_load_b64 v[3:4], v[0:1], off
	s_mov_b32 s0, 0
	s_waitcnt vmcnt(0)
	v_cvt_f64_i32_e32 v[4:5], v4
	v_cvt_f64_u32_e32 v[6:7], v3
	s_delay_alu instid0(VALU_DEP_2) | instskip(NEXT) | instid1(VALU_DEP_1)
	v_ldexp_f64 v[4:5], v[4:5], 32
	v_add_f64 v[43:44], v[4:5], v[6:7]
	s_branch .LBB11_516
.LBB11_513:
	s_mov_b32 s0, -1
                                        ; implicit-def: $vgpr43_vgpr44
	s_branch .LBB11_522
.LBB11_514:
	s_mov_b32 s0, -1
                                        ; implicit-def: $vgpr43_vgpr44
	s_branch .LBB11_519
.LBB11_515:
	s_mov_b32 s0, -1
                                        ; implicit-def: $vgpr43_vgpr44
.LBB11_516:
	s_delay_alu instid0(SALU_CYCLE_1)
	s_and_not1_b32 vcc_lo, exec_lo, s0
	s_cbranch_vccnz .LBB11_518
; %bb.517:
	global_load_b32 v3, v[0:1], off
	s_waitcnt vmcnt(0)
	v_cvt_f64_i32_e32 v[43:44], v3
.LBB11_518:
	s_mov_b32 s0, 0
.LBB11_519:
	s_delay_alu instid0(SALU_CYCLE_1)
	s_and_not1_b32 vcc_lo, exec_lo, s0
	s_cbranch_vccnz .LBB11_521
; %bb.520:
	global_load_i16 v3, v[0:1], off
	s_waitcnt vmcnt(0)
	v_cvt_f64_i32_e32 v[43:44], v3
.LBB11_521:
	s_mov_b32 s0, 0
.LBB11_522:
	s_delay_alu instid0(SALU_CYCLE_1)
	s_and_not1_b32 vcc_lo, exec_lo, s0
	s_cbranch_vccnz .LBB11_528
; %bb.523:
	v_cmp_lt_i16_e32 vcc_lo, 0, v2
	s_mov_b32 s0, 0
	s_cbranch_vccz .LBB11_525
; %bb.524:
	global_load_i8 v2, v[0:1], off
	s_waitcnt vmcnt(0)
	v_cvt_f64_i32_e32 v[43:44], v2
	s_branch .LBB11_526
.LBB11_525:
	s_mov_b32 s0, -1
                                        ; implicit-def: $vgpr43_vgpr44
.LBB11_526:
	s_delay_alu instid0(SALU_CYCLE_1)
	s_and_not1_b32 vcc_lo, exec_lo, s0
	s_cbranch_vccnz .LBB11_528
; %bb.527:
	global_load_u8 v0, v[0:1], off
	s_waitcnt vmcnt(0)
	v_cvt_f64_u32_e32 v[43:44], v0
.LBB11_528:
	s_branch .LBB11_396
.LBB11_529:
	s_mov_b32 s1, 0
	s_mov_b32 s0, s60
	s_mov_b32 s66, s61
	s_branch .LBB11_778
.LBB11_530:
	s_or_saveexec_b32 s3, s3
                                        ; implicit-def: $sgpr4
	s_delay_alu instid0(SALU_CYCLE_1)
	s_xor_b32 exec_lo, exec_lo, s3
	s_cbranch_execz .LBB11_196
.LBB11_531:
	v_add_f32_e64 v3, 0x42800000, |v2|
	s_and_not1_b32 s2, s2, exec_lo
	s_mov_b32 s4, 0
	s_delay_alu instid0(VALU_DEP_1) | instskip(NEXT) | instid1(VALU_DEP_1)
	v_and_b32_e32 v3, 0xff, v3
	v_cmp_ne_u32_e32 vcc_lo, 0, v3
	s_and_b32 s5, vcc_lo, exec_lo
	s_delay_alu instid0(SALU_CYCLE_1)
	s_or_b32 s2, s2, s5
	s_or_b32 exec_lo, exec_lo, s3
	v_mov_b32_e32 v7, s4
	s_and_saveexec_b32 s3, s2
	s_cbranch_execnz .LBB11_197
	s_branch .LBB11_198
.LBB11_532:
	s_mov_b32 s66, -1
	s_mov_b32 s0, 0
.LBB11_533:
                                        ; implicit-def: $vgpr45_vgpr46
.LBB11_534:
	s_and_b32 vcc_lo, exec_lo, s1
	s_cbranch_vccz .LBB11_538
; %bb.535:
	v_cmp_eq_u16_e64 s1, s51, 44
	s_delay_alu instid0(VALU_DEP_1)
	s_and_b32 vcc_lo, exec_lo, s1
	s_cbranch_vccz .LBB11_537
; %bb.536:
	global_load_u8 v4, v[0:1], off
	s_mov_b32 s66, 0
	s_mov_b32 s0, -1
	s_waitcnt vmcnt(0)
	v_cmp_ne_u32_e32 vcc_lo, 0xff, v4
	v_lshlrev_b32_e32 v2, 23, v4
	s_delay_alu instid0(VALU_DEP_1) | instskip(NEXT) | instid1(VALU_DEP_1)
	v_cvt_f64_f32_e32 v[2:3], v2
	v_cndmask_b32_e32 v3, 0x7ff80000, v3, vcc_lo
	s_delay_alu instid0(VALU_DEP_2) | instskip(SKIP_1) | instid1(VALU_DEP_3)
	v_cndmask_b32_e32 v2, 0x20000000, v2, vcc_lo
	v_cmp_ne_u32_e32 vcc_lo, 0, v4
	v_cndmask_b32_e32 v46, 0x38000000, v3, vcc_lo
	s_delay_alu instid0(VALU_DEP_3)
	v_cndmask_b32_e32 v45, 0, v2, vcc_lo
	s_branch .LBB11_538
.LBB11_537:
	s_mov_b32 s66, -1
                                        ; implicit-def: $vgpr45_vgpr46
.LBB11_538:
	s_mov_b32 s1, 0
.LBB11_539:
	s_delay_alu instid0(SALU_CYCLE_1)
	s_and_b32 vcc_lo, exec_lo, s1
	s_cbranch_vccz .LBB11_543
; %bb.540:
	v_cmp_eq_u16_e64 s1, s51, 29
	s_delay_alu instid0(VALU_DEP_1)
	s_and_b32 vcc_lo, exec_lo, s1
	s_cbranch_vccz .LBB11_542
; %bb.541:
	global_load_b64 v[2:3], v[0:1], off
	s_mov_b32 s0, -1
	s_mov_b32 s66, 0
	s_mov_b32 s1, 0
	s_waitcnt vmcnt(0)
	v_cvt_f64_u32_e32 v[3:4], v3
	v_cvt_f64_u32_e32 v[5:6], v2
	s_delay_alu instid0(VALU_DEP_2) | instskip(NEXT) | instid1(VALU_DEP_1)
	v_ldexp_f64 v[3:4], v[3:4], 32
	v_add_f64 v[45:46], v[3:4], v[5:6]
	s_branch .LBB11_544
.LBB11_542:
	s_mov_b32 s66, -1
                                        ; implicit-def: $vgpr45_vgpr46
.LBB11_543:
	s_mov_b32 s1, 0
.LBB11_544:
	s_delay_alu instid0(SALU_CYCLE_1)
	s_and_b32 vcc_lo, exec_lo, s1
	s_cbranch_vccz .LBB11_564
; %bb.545:
	v_cmp_lt_i16_e64 s0, s51, 27
	s_delay_alu instid0(VALU_DEP_1)
	s_and_b32 vcc_lo, exec_lo, s0
	s_cbranch_vccnz .LBB11_548
; %bb.546:
	v_cmp_gt_i16_e64 s0, s51, 27
	s_delay_alu instid0(VALU_DEP_1)
	s_and_b32 vcc_lo, exec_lo, s0
	s_cbranch_vccz .LBB11_549
; %bb.547:
	global_load_b32 v2, v[0:1], off
	s_mov_b32 s0, 0
	s_waitcnt vmcnt(0)
	v_cvt_f64_u32_e32 v[45:46], v2
	s_branch .LBB11_550
.LBB11_548:
	s_mov_b32 s0, -1
                                        ; implicit-def: $vgpr45_vgpr46
	s_branch .LBB11_553
.LBB11_549:
	s_mov_b32 s0, -1
                                        ; implicit-def: $vgpr45_vgpr46
.LBB11_550:
	s_delay_alu instid0(SALU_CYCLE_1)
	s_and_not1_b32 vcc_lo, exec_lo, s0
	s_cbranch_vccnz .LBB11_552
; %bb.551:
	global_load_u16 v2, v[0:1], off
	s_waitcnt vmcnt(0)
	v_cvt_f64_u32_e32 v[45:46], v2
.LBB11_552:
	s_mov_b32 s0, 0
.LBB11_553:
	s_delay_alu instid0(SALU_CYCLE_1)
	s_and_not1_b32 vcc_lo, exec_lo, s0
	s_cbranch_vccnz .LBB11_563
; %bb.554:
	global_load_u8 v2, v[0:1], off
	s_mov_b32 s2, 0
	s_mov_b32 s3, exec_lo
                                        ; implicit-def: $sgpr0_sgpr1
	s_waitcnt vmcnt(0)
	v_cmpx_lt_i16_e32 0x7f, v2
	s_xor_b32 s3, exec_lo, s3
	s_cbranch_execz .LBB11_558
; %bb.555:
	s_mov_b32 s4, -1
	s_mov_b32 s2, exec_lo
                                        ; implicit-def: $sgpr0_sgpr1
	v_cmpx_eq_u16_e32 0x80, v2
; %bb.556:
	s_mov_b32 s1, 0x7ff80000
	s_brev_b32 s0, 4
	s_xor_b32 s4, exec_lo, -1
; %bb.557:
	s_or_b32 exec_lo, exec_lo, s2
	s_delay_alu instid0(SALU_CYCLE_1)
	s_and_b32 s2, s4, exec_lo
.LBB11_558:
	s_or_saveexec_b32 s3, s3
	v_dual_mov_b32 v46, s1 :: v_dual_mov_b32 v45, s0
	s_xor_b32 exec_lo, exec_lo, s3
; %bb.559:
	v_cmp_ne_u16_e32 vcc_lo, 0, v2
	v_mov_b32_e32 v45, 0
	v_mov_b32_e32 v46, 0
	s_and_not1_b32 s0, s2, exec_lo
	s_and_b32 s1, vcc_lo, exec_lo
	s_delay_alu instid0(SALU_CYCLE_1)
	s_or_b32 s2, s0, s1
; %bb.560:
	s_or_b32 exec_lo, exec_lo, s3
	s_and_saveexec_b32 s0, s2
	s_cbranch_execz .LBB11_562
; %bb.561:
	v_and_b32_e32 v3, 0xffff, v2
	v_lshlrev_b32_e32 v2, 24, v2
	s_delay_alu instid0(VALU_DEP_2) | instskip(NEXT) | instid1(VALU_DEP_2)
	v_and_b32_e32 v4, 7, v3
	v_and_b32_e32 v2, 0x80000000, v2
	s_delay_alu instid0(VALU_DEP_2) | instskip(NEXT) | instid1(VALU_DEP_1)
	v_clz_i32_u32_e32 v5, v4
	v_min_u32_e32 v5, 32, v5
	s_delay_alu instid0(VALU_DEP_1) | instskip(SKIP_1) | instid1(VALU_DEP_2)
	v_subrev_nc_u32_e32 v6, 28, v5
	v_sub_nc_u32_e32 v5, 29, v5
	v_lshlrev_b32_e32 v6, v6, v3
	v_bfe_u32 v3, v3, 3, 4
	s_delay_alu instid0(VALU_DEP_2) | instskip(NEXT) | instid1(VALU_DEP_2)
	v_and_b32_e32 v6, 7, v6
	v_cmp_eq_u32_e32 vcc_lo, 0, v3
	s_delay_alu instid0(VALU_DEP_2) | instskip(NEXT) | instid1(VALU_DEP_1)
	v_dual_cndmask_b32 v3, v3, v5 :: v_dual_cndmask_b32 v4, v4, v6
	v_lshl_add_u32 v3, v3, 23, 0x3b800000
	s_delay_alu instid0(VALU_DEP_2) | instskip(NEXT) | instid1(VALU_DEP_1)
	v_lshlrev_b32_e32 v4, 20, v4
	v_or3_b32 v2, v2, v3, v4
	s_delay_alu instid0(VALU_DEP_1)
	v_cvt_f64_f32_e32 v[45:46], v2
.LBB11_562:
	s_or_b32 exec_lo, exec_lo, s0
.LBB11_563:
	s_mov_b32 s0, -1
.LBB11_564:
	s_mov_b32 s1, 0
.LBB11_565:
	s_delay_alu instid0(SALU_CYCLE_1)
	s_and_b32 vcc_lo, exec_lo, s1
	s_cbranch_vccz .LBB11_598
; %bb.566:
	v_cmp_gt_i16_e64 s1, s51, 22
	s_delay_alu instid0(VALU_DEP_1)
	s_and_b32 vcc_lo, exec_lo, s1
	s_cbranch_vccz .LBB11_578
; %bb.567:
	v_cmp_lt_i16_e64 s0, s51, 24
	s_delay_alu instid0(VALU_DEP_1)
	s_and_b32 vcc_lo, exec_lo, s0
	s_cbranch_vccnz .LBB11_579
; %bb.568:
	v_cmp_gt_i16_e64 s0, s51, 24
	s_delay_alu instid0(VALU_DEP_1)
	s_and_b32 vcc_lo, exec_lo, s0
	s_cbranch_vccz .LBB11_580
; %bb.569:
	global_load_u8 v2, v[0:1], off
	s_mov_b32 s2, 0
	s_mov_b32 s3, exec_lo
                                        ; implicit-def: $sgpr0_sgpr1
	s_waitcnt vmcnt(0)
	v_cmpx_lt_i16_e32 0x7f, v2
	s_xor_b32 s3, exec_lo, s3
	s_cbranch_execz .LBB11_573
; %bb.570:
	s_mov_b32 s4, -1
	s_mov_b32 s2, exec_lo
                                        ; implicit-def: $sgpr0_sgpr1
	v_cmpx_eq_u16_e32 0x80, v2
; %bb.571:
	s_mov_b32 s1, 0x7ff80000
	s_brev_b32 s0, 4
	s_xor_b32 s4, exec_lo, -1
; %bb.572:
	s_or_b32 exec_lo, exec_lo, s2
	s_delay_alu instid0(SALU_CYCLE_1)
	s_and_b32 s2, s4, exec_lo
.LBB11_573:
	s_or_saveexec_b32 s3, s3
	v_dual_mov_b32 v46, s1 :: v_dual_mov_b32 v45, s0
	s_xor_b32 exec_lo, exec_lo, s3
; %bb.574:
	v_cmp_ne_u16_e32 vcc_lo, 0, v2
	v_mov_b32_e32 v45, 0
	v_mov_b32_e32 v46, 0
	s_and_not1_b32 s0, s2, exec_lo
	s_and_b32 s1, vcc_lo, exec_lo
	s_delay_alu instid0(SALU_CYCLE_1)
	s_or_b32 s2, s0, s1
; %bb.575:
	s_or_b32 exec_lo, exec_lo, s3
	s_and_saveexec_b32 s0, s2
	s_cbranch_execz .LBB11_577
; %bb.576:
	v_and_b32_e32 v3, 0xffff, v2
	v_lshlrev_b32_e32 v2, 24, v2
	s_delay_alu instid0(VALU_DEP_2) | instskip(NEXT) | instid1(VALU_DEP_2)
	v_and_b32_e32 v4, 3, v3
	v_and_b32_e32 v2, 0x80000000, v2
	s_delay_alu instid0(VALU_DEP_2) | instskip(NEXT) | instid1(VALU_DEP_1)
	v_clz_i32_u32_e32 v5, v4
	v_min_u32_e32 v5, 32, v5
	s_delay_alu instid0(VALU_DEP_1) | instskip(SKIP_1) | instid1(VALU_DEP_2)
	v_subrev_nc_u32_e32 v6, 29, v5
	v_sub_nc_u32_e32 v5, 30, v5
	v_lshlrev_b32_e32 v6, v6, v3
	v_bfe_u32 v3, v3, 2, 5
	s_delay_alu instid0(VALU_DEP_2) | instskip(NEXT) | instid1(VALU_DEP_2)
	v_and_b32_e32 v6, 3, v6
	v_cmp_eq_u32_e32 vcc_lo, 0, v3
	s_delay_alu instid0(VALU_DEP_2) | instskip(NEXT) | instid1(VALU_DEP_1)
	v_dual_cndmask_b32 v3, v3, v5 :: v_dual_cndmask_b32 v4, v4, v6
	v_lshl_add_u32 v3, v3, 23, 0x37800000
	s_delay_alu instid0(VALU_DEP_2) | instskip(NEXT) | instid1(VALU_DEP_1)
	v_lshlrev_b32_e32 v4, 21, v4
	v_or3_b32 v2, v2, v3, v4
	s_delay_alu instid0(VALU_DEP_1)
	v_cvt_f64_f32_e32 v[45:46], v2
.LBB11_577:
	s_or_b32 exec_lo, exec_lo, s0
	s_mov_b32 s0, 0
	s_branch .LBB11_581
.LBB11_578:
	s_mov_b32 s1, -1
                                        ; implicit-def: $vgpr45_vgpr46
	s_branch .LBB11_587
.LBB11_579:
	s_mov_b32 s0, -1
                                        ; implicit-def: $vgpr45_vgpr46
	s_branch .LBB11_584
.LBB11_580:
	s_mov_b32 s0, -1
                                        ; implicit-def: $vgpr45_vgpr46
.LBB11_581:
	s_delay_alu instid0(SALU_CYCLE_1)
	s_and_b32 vcc_lo, exec_lo, s0
	s_cbranch_vccz .LBB11_583
; %bb.582:
	global_load_u8 v2, v[0:1], off
	s_waitcnt vmcnt(0)
	v_lshlrev_b32_e32 v2, 24, v2
	s_delay_alu instid0(VALU_DEP_1) | instskip(NEXT) | instid1(VALU_DEP_1)
	v_and_b32_e32 v3, 0x7f000000, v2
	v_clz_i32_u32_e32 v4, v3
	v_add_nc_u32_e32 v6, 0x1000000, v3
	v_cmp_ne_u32_e32 vcc_lo, 0, v3
	s_delay_alu instid0(VALU_DEP_3) | instskip(NEXT) | instid1(VALU_DEP_1)
	v_min_u32_e32 v4, 32, v4
	v_sub_nc_u32_e64 v4, v4, 4 clamp
	s_delay_alu instid0(VALU_DEP_1) | instskip(SKIP_1) | instid1(VALU_DEP_2)
	v_lshlrev_b32_e32 v5, v4, v3
	v_lshlrev_b32_e32 v4, 23, v4
	v_lshrrev_b32_e32 v5, 4, v5
	s_delay_alu instid0(VALU_DEP_1) | instskip(SKIP_1) | instid1(VALU_DEP_2)
	v_sub_nc_u32_e32 v4, v5, v4
	v_ashrrev_i32_e32 v5, 8, v6
	v_add_nc_u32_e32 v4, 0x3c000000, v4
	s_delay_alu instid0(VALU_DEP_1) | instskip(NEXT) | instid1(VALU_DEP_1)
	v_and_or_b32 v4, 0x7f800000, v5, v4
	v_cndmask_b32_e32 v3, 0, v4, vcc_lo
	s_delay_alu instid0(VALU_DEP_1) | instskip(NEXT) | instid1(VALU_DEP_1)
	v_and_or_b32 v2, 0x80000000, v2, v3
	v_cvt_f64_f32_e32 v[45:46], v2
.LBB11_583:
	s_mov_b32 s0, 0
.LBB11_584:
	s_delay_alu instid0(SALU_CYCLE_1)
	s_and_not1_b32 vcc_lo, exec_lo, s0
	s_cbranch_vccnz .LBB11_586
; %bb.585:
	global_load_u8 v2, v[0:1], off
	s_waitcnt vmcnt(0)
	v_lshlrev_b32_e32 v3, 25, v2
	v_lshlrev_b16 v2, 8, v2
	s_delay_alu instid0(VALU_DEP_2) | instskip(NEXT) | instid1(VALU_DEP_2)
	v_lshrrev_b32_e32 v4, 4, v3
	v_and_or_b32 v5, 0x7f00, v2, 0.5
	v_bfe_i32 v2, v2, 0, 16
	s_delay_alu instid0(VALU_DEP_3) | instskip(NEXT) | instid1(VALU_DEP_1)
	v_or_b32_e32 v4, 0x70000000, v4
	v_dual_add_f32 v5, -0.5, v5 :: v_dual_mul_f32 v4, 0x7800000, v4
	v_cmp_gt_u32_e32 vcc_lo, 0x8000000, v3
	s_delay_alu instid0(VALU_DEP_2) | instskip(NEXT) | instid1(VALU_DEP_1)
	v_cndmask_b32_e32 v3, v4, v5, vcc_lo
	v_and_or_b32 v2, 0x80000000, v2, v3
	s_delay_alu instid0(VALU_DEP_1)
	v_cvt_f64_f32_e32 v[45:46], v2
.LBB11_586:
	s_mov_b32 s1, 0
	s_mov_b32 s0, -1
.LBB11_587:
	s_and_not1_b32 vcc_lo, exec_lo, s1
	s_cbranch_vccnz .LBB11_598
; %bb.588:
	v_cmp_gt_i16_e64 s1, s51, 14
	s_delay_alu instid0(VALU_DEP_1)
	s_and_b32 vcc_lo, exec_lo, s1
	s_cbranch_vccz .LBB11_591
; %bb.589:
	v_cmp_eq_u16_e64 s1, s51, 15
	s_delay_alu instid0(VALU_DEP_1)
	s_and_b32 vcc_lo, exec_lo, s1
	s_cbranch_vccz .LBB11_592
; %bb.590:
	global_load_u16 v2, v[0:1], off
	s_mov_b32 s0, -1
	s_mov_b32 s66, 0
	s_waitcnt vmcnt(0)
	v_lshlrev_b32_e32 v2, 16, v2
	s_delay_alu instid0(VALU_DEP_1)
	v_cvt_f64_f32_e32 v[45:46], v2
	s_branch .LBB11_593
.LBB11_591:
	s_mov_b32 s1, -1
                                        ; implicit-def: $vgpr45_vgpr46
	s_branch .LBB11_594
.LBB11_592:
	s_mov_b32 s66, -1
                                        ; implicit-def: $vgpr45_vgpr46
.LBB11_593:
	s_mov_b32 s1, 0
.LBB11_594:
	s_delay_alu instid0(SALU_CYCLE_1)
	s_and_b32 vcc_lo, exec_lo, s1
	s_cbranch_vccz .LBB11_598
; %bb.595:
	v_cmp_eq_u16_e64 s1, s51, 11
	s_delay_alu instid0(VALU_DEP_1)
	s_and_b32 vcc_lo, exec_lo, s1
	s_cbranch_vccz .LBB11_597
; %bb.596:
	global_load_u8 v2, v[0:1], off
	s_waitcnt vmcnt(1)
	v_mov_b32_e32 v45, 0
	s_mov_b32 s66, 0
	s_mov_b32 s0, -1
	s_waitcnt vmcnt(0)
	v_cmp_ne_u16_e32 vcc_lo, 0, v2
	v_cndmask_b32_e64 v46, 0, 0x3ff00000, vcc_lo
	s_branch .LBB11_598
.LBB11_597:
	s_mov_b32 s66, -1
                                        ; implicit-def: $vgpr45_vgpr46
.LBB11_598:
	s_mov_b32 s1, 0
.LBB11_599:
	s_delay_alu instid0(SALU_CYCLE_1)
	s_and_b32 vcc_lo, exec_lo, s1
	s_cbranch_vccz .LBB11_648
; %bb.600:
	v_cmp_lt_i16_e64 s0, s51, 5
	s_delay_alu instid0(VALU_DEP_1)
	s_and_b32 vcc_lo, exec_lo, s0
	s_cbranch_vccnz .LBB11_605
; %bb.601:
	v_cmp_lt_i16_e64 s0, s51, 8
	s_delay_alu instid0(VALU_DEP_1)
	s_and_b32 vcc_lo, exec_lo, s0
	s_cbranch_vccnz .LBB11_606
	;; [unrolled: 5-line block ×3, first 2 shown]
; %bb.603:
	v_cmp_gt_i16_e64 s0, s51, 9
	s_delay_alu instid0(VALU_DEP_1)
	s_and_b32 vcc_lo, exec_lo, s0
	s_cbranch_vccz .LBB11_608
; %bb.604:
	global_load_b64 v[45:46], v[0:1], off
	s_mov_b32 s0, 0
	s_branch .LBB11_609
.LBB11_605:
	s_mov_b32 s0, -1
                                        ; implicit-def: $vgpr45_vgpr46
	s_branch .LBB11_627
.LBB11_606:
	s_mov_b32 s0, -1
                                        ; implicit-def: $vgpr45_vgpr46
	s_branch .LBB11_615
.LBB11_607:
	s_mov_b32 s0, -1
                                        ; implicit-def: $vgpr45_vgpr46
	s_branch .LBB11_612
.LBB11_608:
	s_mov_b32 s0, -1
                                        ; implicit-def: $vgpr45_vgpr46
.LBB11_609:
	s_delay_alu instid0(SALU_CYCLE_1)
	s_and_not1_b32 vcc_lo, exec_lo, s0
	s_cbranch_vccnz .LBB11_611
; %bb.610:
	global_load_b32 v2, v[0:1], off
	s_waitcnt vmcnt(0)
	v_cvt_f64_f32_e32 v[45:46], v2
.LBB11_611:
	s_mov_b32 s0, 0
.LBB11_612:
	s_delay_alu instid0(SALU_CYCLE_1)
	s_and_not1_b32 vcc_lo, exec_lo, s0
	s_cbranch_vccnz .LBB11_614
; %bb.613:
	global_load_b32 v2, v[0:1], off
	s_waitcnt vmcnt(0)
	v_cvt_f32_f16_e32 v2, v2
	s_delay_alu instid0(VALU_DEP_1)
	v_cvt_f64_f32_e32 v[45:46], v2
.LBB11_614:
	s_mov_b32 s0, 0
.LBB11_615:
	s_delay_alu instid0(SALU_CYCLE_1)
	s_and_not1_b32 vcc_lo, exec_lo, s0
	s_cbranch_vccnz .LBB11_626
; %bb.616:
	v_cmp_lt_i16_e64 s0, s51, 6
	s_delay_alu instid0(VALU_DEP_1)
	s_and_b32 vcc_lo, exec_lo, s0
	s_cbranch_vccnz .LBB11_619
; %bb.617:
	v_cmp_gt_i16_e64 s0, s51, 6
	s_delay_alu instid0(VALU_DEP_1)
	s_and_b32 vcc_lo, exec_lo, s0
	s_cbranch_vccz .LBB11_620
; %bb.618:
	global_load_b64 v[45:46], v[0:1], off
	s_mov_b32 s0, 0
	s_branch .LBB11_621
.LBB11_619:
	s_mov_b32 s0, -1
                                        ; implicit-def: $vgpr45_vgpr46
	s_branch .LBB11_624
.LBB11_620:
	s_mov_b32 s0, -1
                                        ; implicit-def: $vgpr45_vgpr46
.LBB11_621:
	s_delay_alu instid0(SALU_CYCLE_1)
	s_and_not1_b32 vcc_lo, exec_lo, s0
	s_cbranch_vccnz .LBB11_623
; %bb.622:
	global_load_b32 v2, v[0:1], off
	s_waitcnt vmcnt(0)
	v_cvt_f64_f32_e32 v[45:46], v2
.LBB11_623:
	s_mov_b32 s0, 0
.LBB11_624:
	s_delay_alu instid0(SALU_CYCLE_1)
	s_and_not1_b32 vcc_lo, exec_lo, s0
	s_cbranch_vccnz .LBB11_626
; %bb.625:
	global_load_u16 v2, v[0:1], off
	s_waitcnt vmcnt(0)
	v_cvt_f32_f16_e32 v2, v2
	s_delay_alu instid0(VALU_DEP_1)
	v_cvt_f64_f32_e32 v[45:46], v2
.LBB11_626:
	s_mov_b32 s0, 0
.LBB11_627:
	s_delay_alu instid0(SALU_CYCLE_1)
	s_and_not1_b32 vcc_lo, exec_lo, s0
	s_cbranch_vccnz .LBB11_647
; %bb.628:
	v_cmp_lt_i16_e64 s0, s51, 2
	s_delay_alu instid0(VALU_DEP_1)
	s_and_b32 vcc_lo, exec_lo, s0
	s_cbranch_vccnz .LBB11_632
; %bb.629:
	v_cmp_lt_i16_e64 s0, s51, 3
	s_delay_alu instid0(VALU_DEP_1)
	s_and_b32 vcc_lo, exec_lo, s0
	s_cbranch_vccnz .LBB11_633
; %bb.630:
	v_cmp_gt_i16_e64 s0, s51, 3
	s_delay_alu instid0(VALU_DEP_1)
	s_and_b32 vcc_lo, exec_lo, s0
	s_cbranch_vccz .LBB11_634
; %bb.631:
	global_load_b64 v[2:3], v[0:1], off
	s_mov_b32 s0, 0
	s_waitcnt vmcnt(0)
	v_cvt_f64_i32_e32 v[3:4], v3
	v_cvt_f64_u32_e32 v[5:6], v2
	s_delay_alu instid0(VALU_DEP_2) | instskip(NEXT) | instid1(VALU_DEP_1)
	v_ldexp_f64 v[3:4], v[3:4], 32
	v_add_f64 v[45:46], v[3:4], v[5:6]
	s_branch .LBB11_635
.LBB11_632:
	s_mov_b32 s0, -1
                                        ; implicit-def: $vgpr45_vgpr46
	s_branch .LBB11_641
.LBB11_633:
	s_mov_b32 s0, -1
                                        ; implicit-def: $vgpr45_vgpr46
	s_branch .LBB11_638
.LBB11_634:
	s_mov_b32 s0, -1
                                        ; implicit-def: $vgpr45_vgpr46
.LBB11_635:
	s_delay_alu instid0(SALU_CYCLE_1)
	s_and_not1_b32 vcc_lo, exec_lo, s0
	s_cbranch_vccnz .LBB11_637
; %bb.636:
	global_load_b32 v2, v[0:1], off
	s_waitcnt vmcnt(0)
	v_cvt_f64_i32_e32 v[45:46], v2
.LBB11_637:
	s_mov_b32 s0, 0
.LBB11_638:
	s_delay_alu instid0(SALU_CYCLE_1)
	s_and_not1_b32 vcc_lo, exec_lo, s0
	s_cbranch_vccnz .LBB11_640
; %bb.639:
	global_load_i16 v2, v[0:1], off
	s_waitcnt vmcnt(0)
	v_cvt_f64_i32_e32 v[45:46], v2
.LBB11_640:
	s_mov_b32 s0, 0
.LBB11_641:
	s_delay_alu instid0(SALU_CYCLE_1)
	s_and_not1_b32 vcc_lo, exec_lo, s0
	s_cbranch_vccnz .LBB11_647
; %bb.642:
	v_cmp_gt_i16_e64 s0, s51, 0
	s_delay_alu instid0(VALU_DEP_1)
	s_and_b32 vcc_lo, exec_lo, s0
	s_mov_b32 s0, 0
	s_cbranch_vccz .LBB11_644
; %bb.643:
	global_load_i8 v2, v[0:1], off
	s_waitcnt vmcnt(0)
	v_cvt_f64_i32_e32 v[45:46], v2
	s_branch .LBB11_645
.LBB11_644:
	s_mov_b32 s0, -1
                                        ; implicit-def: $vgpr45_vgpr46
.LBB11_645:
	s_delay_alu instid0(SALU_CYCLE_1)
	s_and_not1_b32 vcc_lo, exec_lo, s0
	s_cbranch_vccnz .LBB11_647
; %bb.646:
	global_load_u8 v0, v[0:1], off
	s_waitcnt vmcnt(0)
	v_cvt_f64_u32_e32 v[45:46], v0
.LBB11_647:
	s_mov_b32 s0, -1
.LBB11_648:
	s_delay_alu instid0(SALU_CYCLE_1)
	s_and_not1_b32 vcc_lo, exec_lo, s0
	s_cbranch_vccnz .LBB11_651
; %bb.649:
	s_and_not1_b32 vcc_lo, exec_lo, s58
	s_cbranch_vccnz .LBB11_652
; %bb.650:
	s_waitcnt vmcnt(0)
	v_dual_mov_b32 v0, v43 :: v_dual_mov_b32 v1, v44
	s_delay_alu instid0(VALU_DEP_2) | instskip(SKIP_3) | instid1(SALU_CYCLE_1)
	v_dual_mov_b32 v2, v45 :: v_dual_mov_b32 v3, v46
	s_getpc_b64 s[0:1]
	s_add_u32 s0, s0, _ZN12_GLOBAL__N_111calc_igammaIdEET_S1_S1_@rel32@lo+4
	s_addc_u32 s1, s1, _ZN12_GLOBAL__N_111calc_igammaIdEET_S1_S1_@rel32@hi+12
	s_swappc_b64 s[30:31], s[0:1]
	s_mov_b32 s0, 0
	s_branch .LBB11_653
.LBB11_651:
	s_mov_b32 s1, 0
	s_mov_b32 s0, s60
	s_branch .LBB11_778
.LBB11_652:
	s_mov_b32 s0, -1
                                        ; implicit-def: $vgpr0_vgpr1
.LBB11_653:
	s_delay_alu instid0(SALU_CYCLE_1)
	s_and_not1_b32 vcc_lo, exec_lo, s0
	s_cbranch_vccnz .LBB11_655
; %bb.654:
	s_waitcnt vmcnt(0)
	v_dual_mov_b32 v0, v43 :: v_dual_mov_b32 v1, v44
	s_delay_alu instid0(VALU_DEP_2) | instskip(SKIP_3) | instid1(SALU_CYCLE_1)
	v_dual_mov_b32 v2, v45 :: v_dual_mov_b32 v3, v46
	s_getpc_b64 s[0:1]
	s_add_u32 s0, s0, _ZN12_GLOBAL__N_112calc_igammacIdEET_S1_S1_@rel32@lo+4
	s_addc_u32 s1, s1, _ZN12_GLOBAL__N_112calc_igammacIdEET_S1_S1_@rel32@hi+12
	s_swappc_b64 s[30:31], s[0:1]
.LBB11_655:
	v_mul_lo_u32 v2, v47, s48
	v_and_b32_e64 v6, 0xff, s43
	s_delay_alu instid0(VALU_DEP_1) | instskip(NEXT) | instid1(VALU_DEP_3)
	v_cmp_gt_i16_e32 vcc_lo, 11, v6
	v_ashrrev_i32_e32 v3, 31, v2
	v_add_co_u32 v4, s0, s44, v2
	s_delay_alu instid0(VALU_DEP_1)
	v_add_co_ci_u32_e64 v5, s0, s45, v3, s0
	s_cbranch_vccnz .LBB11_662
; %bb.656:
	v_cmp_lt_i16_e32 vcc_lo, 25, v6
	s_cbranch_vccz .LBB11_663
; %bb.657:
	v_cmp_lt_i16_e32 vcc_lo, 28, v6
	s_cbranch_vccz .LBB11_664
	;; [unrolled: 3-line block ×4, first 2 shown]
; %bb.660:
	v_cmp_eq_u16_e32 vcc_lo, 46, v6
	s_mov_b32 s2, 0
	s_mov_b32 s0, -1
	s_mov_b32 s1, 0
	s_cbranch_vccz .LBB11_667
; %bb.661:
	v_cvt_f32_f64_e32 v2, v[0:1]
	s_mov_b32 s1, -1
	s_mov_b32 s0, 0
	s_delay_alu instid0(VALU_DEP_1) | instskip(SKIP_1) | instid1(VALU_DEP_2)
	v_bfe_u32 v3, v2, 16, 1
	v_cmp_o_f32_e32 vcc_lo, v2, v2
	v_add3_u32 v3, v2, v3, 0x7fff
	s_delay_alu instid0(VALU_DEP_1) | instskip(NEXT) | instid1(VALU_DEP_1)
	v_lshrrev_b32_e32 v3, 16, v3
	v_cndmask_b32_e32 v2, 0x7fc0, v3, vcc_lo
	global_store_b32 v[4:5], v2, off
	s_branch .LBB11_667
.LBB11_662:
	s_mov_b32 s2, -1
	s_mov_b32 s1, 0
	s_mov_b32 s0, s60
	s_branch .LBB11_736
.LBB11_663:
	s_mov_b32 s2, -1
	s_mov_b32 s1, 0
	s_mov_b32 s0, s60
	s_branch .LBB11_694
.LBB11_664:
	s_mov_b32 s2, -1
	s_mov_b32 s1, 0
	s_mov_b32 s0, s60
	s_branch .LBB11_677
.LBB11_665:
	s_mov_b32 s2, -1
	s_mov_b32 s1, 0
	s_mov_b32 s0, s60
	s_branch .LBB11_673
.LBB11_666:
	s_mov_b32 s2, -1
	s_mov_b32 s1, 0
	s_mov_b32 s0, s60
.LBB11_667:
	s_and_b32 vcc_lo, exec_lo, s2
	s_cbranch_vccz .LBB11_672
; %bb.668:
	v_cmp_eq_u16_e32 vcc_lo, 44, v6
	s_mov_b32 s0, -1
	s_cbranch_vccz .LBB11_672
; %bb.669:
	v_cvt_f32_f64_e32 v2, v[0:1]
	v_mov_b32_e32 v3, 0xff
	s_mov_b32 s1, exec_lo
	s_delay_alu instid0(VALU_DEP_2) | instskip(NEXT) | instid1(VALU_DEP_1)
	v_bfe_u32 v7, v2, 23, 8
	v_cmpx_ne_u32_e32 0xff, v7
; %bb.670:
	v_and_b32_e32 v3, 0x400000, v2
	v_and_or_b32 v7, 0x3fffff, v2, v7
	v_lshrrev_b32_e32 v2, 23, v2
	s_delay_alu instid0(VALU_DEP_3) | instskip(NEXT) | instid1(VALU_DEP_3)
	v_cmp_ne_u32_e32 vcc_lo, 0, v3
	v_cmp_ne_u32_e64 s0, 0, v7
	s_delay_alu instid0(VALU_DEP_1) | instskip(NEXT) | instid1(SALU_CYCLE_1)
	s_and_b32 s0, vcc_lo, s0
	v_cndmask_b32_e64 v3, 0, 1, s0
	s_delay_alu instid0(VALU_DEP_1)
	v_add_nc_u32_e32 v3, v2, v3
; %bb.671:
	s_or_b32 exec_lo, exec_lo, s1
	s_mov_b32 s1, -1
	s_mov_b32 s0, 0
	global_store_b8 v[4:5], v3, off
.LBB11_672:
	s_mov_b32 s2, 0
.LBB11_673:
	s_delay_alu instid0(SALU_CYCLE_1)
	s_and_b32 vcc_lo, exec_lo, s2
	s_cbranch_vccz .LBB11_676
; %bb.674:
	v_cmp_eq_u16_e32 vcc_lo, 29, v6
	s_mov_b32 s0, -1
	s_cbranch_vccz .LBB11_676
; %bb.675:
	v_trunc_f64_e32 v[2:3], v[0:1]
	s_mov_b32 s1, -1
	s_mov_b32 s0, 0
	s_mov_b32 s2, 0
	s_delay_alu instid0(VALU_DEP_1) | instskip(NEXT) | instid1(VALU_DEP_1)
	v_ldexp_f64 v[7:8], v[2:3], 0xffffffe0
	v_floor_f64_e32 v[7:8], v[7:8]
	s_delay_alu instid0(VALU_DEP_1) | instskip(SKIP_1) | instid1(VALU_DEP_2)
	v_fma_f64 v[2:3], 0xc1f00000, v[7:8], v[2:3]
	v_cvt_u32_f64_e32 v8, v[7:8]
	v_cvt_u32_f64_e32 v7, v[2:3]
	global_store_b64 v[4:5], v[7:8], off
	s_branch .LBB11_677
.LBB11_676:
	s_mov_b32 s2, 0
.LBB11_677:
	s_delay_alu instid0(SALU_CYCLE_1)
	s_and_b32 vcc_lo, exec_lo, s2
	s_cbranch_vccz .LBB11_693
; %bb.678:
	v_cmp_gt_i16_e32 vcc_lo, 27, v6
	s_mov_b32 s1, -1
	s_cbranch_vccnz .LBB11_684
; %bb.679:
	v_cmp_lt_i16_e32 vcc_lo, 27, v6
	s_cbranch_vccz .LBB11_681
; %bb.680:
	v_cvt_u32_f64_e32 v2, v[0:1]
	s_mov_b32 s1, 0
	global_store_b32 v[4:5], v2, off
.LBB11_681:
	s_and_not1_b32 vcc_lo, exec_lo, s1
	s_cbranch_vccnz .LBB11_683
; %bb.682:
	v_cvt_u32_f64_e32 v2, v[0:1]
	global_store_b16 v[4:5], v2, off
.LBB11_683:
	s_mov_b32 s1, 0
.LBB11_684:
	s_delay_alu instid0(SALU_CYCLE_1)
	s_and_not1_b32 vcc_lo, exec_lo, s1
	s_cbranch_vccnz .LBB11_692
; %bb.685:
	v_cvt_f32_f64_e32 v2, v[0:1]
	v_mov_b32_e32 v7, 0x80
	s_mov_b32 s1, exec_lo
	s_delay_alu instid0(VALU_DEP_2) | instskip(NEXT) | instid1(VALU_DEP_1)
	v_and_b32_e32 v3, 0x7fffffff, v2
	v_cmpx_gt_u32_e32 0x43800000, v3
	s_cbranch_execz .LBB11_691
; %bb.686:
	v_cmp_lt_u32_e32 vcc_lo, 0x3bffffff, v3
	s_mov_b32 s2, 0
                                        ; implicit-def: $vgpr3
	s_and_saveexec_b32 s3, vcc_lo
	s_delay_alu instid0(SALU_CYCLE_1)
	s_xor_b32 s3, exec_lo, s3
	s_cbranch_execz .LBB11_794
; %bb.687:
	v_bfe_u32 v3, v2, 20, 1
	s_mov_b32 s2, exec_lo
	s_delay_alu instid0(VALU_DEP_1) | instskip(NEXT) | instid1(VALU_DEP_1)
	v_add3_u32 v3, v2, v3, 0x487ffff
	v_lshrrev_b32_e32 v3, 20, v3
	s_or_saveexec_b32 s3, s3
                                        ; implicit-def: $sgpr4
	s_delay_alu instid0(SALU_CYCLE_1)
	s_xor_b32 exec_lo, exec_lo, s3
	s_cbranch_execnz .LBB11_795
.LBB11_688:
	s_or_b32 exec_lo, exec_lo, s3
	v_mov_b32_e32 v7, s4
	s_and_saveexec_b32 s3, s2
.LBB11_689:
	v_lshrrev_b32_e32 v2, 24, v2
	s_delay_alu instid0(VALU_DEP_1)
	v_and_or_b32 v7, 0x80, v2, v3
.LBB11_690:
	s_or_b32 exec_lo, exec_lo, s3
.LBB11_691:
	s_delay_alu instid0(SALU_CYCLE_1)
	s_or_b32 exec_lo, exec_lo, s1
	global_store_b8 v[4:5], v7, off
.LBB11_692:
	s_mov_b32 s1, -1
.LBB11_693:
	s_mov_b32 s2, 0
.LBB11_694:
	s_delay_alu instid0(SALU_CYCLE_1)
	s_and_b32 vcc_lo, exec_lo, s2
	s_cbranch_vccz .LBB11_735
; %bb.695:
	v_cmp_lt_i16_e32 vcc_lo, 22, v6
	s_mov_b32 s2, -1
	s_cbranch_vccz .LBB11_727
; %bb.696:
	v_cmp_gt_i16_e32 vcc_lo, 24, v6
	s_mov_b32 s1, -1
	s_cbranch_vccnz .LBB11_716
; %bb.697:
	v_cmp_lt_i16_e32 vcc_lo, 24, v6
	s_cbranch_vccz .LBB11_705
; %bb.698:
	v_cvt_f32_f64_e32 v2, v[0:1]
	v_mov_b32_e32 v7, 0x80
	s_mov_b32 s1, exec_lo
	s_delay_alu instid0(VALU_DEP_2) | instskip(NEXT) | instid1(VALU_DEP_1)
	v_and_b32_e32 v3, 0x7fffffff, v2
	v_cmpx_gt_u32_e32 0x47800000, v3
	s_cbranch_execz .LBB11_704
; %bb.699:
	v_cmp_lt_u32_e32 vcc_lo, 0x37ffffff, v3
	s_mov_b32 s2, 0
                                        ; implicit-def: $vgpr3
	s_and_saveexec_b32 s3, vcc_lo
	s_delay_alu instid0(SALU_CYCLE_1)
	s_xor_b32 s3, exec_lo, s3
	s_cbranch_execz .LBB11_926
; %bb.700:
	v_bfe_u32 v3, v2, 21, 1
	s_mov_b32 s2, exec_lo
	s_delay_alu instid0(VALU_DEP_1) | instskip(NEXT) | instid1(VALU_DEP_1)
	v_add3_u32 v3, v2, v3, 0x88fffff
	v_lshrrev_b32_e32 v3, 21, v3
	s_or_saveexec_b32 s3, s3
                                        ; implicit-def: $sgpr4
	s_delay_alu instid0(SALU_CYCLE_1)
	s_xor_b32 exec_lo, exec_lo, s3
	s_cbranch_execnz .LBB11_927
.LBB11_701:
	s_or_b32 exec_lo, exec_lo, s3
	v_mov_b32_e32 v7, s4
	s_and_saveexec_b32 s3, s2
.LBB11_702:
	v_lshrrev_b32_e32 v2, 24, v2
	s_delay_alu instid0(VALU_DEP_1)
	v_and_or_b32 v7, 0x80, v2, v3
.LBB11_703:
	s_or_b32 exec_lo, exec_lo, s3
.LBB11_704:
	s_delay_alu instid0(SALU_CYCLE_1)
	s_or_b32 exec_lo, exec_lo, s1
	s_mov_b32 s1, 0
	global_store_b8 v[4:5], v7, off
.LBB11_705:
	s_and_b32 vcc_lo, exec_lo, s1
	s_cbranch_vccz .LBB11_715
; %bb.706:
	v_cvt_f32_f64_e32 v2, v[0:1]
	s_mov_b32 s1, exec_lo
                                        ; implicit-def: $vgpr3
	s_delay_alu instid0(VALU_DEP_1) | instskip(NEXT) | instid1(VALU_DEP_1)
	v_and_b32_e32 v7, 0x7fffffff, v2
	v_cmpx_gt_u32_e32 0x43f00000, v7
	s_xor_b32 s1, exec_lo, s1
	s_cbranch_execz .LBB11_712
; %bb.707:
	s_mov_b32 s2, exec_lo
                                        ; implicit-def: $vgpr3
	v_cmpx_lt_u32_e32 0x3c7fffff, v7
	s_xor_b32 s2, exec_lo, s2
; %bb.708:
	v_bfe_u32 v3, v2, 20, 1
	s_delay_alu instid0(VALU_DEP_1) | instskip(NEXT) | instid1(VALU_DEP_1)
	v_add3_u32 v3, v2, v3, 0x407ffff
	v_and_b32_e32 v7, 0xff00000, v3
	v_lshrrev_b32_e32 v3, 20, v3
	s_delay_alu instid0(VALU_DEP_2) | instskip(NEXT) | instid1(VALU_DEP_2)
	v_cmp_ne_u32_e32 vcc_lo, 0x7f00000, v7
	v_cndmask_b32_e32 v3, 0x7e, v3, vcc_lo
; %bb.709:
	s_and_not1_saveexec_b32 s2, s2
; %bb.710:
	v_add_f32_e64 v3, 0x46800000, |v2|
; %bb.711:
	s_or_b32 exec_lo, exec_lo, s2
                                        ; implicit-def: $vgpr7
.LBB11_712:
	s_and_not1_saveexec_b32 s1, s1
; %bb.713:
	v_mov_b32_e32 v3, 0x7f
	v_cmp_lt_u32_e32 vcc_lo, 0x7f800000, v7
	s_delay_alu instid0(VALU_DEP_2)
	v_cndmask_b32_e32 v3, 0x7e, v3, vcc_lo
; %bb.714:
	s_or_b32 exec_lo, exec_lo, s1
	v_lshrrev_b32_e32 v2, 24, v2
	s_delay_alu instid0(VALU_DEP_1)
	v_and_or_b32 v2, 0x80, v2, v3
	global_store_b8 v[4:5], v2, off
.LBB11_715:
	s_mov_b32 s1, 0
.LBB11_716:
	s_delay_alu instid0(SALU_CYCLE_1)
	s_and_not1_b32 vcc_lo, exec_lo, s1
	s_cbranch_vccnz .LBB11_726
; %bb.717:
	v_cvt_f32_f64_e32 v2, v[0:1]
	s_mov_b32 s1, exec_lo
                                        ; implicit-def: $vgpr3
	s_delay_alu instid0(VALU_DEP_1) | instskip(NEXT) | instid1(VALU_DEP_1)
	v_and_b32_e32 v7, 0x7fffffff, v2
	v_cmpx_gt_u32_e32 0x47800000, v7
	s_xor_b32 s1, exec_lo, s1
	s_cbranch_execz .LBB11_723
; %bb.718:
	s_mov_b32 s2, exec_lo
                                        ; implicit-def: $vgpr3
	v_cmpx_lt_u32_e32 0x387fffff, v7
	s_xor_b32 s2, exec_lo, s2
; %bb.719:
	v_bfe_u32 v3, v2, 21, 1
	s_delay_alu instid0(VALU_DEP_1) | instskip(NEXT) | instid1(VALU_DEP_1)
	v_add3_u32 v3, v2, v3, 0x80fffff
	v_lshrrev_b32_e32 v3, 21, v3
; %bb.720:
	s_and_not1_saveexec_b32 s2, s2
; %bb.721:
	v_add_f32_e64 v3, 0x43000000, |v2|
; %bb.722:
	s_or_b32 exec_lo, exec_lo, s2
                                        ; implicit-def: $vgpr7
.LBB11_723:
	s_and_not1_saveexec_b32 s1, s1
; %bb.724:
	v_mov_b32_e32 v3, 0x7f
	v_cmp_lt_u32_e32 vcc_lo, 0x7f800000, v7
	s_delay_alu instid0(VALU_DEP_2)
	v_cndmask_b32_e32 v3, 0x7c, v3, vcc_lo
; %bb.725:
	s_or_b32 exec_lo, exec_lo, s1
	v_lshrrev_b32_e32 v2, 24, v2
	s_delay_alu instid0(VALU_DEP_1)
	v_and_or_b32 v2, 0x80, v2, v3
	global_store_b8 v[4:5], v2, off
.LBB11_726:
	s_mov_b32 s2, 0
	s_mov_b32 s1, -1
.LBB11_727:
	s_and_not1_b32 vcc_lo, exec_lo, s2
	s_cbranch_vccnz .LBB11_735
; %bb.728:
	v_cmp_lt_i16_e32 vcc_lo, 14, v6
	s_mov_b32 s2, -1
	s_cbranch_vccz .LBB11_732
; %bb.729:
	v_cmp_eq_u16_e32 vcc_lo, 15, v6
	s_mov_b32 s0, -1
	s_cbranch_vccz .LBB11_731
; %bb.730:
	v_cvt_f32_f64_e32 v2, v[0:1]
	s_mov_b32 s1, -1
	s_mov_b32 s0, 0
	s_delay_alu instid0(VALU_DEP_1) | instskip(SKIP_1) | instid1(VALU_DEP_2)
	v_bfe_u32 v3, v2, 16, 1
	v_cmp_o_f32_e32 vcc_lo, v2, v2
	v_add3_u32 v3, v2, v3, 0x7fff
	s_delay_alu instid0(VALU_DEP_1) | instskip(NEXT) | instid1(VALU_DEP_1)
	v_lshrrev_b32_e32 v3, 16, v3
	v_cndmask_b32_e32 v2, 0x7fc0, v3, vcc_lo
	global_store_b16 v[4:5], v2, off
.LBB11_731:
	s_mov_b32 s2, 0
.LBB11_732:
	s_delay_alu instid0(SALU_CYCLE_1)
	s_and_b32 vcc_lo, exec_lo, s2
	s_cbranch_vccz .LBB11_735
; %bb.733:
	v_cmp_eq_u16_e32 vcc_lo, 11, v6
	s_mov_b32 s0, -1
	s_cbranch_vccz .LBB11_735
; %bb.734:
	v_cmp_neq_f64_e32 vcc_lo, 0, v[0:1]
	s_mov_b32 s1, -1
	s_mov_b32 s0, 0
	v_cndmask_b32_e64 v2, 0, 1, vcc_lo
	global_store_b8 v[4:5], v2, off
.LBB11_735:
	s_mov_b32 s2, 0
.LBB11_736:
	s_delay_alu instid0(SALU_CYCLE_1)
	s_and_b32 vcc_lo, exec_lo, s2
	s_cbranch_vccz .LBB11_775
; %bb.737:
	v_cmp_gt_i16_e32 vcc_lo, 5, v6
	s_mov_b32 s1, -1
	s_cbranch_vccnz .LBB11_758
; %bb.738:
	v_cmp_gt_i16_e32 vcc_lo, 8, v6
	s_cbranch_vccnz .LBB11_748
; %bb.739:
	v_cmp_gt_i16_e32 vcc_lo, 9, v6
	s_cbranch_vccnz .LBB11_745
; %bb.740:
	v_cmp_lt_i16_e32 vcc_lo, 9, v6
	s_cbranch_vccz .LBB11_742
; %bb.741:
	v_mov_b32_e32 v2, 0
	s_mov_b32 s1, 0
	s_delay_alu instid0(VALU_DEP_1)
	v_mov_b32_e32 v3, v2
	global_store_b128 v[4:5], v[0:3], off
.LBB11_742:
	s_and_not1_b32 vcc_lo, exec_lo, s1
	s_cbranch_vccnz .LBB11_744
; %bb.743:
	v_cvt_f32_f64_e32 v2, v[0:1]
	v_mov_b32_e32 v3, 0
	global_store_b64 v[4:5], v[2:3], off
.LBB11_744:
	s_mov_b32 s1, 0
.LBB11_745:
	s_delay_alu instid0(SALU_CYCLE_1)
	s_and_not1_b32 vcc_lo, exec_lo, s1
	s_cbranch_vccnz .LBB11_747
; %bb.746:
	v_cvt_f32_f64_e32 v2, v[0:1]
	s_delay_alu instid0(VALU_DEP_1) | instskip(NEXT) | instid1(VALU_DEP_1)
	v_cvt_f16_f32_e32 v2, v2
	v_and_b32_e32 v2, 0xffff, v2
	global_store_b32 v[4:5], v2, off
.LBB11_747:
	s_mov_b32 s1, 0
.LBB11_748:
	s_delay_alu instid0(SALU_CYCLE_1)
	s_and_not1_b32 vcc_lo, exec_lo, s1
	s_cbranch_vccnz .LBB11_757
; %bb.749:
	v_cmp_gt_i16_e32 vcc_lo, 6, v6
	s_mov_b32 s1, -1
	s_cbranch_vccnz .LBB11_755
; %bb.750:
	v_cmp_lt_i16_e32 vcc_lo, 6, v6
	s_cbranch_vccz .LBB11_752
; %bb.751:
	s_mov_b32 s1, 0
	global_store_b64 v[4:5], v[0:1], off
.LBB11_752:
	s_and_not1_b32 vcc_lo, exec_lo, s1
	s_cbranch_vccnz .LBB11_754
; %bb.753:
	v_cvt_f32_f64_e32 v2, v[0:1]
	global_store_b32 v[4:5], v2, off
.LBB11_754:
	s_mov_b32 s1, 0
.LBB11_755:
	s_delay_alu instid0(SALU_CYCLE_1)
	s_and_not1_b32 vcc_lo, exec_lo, s1
	s_cbranch_vccnz .LBB11_757
; %bb.756:
	v_cvt_f32_f64_e32 v2, v[0:1]
	s_delay_alu instid0(VALU_DEP_1)
	v_cvt_f16_f32_e32 v2, v2
	global_store_b16 v[4:5], v2, off
.LBB11_757:
	s_mov_b32 s1, 0
.LBB11_758:
	s_delay_alu instid0(SALU_CYCLE_1)
	s_and_not1_b32 vcc_lo, exec_lo, s1
	s_cbranch_vccnz .LBB11_774
; %bb.759:
	v_cmp_gt_i16_e32 vcc_lo, 2, v6
	s_mov_b32 s1, -1
	s_cbranch_vccnz .LBB11_769
; %bb.760:
	v_cmp_gt_i16_e32 vcc_lo, 3, v6
	s_cbranch_vccnz .LBB11_766
; %bb.761:
	v_cmp_lt_i16_e32 vcc_lo, 3, v6
	s_cbranch_vccz .LBB11_763
; %bb.762:
	v_trunc_f64_e32 v[2:3], v[0:1]
	s_mov_b32 s1, 0
	s_delay_alu instid0(VALU_DEP_1) | instskip(NEXT) | instid1(VALU_DEP_1)
	v_ldexp_f64 v[7:8], v[2:3], 0xffffffe0
	v_floor_f64_e32 v[7:8], v[7:8]
	s_delay_alu instid0(VALU_DEP_1) | instskip(SKIP_1) | instid1(VALU_DEP_2)
	v_fma_f64 v[2:3], 0xc1f00000, v[7:8], v[2:3]
	v_cvt_i32_f64_e32 v8, v[7:8]
	v_cvt_u32_f64_e32 v7, v[2:3]
	global_store_b64 v[4:5], v[7:8], off
.LBB11_763:
	s_and_not1_b32 vcc_lo, exec_lo, s1
	s_cbranch_vccnz .LBB11_765
; %bb.764:
	v_cvt_i32_f64_e32 v2, v[0:1]
	global_store_b32 v[4:5], v2, off
.LBB11_765:
	s_mov_b32 s1, 0
.LBB11_766:
	s_delay_alu instid0(SALU_CYCLE_1)
	s_and_not1_b32 vcc_lo, exec_lo, s1
	s_cbranch_vccnz .LBB11_768
; %bb.767:
	v_cvt_i32_f64_e32 v2, v[0:1]
	global_store_b16 v[4:5], v2, off
.LBB11_768:
	s_mov_b32 s1, 0
.LBB11_769:
	s_delay_alu instid0(SALU_CYCLE_1)
	s_and_not1_b32 vcc_lo, exec_lo, s1
	s_cbranch_vccnz .LBB11_774
; %bb.770:
	v_cmp_lt_i16_e32 vcc_lo, 0, v6
	s_mov_b32 s1, -1
	s_cbranch_vccz .LBB11_772
; %bb.771:
	v_cvt_i32_f64_e32 v2, v[0:1]
	s_mov_b32 s1, 0
	global_store_b8 v[4:5], v2, off
.LBB11_772:
	s_and_not1_b32 vcc_lo, exec_lo, s1
	s_cbranch_vccnz .LBB11_774
; %bb.773:
	v_trunc_f64_e32 v[0:1], v[0:1]
	s_delay_alu instid0(VALU_DEP_1) | instskip(NEXT) | instid1(VALU_DEP_1)
	v_ldexp_f64 v[2:3], v[0:1], 0xffffffe0
	v_floor_f64_e32 v[2:3], v[2:3]
	s_delay_alu instid0(VALU_DEP_1) | instskip(NEXT) | instid1(VALU_DEP_1)
	v_fma_f64 v[0:1], 0xc1f00000, v[2:3], v[0:1]
	v_cvt_u32_f64_e32 v0, v[0:1]
	global_store_b8 v[4:5], v0, off
.LBB11_774:
	s_mov_b32 s1, -1
.LBB11_775:
	s_delay_alu instid0(SALU_CYCLE_1)
	s_and_not1_b32 vcc_lo, exec_lo, s1
	s_cbranch_vccnz .LBB11_777
; %bb.776:
	v_add_nc_u32_e32 v47, 0x80, v47
	s_mov_b32 s1, -1
	s_branch .LBB11_779
.LBB11_777:
	s_mov_b32 s1, 0
.LBB11_778:
                                        ; implicit-def: $vgpr47
.LBB11_779:
	s_and_not1_b32 s2, s60, exec_lo
	s_and_b32 s0, s0, exec_lo
	s_and_not1_b32 s3, s62, exec_lo
	s_or_b32 s65, s2, s0
	s_and_not1_b32 s0, s61, exec_lo
	s_and_b32 s2, s66, exec_lo
	s_and_b32 s4, s64, exec_lo
	s_or_b32 s66, s0, s2
	s_or_b32 s64, s3, s4
	s_or_not1_b32 s2, s1, exec_lo
.LBB11_780:
	s_or_b32 exec_lo, exec_lo, s67
	s_mov_b32 s1, 0
	s_mov_b32 s3, 0
	;; [unrolled: 1-line block ×3, first 2 shown]
                                        ; implicit-def: $vgpr2
                                        ; implicit-def: $vgpr0_vgpr1
                                        ; implicit-def: $vgpr43_vgpr44
	s_and_saveexec_b32 s67, s2
	s_cbranch_execz .LBB11_1260
; %bb.781:
	s_mov_b32 s7, -1
	s_mov_b32 s2, s64
	s_mov_b32 s4, s66
	s_mov_b32 s3, s65
	s_mov_b32 s68, exec_lo
	v_cmpx_gt_i32_e64 s59, v47
	s_cbranch_execz .LBB11_1176
; %bb.782:
	v_mul_lo_u32 v0, v47, s49
	v_and_b32_e64 v2, 0xff, s56
	s_delay_alu instid0(VALU_DEP_1) | instskip(NEXT) | instid1(VALU_DEP_3)
	v_cmp_gt_i16_e32 vcc_lo, 11, v2
	v_ashrrev_i32_e32 v1, 31, v0
	v_add_co_u32 v0, s0, s46, v0
	s_delay_alu instid0(VALU_DEP_1)
	v_add_co_ci_u32_e64 v1, s0, s47, v1, s0
	s_cbranch_vccnz .LBB11_789
; %bb.783:
	v_cmp_lt_i16_e32 vcc_lo, 25, v2
	s_cbranch_vccz .LBB11_790
; %bb.784:
	v_cmp_lt_i16_e32 vcc_lo, 28, v2
	s_cbranch_vccz .LBB11_791
	;; [unrolled: 3-line block ×4, first 2 shown]
; %bb.787:
	v_cmp_eq_u16_e32 vcc_lo, 46, v2
	s_cbranch_vccz .LBB11_796
; %bb.788:
	global_load_b32 v3, v[0:1], off
	s_mov_b32 s0, -1
	s_mov_b32 s69, 0
	s_waitcnt vmcnt(0)
	v_lshlrev_b32_e32 v3, 16, v3
	s_delay_alu instid0(VALU_DEP_1)
	v_cvt_f64_f32_e32 v[43:44], v3
	s_branch .LBB11_798
.LBB11_789:
	s_mov_b32 s1, -1
	s_mov_b32 s0, 0
	s_mov_b32 s69, s64
                                        ; implicit-def: $vgpr43_vgpr44
	s_branch .LBB11_863
.LBB11_790:
	s_mov_b32 s1, -1
	s_mov_b32 s0, 0
	s_mov_b32 s69, s64
                                        ; implicit-def: $vgpr43_vgpr44
	s_branch .LBB11_829
.LBB11_791:
	s_mov_b32 s1, -1
	s_mov_b32 s0, 0
	s_mov_b32 s69, s64
                                        ; implicit-def: $vgpr43_vgpr44
	s_branch .LBB11_808
.LBB11_792:
	s_mov_b32 s1, -1
	s_mov_b32 s0, 0
	s_mov_b32 s69, s64
                                        ; implicit-def: $vgpr43_vgpr44
	s_branch .LBB11_803
.LBB11_793:
	s_mov_b32 s1, -1
	s_mov_b32 s0, 0
	s_mov_b32 s69, s64
	s_branch .LBB11_797
.LBB11_794:
	s_or_saveexec_b32 s3, s3
                                        ; implicit-def: $sgpr4
	s_delay_alu instid0(SALU_CYCLE_1)
	s_xor_b32 exec_lo, exec_lo, s3
	s_cbranch_execz .LBB11_688
.LBB11_795:
	v_add_f32_e64 v3, 0x46000000, |v2|
	s_and_not1_b32 s2, s2, exec_lo
	s_mov_b32 s4, 0
	s_delay_alu instid0(VALU_DEP_1) | instskip(NEXT) | instid1(VALU_DEP_1)
	v_and_b32_e32 v3, 0xff, v3
	v_cmp_ne_u32_e32 vcc_lo, 0, v3
	s_and_b32 s5, vcc_lo, exec_lo
	s_delay_alu instid0(SALU_CYCLE_1)
	s_or_b32 s2, s2, s5
	s_or_b32 exec_lo, exec_lo, s3
	v_mov_b32_e32 v7, s4
	s_and_saveexec_b32 s3, s2
	s_cbranch_execnz .LBB11_689
	s_branch .LBB11_690
.LBB11_796:
	s_mov_b32 s69, -1
	s_mov_b32 s0, 0
.LBB11_797:
                                        ; implicit-def: $vgpr43_vgpr44
.LBB11_798:
	s_and_b32 vcc_lo, exec_lo, s1
	s_cbranch_vccz .LBB11_802
; %bb.799:
	v_cmp_eq_u16_e32 vcc_lo, 44, v2
	s_cbranch_vccz .LBB11_801
; %bb.800:
	global_load_u8 v5, v[0:1], off
	s_mov_b32 s69, 0
	s_mov_b32 s0, -1
	s_waitcnt vmcnt(0)
	v_cmp_ne_u32_e32 vcc_lo, 0xff, v5
	v_lshlrev_b32_e32 v3, 23, v5
	s_delay_alu instid0(VALU_DEP_1) | instskip(NEXT) | instid1(VALU_DEP_1)
	v_cvt_f64_f32_e32 v[3:4], v3
	v_cndmask_b32_e32 v4, 0x7ff80000, v4, vcc_lo
	s_delay_alu instid0(VALU_DEP_2) | instskip(SKIP_1) | instid1(VALU_DEP_3)
	v_cndmask_b32_e32 v3, 0x20000000, v3, vcc_lo
	v_cmp_ne_u32_e32 vcc_lo, 0, v5
	v_cndmask_b32_e32 v44, 0x38000000, v4, vcc_lo
	s_delay_alu instid0(VALU_DEP_3)
	v_cndmask_b32_e32 v43, 0, v3, vcc_lo
	s_branch .LBB11_802
.LBB11_801:
	s_mov_b32 s69, -1
                                        ; implicit-def: $vgpr43_vgpr44
.LBB11_802:
	s_mov_b32 s1, 0
.LBB11_803:
	s_delay_alu instid0(SALU_CYCLE_1)
	s_and_b32 vcc_lo, exec_lo, s1
	s_cbranch_vccz .LBB11_807
; %bb.804:
	v_cmp_eq_u16_e32 vcc_lo, 29, v2
	s_cbranch_vccz .LBB11_806
; %bb.805:
	global_load_b64 v[3:4], v[0:1], off
	s_mov_b32 s0, -1
	s_mov_b32 s69, 0
	s_mov_b32 s1, 0
	s_waitcnt vmcnt(0)
	v_cvt_f64_u32_e32 v[4:5], v4
	v_cvt_f64_u32_e32 v[6:7], v3
	s_delay_alu instid0(VALU_DEP_2) | instskip(NEXT) | instid1(VALU_DEP_1)
	v_ldexp_f64 v[4:5], v[4:5], 32
	v_add_f64 v[43:44], v[4:5], v[6:7]
	s_branch .LBB11_808
.LBB11_806:
	s_mov_b32 s69, -1
                                        ; implicit-def: $vgpr43_vgpr44
.LBB11_807:
	s_mov_b32 s1, 0
.LBB11_808:
	s_delay_alu instid0(SALU_CYCLE_1)
	s_and_b32 vcc_lo, exec_lo, s1
	s_cbranch_vccz .LBB11_828
; %bb.809:
	v_cmp_gt_i16_e32 vcc_lo, 27, v2
	s_cbranch_vccnz .LBB11_812
; %bb.810:
	v_cmp_lt_i16_e32 vcc_lo, 27, v2
	s_cbranch_vccz .LBB11_813
; %bb.811:
	global_load_b32 v3, v[0:1], off
	s_mov_b32 s0, 0
	s_waitcnt vmcnt(0)
	v_cvt_f64_u32_e32 v[43:44], v3
	s_branch .LBB11_814
.LBB11_812:
	s_mov_b32 s0, -1
                                        ; implicit-def: $vgpr43_vgpr44
	s_branch .LBB11_817
.LBB11_813:
	s_mov_b32 s0, -1
                                        ; implicit-def: $vgpr43_vgpr44
.LBB11_814:
	s_delay_alu instid0(SALU_CYCLE_1)
	s_and_not1_b32 vcc_lo, exec_lo, s0
	s_cbranch_vccnz .LBB11_816
; %bb.815:
	global_load_u16 v3, v[0:1], off
	s_waitcnt vmcnt(0)
	v_cvt_f64_u32_e32 v[43:44], v3
.LBB11_816:
	s_mov_b32 s0, 0
.LBB11_817:
	s_delay_alu instid0(SALU_CYCLE_1)
	s_and_not1_b32 vcc_lo, exec_lo, s0
	s_cbranch_vccnz .LBB11_827
; %bb.818:
	global_load_u8 v3, v[0:1], off
	s_mov_b32 s2, 0
	s_mov_b32 s3, exec_lo
                                        ; implicit-def: $sgpr0_sgpr1
	s_waitcnt vmcnt(0)
	v_cmpx_lt_i16_e32 0x7f, v3
	s_xor_b32 s3, exec_lo, s3
	s_cbranch_execz .LBB11_822
; %bb.819:
	s_mov_b32 s4, -1
	s_mov_b32 s2, exec_lo
                                        ; implicit-def: $sgpr0_sgpr1
	v_cmpx_eq_u16_e32 0x80, v3
; %bb.820:
	s_mov_b32 s1, 0x7ff80000
	s_brev_b32 s0, 4
	s_xor_b32 s4, exec_lo, -1
; %bb.821:
	s_or_b32 exec_lo, exec_lo, s2
	s_delay_alu instid0(SALU_CYCLE_1)
	s_and_b32 s2, s4, exec_lo
.LBB11_822:
	s_or_saveexec_b32 s3, s3
	v_dual_mov_b32 v44, s1 :: v_dual_mov_b32 v43, s0
	s_xor_b32 exec_lo, exec_lo, s3
; %bb.823:
	v_cmp_ne_u16_e32 vcc_lo, 0, v3
	v_mov_b32_e32 v43, 0
	v_mov_b32_e32 v44, 0
	s_and_not1_b32 s0, s2, exec_lo
	s_and_b32 s1, vcc_lo, exec_lo
	s_delay_alu instid0(SALU_CYCLE_1)
	s_or_b32 s2, s0, s1
; %bb.824:
	s_or_b32 exec_lo, exec_lo, s3
	s_and_saveexec_b32 s0, s2
	s_cbranch_execz .LBB11_826
; %bb.825:
	v_and_b32_e32 v4, 0xffff, v3
	v_lshlrev_b32_e32 v3, 24, v3
	s_delay_alu instid0(VALU_DEP_2) | instskip(NEXT) | instid1(VALU_DEP_2)
	v_and_b32_e32 v5, 7, v4
	v_and_b32_e32 v3, 0x80000000, v3
	s_delay_alu instid0(VALU_DEP_2) | instskip(NEXT) | instid1(VALU_DEP_1)
	v_clz_i32_u32_e32 v6, v5
	v_min_u32_e32 v6, 32, v6
	s_delay_alu instid0(VALU_DEP_1) | instskip(SKIP_1) | instid1(VALU_DEP_2)
	v_subrev_nc_u32_e32 v7, 28, v6
	v_sub_nc_u32_e32 v6, 29, v6
	v_lshlrev_b32_e32 v7, v7, v4
	v_bfe_u32 v4, v4, 3, 4
	s_delay_alu instid0(VALU_DEP_2) | instskip(NEXT) | instid1(VALU_DEP_2)
	v_and_b32_e32 v7, 7, v7
	v_cmp_eq_u32_e32 vcc_lo, 0, v4
	s_delay_alu instid0(VALU_DEP_2) | instskip(NEXT) | instid1(VALU_DEP_1)
	v_dual_cndmask_b32 v4, v4, v6 :: v_dual_cndmask_b32 v5, v5, v7
	v_lshl_add_u32 v4, v4, 23, 0x3b800000
	s_delay_alu instid0(VALU_DEP_2) | instskip(NEXT) | instid1(VALU_DEP_1)
	v_lshlrev_b32_e32 v5, 20, v5
	v_or3_b32 v3, v3, v4, v5
	s_delay_alu instid0(VALU_DEP_1)
	v_cvt_f64_f32_e32 v[43:44], v3
.LBB11_826:
	s_or_b32 exec_lo, exec_lo, s0
.LBB11_827:
	s_mov_b32 s0, -1
.LBB11_828:
	s_mov_b32 s1, 0
.LBB11_829:
	s_delay_alu instid0(SALU_CYCLE_1)
	s_and_b32 vcc_lo, exec_lo, s1
	s_cbranch_vccz .LBB11_862
; %bb.830:
	v_cmp_lt_i16_e32 vcc_lo, 22, v2
	s_cbranch_vccz .LBB11_842
; %bb.831:
	v_cmp_gt_i16_e32 vcc_lo, 24, v2
	s_cbranch_vccnz .LBB11_843
; %bb.832:
	v_cmp_lt_i16_e32 vcc_lo, 24, v2
	s_cbranch_vccz .LBB11_844
; %bb.833:
	global_load_u8 v3, v[0:1], off
	s_mov_b32 s2, 0
	s_mov_b32 s3, exec_lo
                                        ; implicit-def: $sgpr0_sgpr1
	s_waitcnt vmcnt(0)
	v_cmpx_lt_i16_e32 0x7f, v3
	s_xor_b32 s3, exec_lo, s3
	s_cbranch_execz .LBB11_837
; %bb.834:
	s_mov_b32 s4, -1
	s_mov_b32 s2, exec_lo
                                        ; implicit-def: $sgpr0_sgpr1
	v_cmpx_eq_u16_e32 0x80, v3
; %bb.835:
	s_mov_b32 s1, 0x7ff80000
	s_brev_b32 s0, 4
	s_xor_b32 s4, exec_lo, -1
; %bb.836:
	s_or_b32 exec_lo, exec_lo, s2
	s_delay_alu instid0(SALU_CYCLE_1)
	s_and_b32 s2, s4, exec_lo
.LBB11_837:
	s_or_saveexec_b32 s3, s3
	v_dual_mov_b32 v44, s1 :: v_dual_mov_b32 v43, s0
	s_xor_b32 exec_lo, exec_lo, s3
; %bb.838:
	v_cmp_ne_u16_e32 vcc_lo, 0, v3
	v_mov_b32_e32 v43, 0
	v_mov_b32_e32 v44, 0
	s_and_not1_b32 s0, s2, exec_lo
	s_and_b32 s1, vcc_lo, exec_lo
	s_delay_alu instid0(SALU_CYCLE_1)
	s_or_b32 s2, s0, s1
; %bb.839:
	s_or_b32 exec_lo, exec_lo, s3
	s_and_saveexec_b32 s0, s2
	s_cbranch_execz .LBB11_841
; %bb.840:
	v_and_b32_e32 v4, 0xffff, v3
	v_lshlrev_b32_e32 v3, 24, v3
	s_delay_alu instid0(VALU_DEP_2) | instskip(NEXT) | instid1(VALU_DEP_2)
	v_and_b32_e32 v5, 3, v4
	v_and_b32_e32 v3, 0x80000000, v3
	s_delay_alu instid0(VALU_DEP_2) | instskip(NEXT) | instid1(VALU_DEP_1)
	v_clz_i32_u32_e32 v6, v5
	v_min_u32_e32 v6, 32, v6
	s_delay_alu instid0(VALU_DEP_1) | instskip(SKIP_1) | instid1(VALU_DEP_2)
	v_subrev_nc_u32_e32 v7, 29, v6
	v_sub_nc_u32_e32 v6, 30, v6
	v_lshlrev_b32_e32 v7, v7, v4
	v_bfe_u32 v4, v4, 2, 5
	s_delay_alu instid0(VALU_DEP_2) | instskip(NEXT) | instid1(VALU_DEP_2)
	v_and_b32_e32 v7, 3, v7
	v_cmp_eq_u32_e32 vcc_lo, 0, v4
	s_delay_alu instid0(VALU_DEP_2) | instskip(NEXT) | instid1(VALU_DEP_1)
	v_dual_cndmask_b32 v4, v4, v6 :: v_dual_cndmask_b32 v5, v5, v7
	v_lshl_add_u32 v4, v4, 23, 0x37800000
	s_delay_alu instid0(VALU_DEP_2) | instskip(NEXT) | instid1(VALU_DEP_1)
	v_lshlrev_b32_e32 v5, 21, v5
	v_or3_b32 v3, v3, v4, v5
	s_delay_alu instid0(VALU_DEP_1)
	v_cvt_f64_f32_e32 v[43:44], v3
.LBB11_841:
	s_or_b32 exec_lo, exec_lo, s0
	s_mov_b32 s0, 0
	s_branch .LBB11_845
.LBB11_842:
	s_mov_b32 s1, -1
                                        ; implicit-def: $vgpr43_vgpr44
	s_branch .LBB11_851
.LBB11_843:
	s_mov_b32 s0, -1
                                        ; implicit-def: $vgpr43_vgpr44
	s_branch .LBB11_848
.LBB11_844:
	s_mov_b32 s0, -1
                                        ; implicit-def: $vgpr43_vgpr44
.LBB11_845:
	s_delay_alu instid0(SALU_CYCLE_1)
	s_and_b32 vcc_lo, exec_lo, s0
	s_cbranch_vccz .LBB11_847
; %bb.846:
	global_load_u8 v3, v[0:1], off
	s_waitcnt vmcnt(0)
	v_lshlrev_b32_e32 v3, 24, v3
	s_delay_alu instid0(VALU_DEP_1) | instskip(NEXT) | instid1(VALU_DEP_1)
	v_and_b32_e32 v4, 0x7f000000, v3
	v_clz_i32_u32_e32 v5, v4
	v_add_nc_u32_e32 v7, 0x1000000, v4
	v_cmp_ne_u32_e32 vcc_lo, 0, v4
	s_delay_alu instid0(VALU_DEP_3) | instskip(NEXT) | instid1(VALU_DEP_1)
	v_min_u32_e32 v5, 32, v5
	v_sub_nc_u32_e64 v5, v5, 4 clamp
	s_delay_alu instid0(VALU_DEP_1) | instskip(SKIP_1) | instid1(VALU_DEP_2)
	v_lshlrev_b32_e32 v6, v5, v4
	v_lshlrev_b32_e32 v5, 23, v5
	v_lshrrev_b32_e32 v6, 4, v6
	s_delay_alu instid0(VALU_DEP_1) | instskip(SKIP_1) | instid1(VALU_DEP_2)
	v_sub_nc_u32_e32 v5, v6, v5
	v_ashrrev_i32_e32 v6, 8, v7
	v_add_nc_u32_e32 v5, 0x3c000000, v5
	s_delay_alu instid0(VALU_DEP_1) | instskip(NEXT) | instid1(VALU_DEP_1)
	v_and_or_b32 v5, 0x7f800000, v6, v5
	v_cndmask_b32_e32 v4, 0, v5, vcc_lo
	s_delay_alu instid0(VALU_DEP_1) | instskip(NEXT) | instid1(VALU_DEP_1)
	v_and_or_b32 v3, 0x80000000, v3, v4
	v_cvt_f64_f32_e32 v[43:44], v3
.LBB11_847:
	s_mov_b32 s0, 0
.LBB11_848:
	s_delay_alu instid0(SALU_CYCLE_1)
	s_and_not1_b32 vcc_lo, exec_lo, s0
	s_cbranch_vccnz .LBB11_850
; %bb.849:
	global_load_u8 v3, v[0:1], off
	s_waitcnt vmcnt(0)
	v_lshlrev_b32_e32 v4, 25, v3
	v_lshlrev_b16 v3, 8, v3
	s_delay_alu instid0(VALU_DEP_2) | instskip(NEXT) | instid1(VALU_DEP_2)
	v_lshrrev_b32_e32 v5, 4, v4
	v_and_or_b32 v6, 0x7f00, v3, 0.5
	v_bfe_i32 v3, v3, 0, 16
	s_delay_alu instid0(VALU_DEP_3) | instskip(NEXT) | instid1(VALU_DEP_1)
	v_or_b32_e32 v5, 0x70000000, v5
	v_dual_add_f32 v6, -0.5, v6 :: v_dual_mul_f32 v5, 0x7800000, v5
	v_cmp_gt_u32_e32 vcc_lo, 0x8000000, v4
	s_delay_alu instid0(VALU_DEP_2) | instskip(NEXT) | instid1(VALU_DEP_1)
	v_cndmask_b32_e32 v4, v5, v6, vcc_lo
	v_and_or_b32 v3, 0x80000000, v3, v4
	s_delay_alu instid0(VALU_DEP_1)
	v_cvt_f64_f32_e32 v[43:44], v3
.LBB11_850:
	s_mov_b32 s1, 0
	s_mov_b32 s0, -1
.LBB11_851:
	s_and_not1_b32 vcc_lo, exec_lo, s1
	s_cbranch_vccnz .LBB11_862
; %bb.852:
	v_cmp_lt_i16_e32 vcc_lo, 14, v2
	s_cbranch_vccz .LBB11_855
; %bb.853:
	v_cmp_eq_u16_e32 vcc_lo, 15, v2
	s_cbranch_vccz .LBB11_856
; %bb.854:
	global_load_u16 v3, v[0:1], off
	s_mov_b32 s0, -1
	s_mov_b32 s69, 0
	s_waitcnt vmcnt(0)
	v_lshlrev_b32_e32 v3, 16, v3
	s_delay_alu instid0(VALU_DEP_1)
	v_cvt_f64_f32_e32 v[43:44], v3
	s_branch .LBB11_857
.LBB11_855:
	s_mov_b32 s1, -1
                                        ; implicit-def: $vgpr43_vgpr44
	s_branch .LBB11_858
.LBB11_856:
	s_mov_b32 s69, -1
                                        ; implicit-def: $vgpr43_vgpr44
.LBB11_857:
	s_mov_b32 s1, 0
.LBB11_858:
	s_delay_alu instid0(SALU_CYCLE_1)
	s_and_b32 vcc_lo, exec_lo, s1
	s_cbranch_vccz .LBB11_862
; %bb.859:
	v_cmp_eq_u16_e32 vcc_lo, 11, v2
	s_cbranch_vccz .LBB11_861
; %bb.860:
	global_load_u8 v3, v[0:1], off
	s_waitcnt vmcnt(1)
	v_mov_b32_e32 v43, 0
	s_mov_b32 s69, 0
	s_mov_b32 s0, -1
	s_waitcnt vmcnt(0)
	v_cmp_ne_u16_e32 vcc_lo, 0, v3
	v_cndmask_b32_e64 v44, 0, 0x3ff00000, vcc_lo
	s_branch .LBB11_862
.LBB11_861:
	s_mov_b32 s69, -1
                                        ; implicit-def: $vgpr43_vgpr44
.LBB11_862:
	s_mov_b32 s1, 0
.LBB11_863:
	s_delay_alu instid0(SALU_CYCLE_1)
	s_and_b32 vcc_lo, exec_lo, s1
	s_cbranch_vccz .LBB11_912
; %bb.864:
	v_cmp_gt_i16_e32 vcc_lo, 5, v2
	s_cbranch_vccnz .LBB11_869
; %bb.865:
	v_cmp_gt_i16_e32 vcc_lo, 8, v2
	s_cbranch_vccnz .LBB11_870
	;; [unrolled: 3-line block ×3, first 2 shown]
; %bb.867:
	v_cmp_lt_i16_e32 vcc_lo, 9, v2
	s_cbranch_vccz .LBB11_872
; %bb.868:
	global_load_b64 v[43:44], v[0:1], off
	s_mov_b32 s0, 0
	s_branch .LBB11_873
.LBB11_869:
	s_mov_b32 s0, -1
                                        ; implicit-def: $vgpr43_vgpr44
	s_branch .LBB11_891
.LBB11_870:
	s_mov_b32 s0, -1
                                        ; implicit-def: $vgpr43_vgpr44
	s_branch .LBB11_879
.LBB11_871:
	s_mov_b32 s0, -1
                                        ; implicit-def: $vgpr43_vgpr44
	s_branch .LBB11_876
.LBB11_872:
	s_mov_b32 s0, -1
                                        ; implicit-def: $vgpr43_vgpr44
.LBB11_873:
	s_delay_alu instid0(SALU_CYCLE_1)
	s_and_not1_b32 vcc_lo, exec_lo, s0
	s_cbranch_vccnz .LBB11_875
; %bb.874:
	global_load_b32 v3, v[0:1], off
	s_waitcnt vmcnt(0)
	v_cvt_f64_f32_e32 v[43:44], v3
.LBB11_875:
	s_mov_b32 s0, 0
.LBB11_876:
	s_delay_alu instid0(SALU_CYCLE_1)
	s_and_not1_b32 vcc_lo, exec_lo, s0
	s_cbranch_vccnz .LBB11_878
; %bb.877:
	global_load_b32 v3, v[0:1], off
	s_waitcnt vmcnt(0)
	v_cvt_f32_f16_e32 v3, v3
	s_delay_alu instid0(VALU_DEP_1)
	v_cvt_f64_f32_e32 v[43:44], v3
.LBB11_878:
	s_mov_b32 s0, 0
.LBB11_879:
	s_delay_alu instid0(SALU_CYCLE_1)
	s_and_not1_b32 vcc_lo, exec_lo, s0
	s_cbranch_vccnz .LBB11_890
; %bb.880:
	v_cmp_gt_i16_e32 vcc_lo, 6, v2
	s_cbranch_vccnz .LBB11_883
; %bb.881:
	v_cmp_lt_i16_e32 vcc_lo, 6, v2
	s_cbranch_vccz .LBB11_884
; %bb.882:
	global_load_b64 v[43:44], v[0:1], off
	s_mov_b32 s0, 0
	s_branch .LBB11_885
.LBB11_883:
	s_mov_b32 s0, -1
                                        ; implicit-def: $vgpr43_vgpr44
	s_branch .LBB11_888
.LBB11_884:
	s_mov_b32 s0, -1
                                        ; implicit-def: $vgpr43_vgpr44
.LBB11_885:
	s_delay_alu instid0(SALU_CYCLE_1)
	s_and_not1_b32 vcc_lo, exec_lo, s0
	s_cbranch_vccnz .LBB11_887
; %bb.886:
	global_load_b32 v3, v[0:1], off
	s_waitcnt vmcnt(0)
	v_cvt_f64_f32_e32 v[43:44], v3
.LBB11_887:
	s_mov_b32 s0, 0
.LBB11_888:
	s_delay_alu instid0(SALU_CYCLE_1)
	s_and_not1_b32 vcc_lo, exec_lo, s0
	s_cbranch_vccnz .LBB11_890
; %bb.889:
	global_load_u16 v3, v[0:1], off
	s_waitcnt vmcnt(0)
	v_cvt_f32_f16_e32 v3, v3
	s_delay_alu instid0(VALU_DEP_1)
	v_cvt_f64_f32_e32 v[43:44], v3
.LBB11_890:
	s_mov_b32 s0, 0
.LBB11_891:
	s_delay_alu instid0(SALU_CYCLE_1)
	s_and_not1_b32 vcc_lo, exec_lo, s0
	s_cbranch_vccnz .LBB11_911
; %bb.892:
	v_cmp_gt_i16_e32 vcc_lo, 2, v2
	s_cbranch_vccnz .LBB11_896
; %bb.893:
	v_cmp_gt_i16_e32 vcc_lo, 3, v2
	s_cbranch_vccnz .LBB11_897
; %bb.894:
	v_cmp_lt_i16_e32 vcc_lo, 3, v2
	s_cbranch_vccz .LBB11_898
; %bb.895:
	global_load_b64 v[3:4], v[0:1], off
	s_mov_b32 s0, 0
	s_waitcnt vmcnt(0)
	v_cvt_f64_i32_e32 v[4:5], v4
	v_cvt_f64_u32_e32 v[6:7], v3
	s_delay_alu instid0(VALU_DEP_2) | instskip(NEXT) | instid1(VALU_DEP_1)
	v_ldexp_f64 v[4:5], v[4:5], 32
	v_add_f64 v[43:44], v[4:5], v[6:7]
	s_branch .LBB11_899
.LBB11_896:
	s_mov_b32 s0, -1
                                        ; implicit-def: $vgpr43_vgpr44
	s_branch .LBB11_905
.LBB11_897:
	s_mov_b32 s0, -1
                                        ; implicit-def: $vgpr43_vgpr44
	s_branch .LBB11_902
.LBB11_898:
	s_mov_b32 s0, -1
                                        ; implicit-def: $vgpr43_vgpr44
.LBB11_899:
	s_delay_alu instid0(SALU_CYCLE_1)
	s_and_not1_b32 vcc_lo, exec_lo, s0
	s_cbranch_vccnz .LBB11_901
; %bb.900:
	global_load_b32 v3, v[0:1], off
	s_waitcnt vmcnt(0)
	v_cvt_f64_i32_e32 v[43:44], v3
.LBB11_901:
	s_mov_b32 s0, 0
.LBB11_902:
	s_delay_alu instid0(SALU_CYCLE_1)
	s_and_not1_b32 vcc_lo, exec_lo, s0
	s_cbranch_vccnz .LBB11_904
; %bb.903:
	global_load_i16 v3, v[0:1], off
	s_waitcnt vmcnt(0)
	v_cvt_f64_i32_e32 v[43:44], v3
.LBB11_904:
	s_mov_b32 s0, 0
.LBB11_905:
	s_delay_alu instid0(SALU_CYCLE_1)
	s_and_not1_b32 vcc_lo, exec_lo, s0
	s_cbranch_vccnz .LBB11_911
; %bb.906:
	v_cmp_lt_i16_e32 vcc_lo, 0, v2
	s_mov_b32 s0, 0
	s_cbranch_vccz .LBB11_908
; %bb.907:
	global_load_i8 v2, v[0:1], off
	s_waitcnt vmcnt(0)
	v_cvt_f64_i32_e32 v[43:44], v2
	s_branch .LBB11_909
.LBB11_908:
	s_mov_b32 s0, -1
                                        ; implicit-def: $vgpr43_vgpr44
.LBB11_909:
	s_delay_alu instid0(SALU_CYCLE_1)
	s_and_not1_b32 vcc_lo, exec_lo, s0
	s_cbranch_vccnz .LBB11_911
; %bb.910:
	global_load_u8 v0, v[0:1], off
	s_waitcnt vmcnt(0)
	v_cvt_f64_u32_e32 v[43:44], v0
.LBB11_911:
	s_mov_b32 s0, -1
.LBB11_912:
	s_delay_alu instid0(SALU_CYCLE_1)
	s_and_not1_b32 vcc_lo, exec_lo, s0
	s_cbranch_vccnz .LBB11_920
; %bb.913:
	v_mul_lo_u32 v0, v47, s50
	v_cmp_lt_i16_e64 s0, s51, 11
	s_delay_alu instid0(VALU_DEP_2) | instskip(SKIP_1) | instid1(VALU_DEP_2)
	v_ashrrev_i32_e32 v1, 31, v0
	v_add_co_u32 v0, vcc_lo, s52, v0
	v_add_co_ci_u32_e32 v1, vcc_lo, s53, v1, vcc_lo
	s_delay_alu instid0(VALU_DEP_4)
	s_and_b32 vcc_lo, exec_lo, s0
	s_cbranch_vccnz .LBB11_921
; %bb.914:
	v_cmp_gt_i16_e64 s0, s51, 25
	s_delay_alu instid0(VALU_DEP_1)
	s_and_b32 vcc_lo, exec_lo, s0
	s_cbranch_vccz .LBB11_922
; %bb.915:
	v_cmp_gt_i16_e64 s0, s51, 28
	s_delay_alu instid0(VALU_DEP_1)
	s_and_b32 vcc_lo, exec_lo, s0
	s_cbranch_vccz .LBB11_923
	;; [unrolled: 5-line block ×4, first 2 shown]
; %bb.918:
	v_cmp_eq_u16_e64 s0, s51, 46
	s_mov_b32 s1, 0
	s_delay_alu instid0(VALU_DEP_1)
	s_and_b32 vcc_lo, exec_lo, s0
	s_cbranch_vccz .LBB11_928
; %bb.919:
	global_load_b32 v2, v[0:1], off
	s_mov_b32 s0, -1
	s_mov_b32 s70, 0
	s_waitcnt vmcnt(0)
	v_lshlrev_b32_e32 v2, 16, v2
	s_delay_alu instid0(VALU_DEP_1)
	v_cvt_f64_f32_e32 v[45:46], v2
	s_branch .LBB11_930
.LBB11_920:
	s_mov_b32 s1, 0
	s_mov_b32 s0, s65
	;; [unrolled: 1-line block ×3, first 2 shown]
	s_branch .LBB11_1174
.LBB11_921:
	s_mov_b32 s1, -1
	s_mov_b32 s0, 0
	s_mov_b32 s70, s66
                                        ; implicit-def: $vgpr45_vgpr46
	s_branch .LBB11_995
.LBB11_922:
	s_mov_b32 s1, -1
	s_mov_b32 s0, 0
	s_mov_b32 s70, s66
                                        ; implicit-def: $vgpr45_vgpr46
	s_branch .LBB11_961
.LBB11_923:
	s_mov_b32 s1, -1
	s_mov_b32 s0, 0
	s_mov_b32 s70, s66
                                        ; implicit-def: $vgpr45_vgpr46
	s_branch .LBB11_940
.LBB11_924:
	s_mov_b32 s1, -1
	s_mov_b32 s0, 0
	s_mov_b32 s70, s66
                                        ; implicit-def: $vgpr45_vgpr46
	s_branch .LBB11_935
.LBB11_925:
	s_mov_b32 s1, -1
	s_mov_b32 s0, 0
	s_mov_b32 s70, s66
	s_branch .LBB11_929
.LBB11_926:
	s_or_saveexec_b32 s3, s3
                                        ; implicit-def: $sgpr4
	s_delay_alu instid0(SALU_CYCLE_1)
	s_xor_b32 exec_lo, exec_lo, s3
	s_cbranch_execz .LBB11_701
.LBB11_927:
	v_add_f32_e64 v3, 0x42800000, |v2|
	s_and_not1_b32 s2, s2, exec_lo
	s_mov_b32 s4, 0
	s_delay_alu instid0(VALU_DEP_1) | instskip(NEXT) | instid1(VALU_DEP_1)
	v_and_b32_e32 v3, 0xff, v3
	v_cmp_ne_u32_e32 vcc_lo, 0, v3
	s_and_b32 s5, vcc_lo, exec_lo
	s_delay_alu instid0(SALU_CYCLE_1)
	s_or_b32 s2, s2, s5
	s_or_b32 exec_lo, exec_lo, s3
	v_mov_b32_e32 v7, s4
	s_and_saveexec_b32 s3, s2
	s_cbranch_execnz .LBB11_702
	s_branch .LBB11_703
.LBB11_928:
	s_mov_b32 s70, -1
	s_mov_b32 s0, 0
.LBB11_929:
                                        ; implicit-def: $vgpr45_vgpr46
.LBB11_930:
	s_and_b32 vcc_lo, exec_lo, s1
	s_cbranch_vccz .LBB11_934
; %bb.931:
	v_cmp_eq_u16_e64 s1, s51, 44
	s_delay_alu instid0(VALU_DEP_1)
	s_and_b32 vcc_lo, exec_lo, s1
	s_cbranch_vccz .LBB11_933
; %bb.932:
	global_load_u8 v4, v[0:1], off
	s_mov_b32 s70, 0
	s_mov_b32 s0, -1
	s_waitcnt vmcnt(0)
	v_cmp_ne_u32_e32 vcc_lo, 0xff, v4
	v_lshlrev_b32_e32 v2, 23, v4
	s_delay_alu instid0(VALU_DEP_1) | instskip(NEXT) | instid1(VALU_DEP_1)
	v_cvt_f64_f32_e32 v[2:3], v2
	v_cndmask_b32_e32 v3, 0x7ff80000, v3, vcc_lo
	s_delay_alu instid0(VALU_DEP_2) | instskip(SKIP_1) | instid1(VALU_DEP_3)
	v_cndmask_b32_e32 v2, 0x20000000, v2, vcc_lo
	v_cmp_ne_u32_e32 vcc_lo, 0, v4
	v_cndmask_b32_e32 v46, 0x38000000, v3, vcc_lo
	s_delay_alu instid0(VALU_DEP_3)
	v_cndmask_b32_e32 v45, 0, v2, vcc_lo
	s_branch .LBB11_934
.LBB11_933:
	s_mov_b32 s70, -1
                                        ; implicit-def: $vgpr45_vgpr46
.LBB11_934:
	s_mov_b32 s1, 0
.LBB11_935:
	s_delay_alu instid0(SALU_CYCLE_1)
	s_and_b32 vcc_lo, exec_lo, s1
	s_cbranch_vccz .LBB11_939
; %bb.936:
	v_cmp_eq_u16_e64 s1, s51, 29
	s_delay_alu instid0(VALU_DEP_1)
	s_and_b32 vcc_lo, exec_lo, s1
	s_cbranch_vccz .LBB11_938
; %bb.937:
	global_load_b64 v[2:3], v[0:1], off
	s_mov_b32 s0, -1
	s_mov_b32 s70, 0
	s_mov_b32 s1, 0
	s_waitcnt vmcnt(0)
	v_cvt_f64_u32_e32 v[3:4], v3
	v_cvt_f64_u32_e32 v[5:6], v2
	s_delay_alu instid0(VALU_DEP_2) | instskip(NEXT) | instid1(VALU_DEP_1)
	v_ldexp_f64 v[3:4], v[3:4], 32
	v_add_f64 v[45:46], v[3:4], v[5:6]
	s_branch .LBB11_940
.LBB11_938:
	s_mov_b32 s70, -1
                                        ; implicit-def: $vgpr45_vgpr46
.LBB11_939:
	s_mov_b32 s1, 0
.LBB11_940:
	s_delay_alu instid0(SALU_CYCLE_1)
	s_and_b32 vcc_lo, exec_lo, s1
	s_cbranch_vccz .LBB11_960
; %bb.941:
	v_cmp_lt_i16_e64 s0, s51, 27
	s_delay_alu instid0(VALU_DEP_1)
	s_and_b32 vcc_lo, exec_lo, s0
	s_cbranch_vccnz .LBB11_944
; %bb.942:
	v_cmp_gt_i16_e64 s0, s51, 27
	s_delay_alu instid0(VALU_DEP_1)
	s_and_b32 vcc_lo, exec_lo, s0
	s_cbranch_vccz .LBB11_945
; %bb.943:
	global_load_b32 v2, v[0:1], off
	s_mov_b32 s0, 0
	s_waitcnt vmcnt(0)
	v_cvt_f64_u32_e32 v[45:46], v2
	s_branch .LBB11_946
.LBB11_944:
	s_mov_b32 s0, -1
                                        ; implicit-def: $vgpr45_vgpr46
	s_branch .LBB11_949
.LBB11_945:
	s_mov_b32 s0, -1
                                        ; implicit-def: $vgpr45_vgpr46
.LBB11_946:
	s_delay_alu instid0(SALU_CYCLE_1)
	s_and_not1_b32 vcc_lo, exec_lo, s0
	s_cbranch_vccnz .LBB11_948
; %bb.947:
	global_load_u16 v2, v[0:1], off
	s_waitcnt vmcnt(0)
	v_cvt_f64_u32_e32 v[45:46], v2
.LBB11_948:
	s_mov_b32 s0, 0
.LBB11_949:
	s_delay_alu instid0(SALU_CYCLE_1)
	s_and_not1_b32 vcc_lo, exec_lo, s0
	s_cbranch_vccnz .LBB11_959
; %bb.950:
	global_load_u8 v2, v[0:1], off
	s_mov_b32 s2, 0
	s_mov_b32 s3, exec_lo
                                        ; implicit-def: $sgpr0_sgpr1
	s_waitcnt vmcnt(0)
	v_cmpx_lt_i16_e32 0x7f, v2
	s_xor_b32 s3, exec_lo, s3
	s_cbranch_execz .LBB11_954
; %bb.951:
	s_mov_b32 s4, -1
	s_mov_b32 s2, exec_lo
                                        ; implicit-def: $sgpr0_sgpr1
	v_cmpx_eq_u16_e32 0x80, v2
; %bb.952:
	s_mov_b32 s1, 0x7ff80000
	s_brev_b32 s0, 4
	s_xor_b32 s4, exec_lo, -1
; %bb.953:
	s_or_b32 exec_lo, exec_lo, s2
	s_delay_alu instid0(SALU_CYCLE_1)
	s_and_b32 s2, s4, exec_lo
.LBB11_954:
	s_or_saveexec_b32 s3, s3
	v_dual_mov_b32 v46, s1 :: v_dual_mov_b32 v45, s0
	s_xor_b32 exec_lo, exec_lo, s3
; %bb.955:
	v_cmp_ne_u16_e32 vcc_lo, 0, v2
	v_mov_b32_e32 v45, 0
	v_mov_b32_e32 v46, 0
	s_and_not1_b32 s0, s2, exec_lo
	s_and_b32 s1, vcc_lo, exec_lo
	s_delay_alu instid0(SALU_CYCLE_1)
	s_or_b32 s2, s0, s1
; %bb.956:
	s_or_b32 exec_lo, exec_lo, s3
	s_and_saveexec_b32 s0, s2
	s_cbranch_execz .LBB11_958
; %bb.957:
	v_and_b32_e32 v3, 0xffff, v2
	v_lshlrev_b32_e32 v2, 24, v2
	s_delay_alu instid0(VALU_DEP_2) | instskip(NEXT) | instid1(VALU_DEP_2)
	v_and_b32_e32 v4, 7, v3
	v_and_b32_e32 v2, 0x80000000, v2
	s_delay_alu instid0(VALU_DEP_2) | instskip(NEXT) | instid1(VALU_DEP_1)
	v_clz_i32_u32_e32 v5, v4
	v_min_u32_e32 v5, 32, v5
	s_delay_alu instid0(VALU_DEP_1) | instskip(SKIP_1) | instid1(VALU_DEP_2)
	v_subrev_nc_u32_e32 v6, 28, v5
	v_sub_nc_u32_e32 v5, 29, v5
	v_lshlrev_b32_e32 v6, v6, v3
	v_bfe_u32 v3, v3, 3, 4
	s_delay_alu instid0(VALU_DEP_2) | instskip(NEXT) | instid1(VALU_DEP_2)
	v_and_b32_e32 v6, 7, v6
	v_cmp_eq_u32_e32 vcc_lo, 0, v3
	s_delay_alu instid0(VALU_DEP_2) | instskip(NEXT) | instid1(VALU_DEP_1)
	v_dual_cndmask_b32 v3, v3, v5 :: v_dual_cndmask_b32 v4, v4, v6
	v_lshl_add_u32 v3, v3, 23, 0x3b800000
	s_delay_alu instid0(VALU_DEP_2) | instskip(NEXT) | instid1(VALU_DEP_1)
	v_lshlrev_b32_e32 v4, 20, v4
	v_or3_b32 v2, v2, v3, v4
	s_delay_alu instid0(VALU_DEP_1)
	v_cvt_f64_f32_e32 v[45:46], v2
.LBB11_958:
	s_or_b32 exec_lo, exec_lo, s0
.LBB11_959:
	s_mov_b32 s0, -1
.LBB11_960:
	s_mov_b32 s1, 0
.LBB11_961:
	s_delay_alu instid0(SALU_CYCLE_1)
	s_and_b32 vcc_lo, exec_lo, s1
	s_cbranch_vccz .LBB11_994
; %bb.962:
	v_cmp_gt_i16_e64 s1, s51, 22
	s_delay_alu instid0(VALU_DEP_1)
	s_and_b32 vcc_lo, exec_lo, s1
	s_cbranch_vccz .LBB11_974
; %bb.963:
	v_cmp_lt_i16_e64 s0, s51, 24
	s_delay_alu instid0(VALU_DEP_1)
	s_and_b32 vcc_lo, exec_lo, s0
	s_cbranch_vccnz .LBB11_975
; %bb.964:
	v_cmp_gt_i16_e64 s0, s51, 24
	s_delay_alu instid0(VALU_DEP_1)
	s_and_b32 vcc_lo, exec_lo, s0
	s_cbranch_vccz .LBB11_976
; %bb.965:
	global_load_u8 v2, v[0:1], off
	s_mov_b32 s2, 0
	s_mov_b32 s3, exec_lo
                                        ; implicit-def: $sgpr0_sgpr1
	s_waitcnt vmcnt(0)
	v_cmpx_lt_i16_e32 0x7f, v2
	s_xor_b32 s3, exec_lo, s3
	s_cbranch_execz .LBB11_969
; %bb.966:
	s_mov_b32 s4, -1
	s_mov_b32 s2, exec_lo
                                        ; implicit-def: $sgpr0_sgpr1
	v_cmpx_eq_u16_e32 0x80, v2
; %bb.967:
	s_mov_b32 s1, 0x7ff80000
	s_brev_b32 s0, 4
	s_xor_b32 s4, exec_lo, -1
; %bb.968:
	s_or_b32 exec_lo, exec_lo, s2
	s_delay_alu instid0(SALU_CYCLE_1)
	s_and_b32 s2, s4, exec_lo
.LBB11_969:
	s_or_saveexec_b32 s3, s3
	v_dual_mov_b32 v46, s1 :: v_dual_mov_b32 v45, s0
	s_xor_b32 exec_lo, exec_lo, s3
; %bb.970:
	v_cmp_ne_u16_e32 vcc_lo, 0, v2
	v_mov_b32_e32 v45, 0
	v_mov_b32_e32 v46, 0
	s_and_not1_b32 s0, s2, exec_lo
	s_and_b32 s1, vcc_lo, exec_lo
	s_delay_alu instid0(SALU_CYCLE_1)
	s_or_b32 s2, s0, s1
; %bb.971:
	s_or_b32 exec_lo, exec_lo, s3
	s_and_saveexec_b32 s0, s2
	s_cbranch_execz .LBB11_973
; %bb.972:
	v_and_b32_e32 v3, 0xffff, v2
	v_lshlrev_b32_e32 v2, 24, v2
	s_delay_alu instid0(VALU_DEP_2) | instskip(NEXT) | instid1(VALU_DEP_2)
	v_and_b32_e32 v4, 3, v3
	v_and_b32_e32 v2, 0x80000000, v2
	s_delay_alu instid0(VALU_DEP_2) | instskip(NEXT) | instid1(VALU_DEP_1)
	v_clz_i32_u32_e32 v5, v4
	v_min_u32_e32 v5, 32, v5
	s_delay_alu instid0(VALU_DEP_1) | instskip(SKIP_1) | instid1(VALU_DEP_2)
	v_subrev_nc_u32_e32 v6, 29, v5
	v_sub_nc_u32_e32 v5, 30, v5
	v_lshlrev_b32_e32 v6, v6, v3
	v_bfe_u32 v3, v3, 2, 5
	s_delay_alu instid0(VALU_DEP_2) | instskip(NEXT) | instid1(VALU_DEP_2)
	v_and_b32_e32 v6, 3, v6
	v_cmp_eq_u32_e32 vcc_lo, 0, v3
	s_delay_alu instid0(VALU_DEP_2) | instskip(NEXT) | instid1(VALU_DEP_1)
	v_dual_cndmask_b32 v3, v3, v5 :: v_dual_cndmask_b32 v4, v4, v6
	v_lshl_add_u32 v3, v3, 23, 0x37800000
	s_delay_alu instid0(VALU_DEP_2) | instskip(NEXT) | instid1(VALU_DEP_1)
	v_lshlrev_b32_e32 v4, 21, v4
	v_or3_b32 v2, v2, v3, v4
	s_delay_alu instid0(VALU_DEP_1)
	v_cvt_f64_f32_e32 v[45:46], v2
.LBB11_973:
	s_or_b32 exec_lo, exec_lo, s0
	s_mov_b32 s0, 0
	s_branch .LBB11_977
.LBB11_974:
	s_mov_b32 s1, -1
                                        ; implicit-def: $vgpr45_vgpr46
	s_branch .LBB11_983
.LBB11_975:
	s_mov_b32 s0, -1
                                        ; implicit-def: $vgpr45_vgpr46
	s_branch .LBB11_980
.LBB11_976:
	s_mov_b32 s0, -1
                                        ; implicit-def: $vgpr45_vgpr46
.LBB11_977:
	s_delay_alu instid0(SALU_CYCLE_1)
	s_and_b32 vcc_lo, exec_lo, s0
	s_cbranch_vccz .LBB11_979
; %bb.978:
	global_load_u8 v2, v[0:1], off
	s_waitcnt vmcnt(0)
	v_lshlrev_b32_e32 v2, 24, v2
	s_delay_alu instid0(VALU_DEP_1) | instskip(NEXT) | instid1(VALU_DEP_1)
	v_and_b32_e32 v3, 0x7f000000, v2
	v_clz_i32_u32_e32 v4, v3
	v_add_nc_u32_e32 v6, 0x1000000, v3
	v_cmp_ne_u32_e32 vcc_lo, 0, v3
	s_delay_alu instid0(VALU_DEP_3) | instskip(NEXT) | instid1(VALU_DEP_1)
	v_min_u32_e32 v4, 32, v4
	v_sub_nc_u32_e64 v4, v4, 4 clamp
	s_delay_alu instid0(VALU_DEP_1) | instskip(SKIP_1) | instid1(VALU_DEP_2)
	v_lshlrev_b32_e32 v5, v4, v3
	v_lshlrev_b32_e32 v4, 23, v4
	v_lshrrev_b32_e32 v5, 4, v5
	s_delay_alu instid0(VALU_DEP_1) | instskip(SKIP_1) | instid1(VALU_DEP_2)
	v_sub_nc_u32_e32 v4, v5, v4
	v_ashrrev_i32_e32 v5, 8, v6
	v_add_nc_u32_e32 v4, 0x3c000000, v4
	s_delay_alu instid0(VALU_DEP_1) | instskip(NEXT) | instid1(VALU_DEP_1)
	v_and_or_b32 v4, 0x7f800000, v5, v4
	v_cndmask_b32_e32 v3, 0, v4, vcc_lo
	s_delay_alu instid0(VALU_DEP_1) | instskip(NEXT) | instid1(VALU_DEP_1)
	v_and_or_b32 v2, 0x80000000, v2, v3
	v_cvt_f64_f32_e32 v[45:46], v2
.LBB11_979:
	s_mov_b32 s0, 0
.LBB11_980:
	s_delay_alu instid0(SALU_CYCLE_1)
	s_and_not1_b32 vcc_lo, exec_lo, s0
	s_cbranch_vccnz .LBB11_982
; %bb.981:
	global_load_u8 v2, v[0:1], off
	s_waitcnt vmcnt(0)
	v_lshlrev_b32_e32 v3, 25, v2
	v_lshlrev_b16 v2, 8, v2
	s_delay_alu instid0(VALU_DEP_2) | instskip(NEXT) | instid1(VALU_DEP_2)
	v_lshrrev_b32_e32 v4, 4, v3
	v_and_or_b32 v5, 0x7f00, v2, 0.5
	v_bfe_i32 v2, v2, 0, 16
	s_delay_alu instid0(VALU_DEP_3) | instskip(NEXT) | instid1(VALU_DEP_1)
	v_or_b32_e32 v4, 0x70000000, v4
	v_dual_add_f32 v5, -0.5, v5 :: v_dual_mul_f32 v4, 0x7800000, v4
	v_cmp_gt_u32_e32 vcc_lo, 0x8000000, v3
	s_delay_alu instid0(VALU_DEP_2) | instskip(NEXT) | instid1(VALU_DEP_1)
	v_cndmask_b32_e32 v3, v4, v5, vcc_lo
	v_and_or_b32 v2, 0x80000000, v2, v3
	s_delay_alu instid0(VALU_DEP_1)
	v_cvt_f64_f32_e32 v[45:46], v2
.LBB11_982:
	s_mov_b32 s1, 0
	s_mov_b32 s0, -1
.LBB11_983:
	s_and_not1_b32 vcc_lo, exec_lo, s1
	s_cbranch_vccnz .LBB11_994
; %bb.984:
	v_cmp_gt_i16_e64 s1, s51, 14
	s_delay_alu instid0(VALU_DEP_1)
	s_and_b32 vcc_lo, exec_lo, s1
	s_cbranch_vccz .LBB11_987
; %bb.985:
	v_cmp_eq_u16_e64 s1, s51, 15
	s_delay_alu instid0(VALU_DEP_1)
	s_and_b32 vcc_lo, exec_lo, s1
	s_cbranch_vccz .LBB11_988
; %bb.986:
	global_load_u16 v2, v[0:1], off
	s_mov_b32 s0, -1
	s_mov_b32 s70, 0
	s_waitcnt vmcnt(0)
	v_lshlrev_b32_e32 v2, 16, v2
	s_delay_alu instid0(VALU_DEP_1)
	v_cvt_f64_f32_e32 v[45:46], v2
	s_branch .LBB11_989
.LBB11_987:
	s_mov_b32 s1, -1
                                        ; implicit-def: $vgpr45_vgpr46
	s_branch .LBB11_990
.LBB11_988:
	s_mov_b32 s70, -1
                                        ; implicit-def: $vgpr45_vgpr46
.LBB11_989:
	s_mov_b32 s1, 0
.LBB11_990:
	s_delay_alu instid0(SALU_CYCLE_1)
	s_and_b32 vcc_lo, exec_lo, s1
	s_cbranch_vccz .LBB11_994
; %bb.991:
	v_cmp_eq_u16_e64 s1, s51, 11
	s_delay_alu instid0(VALU_DEP_1)
	s_and_b32 vcc_lo, exec_lo, s1
	s_cbranch_vccz .LBB11_993
; %bb.992:
	global_load_u8 v2, v[0:1], off
	s_waitcnt vmcnt(1)
	v_mov_b32_e32 v45, 0
	s_mov_b32 s70, 0
	s_mov_b32 s0, -1
	s_waitcnt vmcnt(0)
	v_cmp_ne_u16_e32 vcc_lo, 0, v2
	v_cndmask_b32_e64 v46, 0, 0x3ff00000, vcc_lo
	s_branch .LBB11_994
.LBB11_993:
	s_mov_b32 s70, -1
                                        ; implicit-def: $vgpr45_vgpr46
.LBB11_994:
	s_mov_b32 s1, 0
.LBB11_995:
	s_delay_alu instid0(SALU_CYCLE_1)
	s_and_b32 vcc_lo, exec_lo, s1
	s_cbranch_vccz .LBB11_1044
; %bb.996:
	v_cmp_lt_i16_e64 s0, s51, 5
	s_delay_alu instid0(VALU_DEP_1)
	s_and_b32 vcc_lo, exec_lo, s0
	s_cbranch_vccnz .LBB11_1001
; %bb.997:
	v_cmp_lt_i16_e64 s0, s51, 8
	s_delay_alu instid0(VALU_DEP_1)
	s_and_b32 vcc_lo, exec_lo, s0
	s_cbranch_vccnz .LBB11_1002
	;; [unrolled: 5-line block ×3, first 2 shown]
; %bb.999:
	v_cmp_gt_i16_e64 s0, s51, 9
	s_delay_alu instid0(VALU_DEP_1)
	s_and_b32 vcc_lo, exec_lo, s0
	s_cbranch_vccz .LBB11_1004
; %bb.1000:
	global_load_b64 v[45:46], v[0:1], off
	s_mov_b32 s0, 0
	s_branch .LBB11_1005
.LBB11_1001:
	s_mov_b32 s0, -1
                                        ; implicit-def: $vgpr45_vgpr46
	s_branch .LBB11_1023
.LBB11_1002:
	s_mov_b32 s0, -1
                                        ; implicit-def: $vgpr45_vgpr46
	s_branch .LBB11_1011
.LBB11_1003:
	s_mov_b32 s0, -1
                                        ; implicit-def: $vgpr45_vgpr46
	s_branch .LBB11_1008
.LBB11_1004:
	s_mov_b32 s0, -1
                                        ; implicit-def: $vgpr45_vgpr46
.LBB11_1005:
	s_delay_alu instid0(SALU_CYCLE_1)
	s_and_not1_b32 vcc_lo, exec_lo, s0
	s_cbranch_vccnz .LBB11_1007
; %bb.1006:
	global_load_b32 v2, v[0:1], off
	s_waitcnt vmcnt(0)
	v_cvt_f64_f32_e32 v[45:46], v2
.LBB11_1007:
	s_mov_b32 s0, 0
.LBB11_1008:
	s_delay_alu instid0(SALU_CYCLE_1)
	s_and_not1_b32 vcc_lo, exec_lo, s0
	s_cbranch_vccnz .LBB11_1010
; %bb.1009:
	global_load_b32 v2, v[0:1], off
	s_waitcnt vmcnt(0)
	v_cvt_f32_f16_e32 v2, v2
	s_delay_alu instid0(VALU_DEP_1)
	v_cvt_f64_f32_e32 v[45:46], v2
.LBB11_1010:
	s_mov_b32 s0, 0
.LBB11_1011:
	s_delay_alu instid0(SALU_CYCLE_1)
	s_and_not1_b32 vcc_lo, exec_lo, s0
	s_cbranch_vccnz .LBB11_1022
; %bb.1012:
	v_cmp_lt_i16_e64 s0, s51, 6
	s_delay_alu instid0(VALU_DEP_1)
	s_and_b32 vcc_lo, exec_lo, s0
	s_cbranch_vccnz .LBB11_1015
; %bb.1013:
	v_cmp_gt_i16_e64 s0, s51, 6
	s_delay_alu instid0(VALU_DEP_1)
	s_and_b32 vcc_lo, exec_lo, s0
	s_cbranch_vccz .LBB11_1016
; %bb.1014:
	global_load_b64 v[45:46], v[0:1], off
	s_mov_b32 s0, 0
	s_branch .LBB11_1017
.LBB11_1015:
	s_mov_b32 s0, -1
                                        ; implicit-def: $vgpr45_vgpr46
	s_branch .LBB11_1020
.LBB11_1016:
	s_mov_b32 s0, -1
                                        ; implicit-def: $vgpr45_vgpr46
.LBB11_1017:
	s_delay_alu instid0(SALU_CYCLE_1)
	s_and_not1_b32 vcc_lo, exec_lo, s0
	s_cbranch_vccnz .LBB11_1019
; %bb.1018:
	global_load_b32 v2, v[0:1], off
	s_waitcnt vmcnt(0)
	v_cvt_f64_f32_e32 v[45:46], v2
.LBB11_1019:
	s_mov_b32 s0, 0
.LBB11_1020:
	s_delay_alu instid0(SALU_CYCLE_1)
	s_and_not1_b32 vcc_lo, exec_lo, s0
	s_cbranch_vccnz .LBB11_1022
; %bb.1021:
	global_load_u16 v2, v[0:1], off
	s_waitcnt vmcnt(0)
	v_cvt_f32_f16_e32 v2, v2
	s_delay_alu instid0(VALU_DEP_1)
	v_cvt_f64_f32_e32 v[45:46], v2
.LBB11_1022:
	s_mov_b32 s0, 0
.LBB11_1023:
	s_delay_alu instid0(SALU_CYCLE_1)
	s_and_not1_b32 vcc_lo, exec_lo, s0
	s_cbranch_vccnz .LBB11_1043
; %bb.1024:
	v_cmp_lt_i16_e64 s0, s51, 2
	s_delay_alu instid0(VALU_DEP_1)
	s_and_b32 vcc_lo, exec_lo, s0
	s_cbranch_vccnz .LBB11_1028
; %bb.1025:
	v_cmp_lt_i16_e64 s0, s51, 3
	s_delay_alu instid0(VALU_DEP_1)
	s_and_b32 vcc_lo, exec_lo, s0
	s_cbranch_vccnz .LBB11_1029
; %bb.1026:
	v_cmp_gt_i16_e64 s0, s51, 3
	s_delay_alu instid0(VALU_DEP_1)
	s_and_b32 vcc_lo, exec_lo, s0
	s_cbranch_vccz .LBB11_1030
; %bb.1027:
	global_load_b64 v[2:3], v[0:1], off
	s_mov_b32 s0, 0
	s_waitcnt vmcnt(0)
	v_cvt_f64_i32_e32 v[3:4], v3
	v_cvt_f64_u32_e32 v[5:6], v2
	s_delay_alu instid0(VALU_DEP_2) | instskip(NEXT) | instid1(VALU_DEP_1)
	v_ldexp_f64 v[3:4], v[3:4], 32
	v_add_f64 v[45:46], v[3:4], v[5:6]
	s_branch .LBB11_1031
.LBB11_1028:
	s_mov_b32 s0, -1
                                        ; implicit-def: $vgpr45_vgpr46
	s_branch .LBB11_1037
.LBB11_1029:
	s_mov_b32 s0, -1
                                        ; implicit-def: $vgpr45_vgpr46
	s_branch .LBB11_1034
.LBB11_1030:
	s_mov_b32 s0, -1
                                        ; implicit-def: $vgpr45_vgpr46
.LBB11_1031:
	s_delay_alu instid0(SALU_CYCLE_1)
	s_and_not1_b32 vcc_lo, exec_lo, s0
	s_cbranch_vccnz .LBB11_1033
; %bb.1032:
	global_load_b32 v2, v[0:1], off
	s_waitcnt vmcnt(0)
	v_cvt_f64_i32_e32 v[45:46], v2
.LBB11_1033:
	s_mov_b32 s0, 0
.LBB11_1034:
	s_delay_alu instid0(SALU_CYCLE_1)
	s_and_not1_b32 vcc_lo, exec_lo, s0
	s_cbranch_vccnz .LBB11_1036
; %bb.1035:
	global_load_i16 v2, v[0:1], off
	s_waitcnt vmcnt(0)
	v_cvt_f64_i32_e32 v[45:46], v2
.LBB11_1036:
	s_mov_b32 s0, 0
.LBB11_1037:
	s_delay_alu instid0(SALU_CYCLE_1)
	s_and_not1_b32 vcc_lo, exec_lo, s0
	s_cbranch_vccnz .LBB11_1043
; %bb.1038:
	v_cmp_gt_i16_e64 s0, s51, 0
	s_delay_alu instid0(VALU_DEP_1)
	s_and_b32 vcc_lo, exec_lo, s0
	s_mov_b32 s0, 0
	s_cbranch_vccz .LBB11_1040
; %bb.1039:
	global_load_i8 v2, v[0:1], off
	s_waitcnt vmcnt(0)
	v_cvt_f64_i32_e32 v[45:46], v2
	s_branch .LBB11_1041
.LBB11_1040:
	s_mov_b32 s0, -1
                                        ; implicit-def: $vgpr45_vgpr46
.LBB11_1041:
	s_delay_alu instid0(SALU_CYCLE_1)
	s_and_not1_b32 vcc_lo, exec_lo, s0
	s_cbranch_vccnz .LBB11_1043
; %bb.1042:
	global_load_u8 v0, v[0:1], off
	s_waitcnt vmcnt(0)
	v_cvt_f64_u32_e32 v[45:46], v0
.LBB11_1043:
	s_mov_b32 s0, -1
.LBB11_1044:
	s_delay_alu instid0(SALU_CYCLE_1)
	s_and_not1_b32 vcc_lo, exec_lo, s0
	s_cbranch_vccnz .LBB11_1047
; %bb.1045:
	s_and_not1_b32 vcc_lo, exec_lo, s58
	s_cbranch_vccnz .LBB11_1048
; %bb.1046:
	s_waitcnt vmcnt(0)
	v_dual_mov_b32 v0, v43 :: v_dual_mov_b32 v1, v44
	s_delay_alu instid0(VALU_DEP_2) | instskip(SKIP_3) | instid1(SALU_CYCLE_1)
	v_dual_mov_b32 v2, v45 :: v_dual_mov_b32 v3, v46
	s_getpc_b64 s[0:1]
	s_add_u32 s0, s0, _ZN12_GLOBAL__N_111calc_igammaIdEET_S1_S1_@rel32@lo+4
	s_addc_u32 s1, s1, _ZN12_GLOBAL__N_111calc_igammaIdEET_S1_S1_@rel32@hi+12
	s_swappc_b64 s[30:31], s[0:1]
	s_mov_b32 s0, 0
	s_branch .LBB11_1049
.LBB11_1047:
	s_mov_b32 s1, 0
	s_mov_b32 s0, s65
	s_branch .LBB11_1174
.LBB11_1048:
	s_mov_b32 s0, -1
                                        ; implicit-def: $vgpr0_vgpr1
.LBB11_1049:
	s_delay_alu instid0(SALU_CYCLE_1)
	s_and_not1_b32 vcc_lo, exec_lo, s0
	s_cbranch_vccnz .LBB11_1051
; %bb.1050:
	s_waitcnt vmcnt(0)
	v_dual_mov_b32 v0, v43 :: v_dual_mov_b32 v1, v44
	s_delay_alu instid0(VALU_DEP_2) | instskip(SKIP_3) | instid1(SALU_CYCLE_1)
	v_dual_mov_b32 v2, v45 :: v_dual_mov_b32 v3, v46
	s_getpc_b64 s[0:1]
	s_add_u32 s0, s0, _ZN12_GLOBAL__N_112calc_igammacIdEET_S1_S1_@rel32@lo+4
	s_addc_u32 s1, s1, _ZN12_GLOBAL__N_112calc_igammacIdEET_S1_S1_@rel32@hi+12
	s_swappc_b64 s[30:31], s[0:1]
.LBB11_1051:
	v_mul_lo_u32 v2, v47, s48
	v_and_b32_e64 v6, 0xff, s43
	s_delay_alu instid0(VALU_DEP_1) | instskip(NEXT) | instid1(VALU_DEP_3)
	v_cmp_gt_i16_e32 vcc_lo, 11, v6
	v_ashrrev_i32_e32 v3, 31, v2
	v_add_co_u32 v4, s0, s44, v2
	s_delay_alu instid0(VALU_DEP_1)
	v_add_co_ci_u32_e64 v5, s0, s45, v3, s0
	s_cbranch_vccnz .LBB11_1058
; %bb.1052:
	v_cmp_lt_i16_e32 vcc_lo, 25, v6
	s_cbranch_vccz .LBB11_1059
; %bb.1053:
	v_cmp_lt_i16_e32 vcc_lo, 28, v6
	s_cbranch_vccz .LBB11_1060
	;; [unrolled: 3-line block ×4, first 2 shown]
; %bb.1056:
	v_cmp_eq_u16_e32 vcc_lo, 46, v6
	s_mov_b32 s2, 0
	s_mov_b32 s0, -1
	s_mov_b32 s1, 0
	s_cbranch_vccz .LBB11_1063
; %bb.1057:
	v_cvt_f32_f64_e32 v2, v[0:1]
	s_mov_b32 s1, -1
	s_mov_b32 s0, 0
	s_delay_alu instid0(VALU_DEP_1) | instskip(SKIP_1) | instid1(VALU_DEP_2)
	v_bfe_u32 v3, v2, 16, 1
	v_cmp_o_f32_e32 vcc_lo, v2, v2
	v_add3_u32 v3, v2, v3, 0x7fff
	s_delay_alu instid0(VALU_DEP_1) | instskip(NEXT) | instid1(VALU_DEP_1)
	v_lshrrev_b32_e32 v3, 16, v3
	v_cndmask_b32_e32 v2, 0x7fc0, v3, vcc_lo
	global_store_b32 v[4:5], v2, off
	s_branch .LBB11_1063
.LBB11_1058:
	s_mov_b32 s2, -1
	s_mov_b32 s1, 0
	s_mov_b32 s0, s65
	s_branch .LBB11_1132
.LBB11_1059:
	s_mov_b32 s2, -1
	s_mov_b32 s1, 0
	s_mov_b32 s0, s65
	s_branch .LBB11_1090
.LBB11_1060:
	s_mov_b32 s2, -1
	s_mov_b32 s1, 0
	s_mov_b32 s0, s65
	s_branch .LBB11_1073
.LBB11_1061:
	s_mov_b32 s2, -1
	s_mov_b32 s1, 0
	s_mov_b32 s0, s65
	s_branch .LBB11_1069
.LBB11_1062:
	s_mov_b32 s2, -1
	s_mov_b32 s1, 0
	s_mov_b32 s0, s65
.LBB11_1063:
	s_and_b32 vcc_lo, exec_lo, s2
	s_cbranch_vccz .LBB11_1068
; %bb.1064:
	v_cmp_eq_u16_e32 vcc_lo, 44, v6
	s_mov_b32 s0, -1
	s_cbranch_vccz .LBB11_1068
; %bb.1065:
	v_cvt_f32_f64_e32 v2, v[0:1]
	v_mov_b32_e32 v3, 0xff
	s_mov_b32 s1, exec_lo
	s_delay_alu instid0(VALU_DEP_2) | instskip(NEXT) | instid1(VALU_DEP_1)
	v_bfe_u32 v7, v2, 23, 8
	v_cmpx_ne_u32_e32 0xff, v7
; %bb.1066:
	v_and_b32_e32 v3, 0x400000, v2
	v_and_or_b32 v7, 0x3fffff, v2, v7
	v_lshrrev_b32_e32 v2, 23, v2
	s_delay_alu instid0(VALU_DEP_3) | instskip(NEXT) | instid1(VALU_DEP_3)
	v_cmp_ne_u32_e32 vcc_lo, 0, v3
	v_cmp_ne_u32_e64 s0, 0, v7
	s_delay_alu instid0(VALU_DEP_1) | instskip(NEXT) | instid1(SALU_CYCLE_1)
	s_and_b32 s0, vcc_lo, s0
	v_cndmask_b32_e64 v3, 0, 1, s0
	s_delay_alu instid0(VALU_DEP_1)
	v_add_nc_u32_e32 v3, v2, v3
; %bb.1067:
	s_or_b32 exec_lo, exec_lo, s1
	s_mov_b32 s1, -1
	s_mov_b32 s0, 0
	global_store_b8 v[4:5], v3, off
.LBB11_1068:
	s_mov_b32 s2, 0
.LBB11_1069:
	s_delay_alu instid0(SALU_CYCLE_1)
	s_and_b32 vcc_lo, exec_lo, s2
	s_cbranch_vccz .LBB11_1072
; %bb.1070:
	v_cmp_eq_u16_e32 vcc_lo, 29, v6
	s_mov_b32 s0, -1
	s_cbranch_vccz .LBB11_1072
; %bb.1071:
	v_trunc_f64_e32 v[2:3], v[0:1]
	s_mov_b32 s1, -1
	s_mov_b32 s0, 0
	s_mov_b32 s2, 0
	s_delay_alu instid0(VALU_DEP_1) | instskip(NEXT) | instid1(VALU_DEP_1)
	v_ldexp_f64 v[7:8], v[2:3], 0xffffffe0
	v_floor_f64_e32 v[7:8], v[7:8]
	s_delay_alu instid0(VALU_DEP_1) | instskip(SKIP_1) | instid1(VALU_DEP_2)
	v_fma_f64 v[2:3], 0xc1f00000, v[7:8], v[2:3]
	v_cvt_u32_f64_e32 v8, v[7:8]
	v_cvt_u32_f64_e32 v7, v[2:3]
	global_store_b64 v[4:5], v[7:8], off
	s_branch .LBB11_1073
.LBB11_1072:
	s_mov_b32 s2, 0
.LBB11_1073:
	s_delay_alu instid0(SALU_CYCLE_1)
	s_and_b32 vcc_lo, exec_lo, s2
	s_cbranch_vccz .LBB11_1089
; %bb.1074:
	v_cmp_gt_i16_e32 vcc_lo, 27, v6
	s_mov_b32 s1, -1
	s_cbranch_vccnz .LBB11_1080
; %bb.1075:
	v_cvt_u32_f64_e32 v2, v[0:1]
	v_cmp_lt_i16_e32 vcc_lo, 27, v6
	s_cbranch_vccz .LBB11_1077
; %bb.1076:
	s_mov_b32 s1, 0
	global_store_b32 v[4:5], v2, off
.LBB11_1077:
	s_and_not1_b32 vcc_lo, exec_lo, s1
	s_cbranch_vccnz .LBB11_1079
; %bb.1078:
	global_store_b16 v[4:5], v2, off
.LBB11_1079:
	s_mov_b32 s1, 0
.LBB11_1080:
	s_delay_alu instid0(SALU_CYCLE_1)
	s_and_not1_b32 vcc_lo, exec_lo, s1
	s_cbranch_vccnz .LBB11_1088
; %bb.1081:
	v_cvt_f32_f64_e32 v2, v[0:1]
	v_mov_b32_e32 v7, 0x80
	s_mov_b32 s1, exec_lo
	s_delay_alu instid0(VALU_DEP_2) | instskip(NEXT) | instid1(VALU_DEP_1)
	v_and_b32_e32 v3, 0x7fffffff, v2
	v_cmpx_gt_u32_e32 0x43800000, v3
	s_cbranch_execz .LBB11_1087
; %bb.1082:
	v_cmp_lt_u32_e32 vcc_lo, 0x3bffffff, v3
	s_mov_b32 s2, 0
                                        ; implicit-def: $vgpr3
	s_and_saveexec_b32 s3, vcc_lo
	s_delay_alu instid0(SALU_CYCLE_1)
	s_xor_b32 s3, exec_lo, s3
	s_cbranch_execz .LBB11_1190
; %bb.1083:
	v_bfe_u32 v3, v2, 20, 1
	s_mov_b32 s2, exec_lo
	s_delay_alu instid0(VALU_DEP_1) | instskip(NEXT) | instid1(VALU_DEP_1)
	v_add3_u32 v3, v2, v3, 0x487ffff
	v_lshrrev_b32_e32 v3, 20, v3
	s_or_saveexec_b32 s3, s3
                                        ; implicit-def: $sgpr4
	s_delay_alu instid0(SALU_CYCLE_1)
	s_xor_b32 exec_lo, exec_lo, s3
	s_cbranch_execnz .LBB11_1191
.LBB11_1084:
	s_or_b32 exec_lo, exec_lo, s3
	v_mov_b32_e32 v7, s4
	s_and_saveexec_b32 s3, s2
.LBB11_1085:
	v_lshrrev_b32_e32 v2, 24, v2
	s_delay_alu instid0(VALU_DEP_1)
	v_and_or_b32 v7, 0x80, v2, v3
.LBB11_1086:
	s_or_b32 exec_lo, exec_lo, s3
.LBB11_1087:
	s_delay_alu instid0(SALU_CYCLE_1)
	s_or_b32 exec_lo, exec_lo, s1
	global_store_b8 v[4:5], v7, off
.LBB11_1088:
	s_mov_b32 s1, -1
.LBB11_1089:
	s_mov_b32 s2, 0
.LBB11_1090:
	s_delay_alu instid0(SALU_CYCLE_1)
	s_and_b32 vcc_lo, exec_lo, s2
	s_cbranch_vccz .LBB11_1131
; %bb.1091:
	v_cmp_lt_i16_e32 vcc_lo, 22, v6
	s_mov_b32 s2, -1
	s_cbranch_vccz .LBB11_1123
; %bb.1092:
	v_cmp_gt_i16_e32 vcc_lo, 24, v6
	s_mov_b32 s1, -1
	s_cbranch_vccnz .LBB11_1112
; %bb.1093:
	v_cmp_lt_i16_e32 vcc_lo, 24, v6
	s_cbranch_vccz .LBB11_1101
; %bb.1094:
	v_cvt_f32_f64_e32 v2, v[0:1]
	v_mov_b32_e32 v7, 0x80
	s_mov_b32 s1, exec_lo
	s_delay_alu instid0(VALU_DEP_2) | instskip(NEXT) | instid1(VALU_DEP_1)
	v_and_b32_e32 v3, 0x7fffffff, v2
	v_cmpx_gt_u32_e32 0x47800000, v3
	s_cbranch_execz .LBB11_1100
; %bb.1095:
	v_cmp_lt_u32_e32 vcc_lo, 0x37ffffff, v3
	s_mov_b32 s2, 0
                                        ; implicit-def: $vgpr3
	s_and_saveexec_b32 s3, vcc_lo
	s_delay_alu instid0(SALU_CYCLE_1)
	s_xor_b32 s3, exec_lo, s3
	s_cbranch_execz .LBB11_2258
; %bb.1096:
	v_bfe_u32 v3, v2, 21, 1
	s_mov_b32 s2, exec_lo
	s_delay_alu instid0(VALU_DEP_1) | instskip(NEXT) | instid1(VALU_DEP_1)
	v_add3_u32 v3, v2, v3, 0x88fffff
	v_lshrrev_b32_e32 v3, 21, v3
	s_or_saveexec_b32 s3, s3
                                        ; implicit-def: $sgpr4
	s_delay_alu instid0(SALU_CYCLE_1)
	s_xor_b32 exec_lo, exec_lo, s3
	s_cbranch_execnz .LBB11_2259
.LBB11_1097:
	s_or_b32 exec_lo, exec_lo, s3
	v_mov_b32_e32 v7, s4
	s_and_saveexec_b32 s3, s2
.LBB11_1098:
	v_lshrrev_b32_e32 v2, 24, v2
	s_delay_alu instid0(VALU_DEP_1)
	v_and_or_b32 v7, 0x80, v2, v3
.LBB11_1099:
	s_or_b32 exec_lo, exec_lo, s3
.LBB11_1100:
	s_delay_alu instid0(SALU_CYCLE_1)
	s_or_b32 exec_lo, exec_lo, s1
	s_mov_b32 s1, 0
	global_store_b8 v[4:5], v7, off
.LBB11_1101:
	s_and_b32 vcc_lo, exec_lo, s1
	s_cbranch_vccz .LBB11_1111
; %bb.1102:
	v_cvt_f32_f64_e32 v2, v[0:1]
	s_mov_b32 s1, exec_lo
                                        ; implicit-def: $vgpr3
	s_delay_alu instid0(VALU_DEP_1) | instskip(NEXT) | instid1(VALU_DEP_1)
	v_and_b32_e32 v7, 0x7fffffff, v2
	v_cmpx_gt_u32_e32 0x43f00000, v7
	s_xor_b32 s1, exec_lo, s1
	s_cbranch_execz .LBB11_1108
; %bb.1103:
	s_mov_b32 s2, exec_lo
                                        ; implicit-def: $vgpr3
	v_cmpx_lt_u32_e32 0x3c7fffff, v7
	s_xor_b32 s2, exec_lo, s2
; %bb.1104:
	v_bfe_u32 v3, v2, 20, 1
	s_delay_alu instid0(VALU_DEP_1) | instskip(NEXT) | instid1(VALU_DEP_1)
	v_add3_u32 v3, v2, v3, 0x407ffff
	v_and_b32_e32 v7, 0xff00000, v3
	v_lshrrev_b32_e32 v3, 20, v3
	s_delay_alu instid0(VALU_DEP_2) | instskip(NEXT) | instid1(VALU_DEP_2)
	v_cmp_ne_u32_e32 vcc_lo, 0x7f00000, v7
	v_cndmask_b32_e32 v3, 0x7e, v3, vcc_lo
; %bb.1105:
	s_and_not1_saveexec_b32 s2, s2
; %bb.1106:
	v_add_f32_e64 v3, 0x46800000, |v2|
; %bb.1107:
	s_or_b32 exec_lo, exec_lo, s2
                                        ; implicit-def: $vgpr7
.LBB11_1108:
	s_and_not1_saveexec_b32 s1, s1
; %bb.1109:
	v_mov_b32_e32 v3, 0x7f
	v_cmp_lt_u32_e32 vcc_lo, 0x7f800000, v7
	s_delay_alu instid0(VALU_DEP_2)
	v_cndmask_b32_e32 v3, 0x7e, v3, vcc_lo
; %bb.1110:
	s_or_b32 exec_lo, exec_lo, s1
	v_lshrrev_b32_e32 v2, 24, v2
	s_delay_alu instid0(VALU_DEP_1)
	v_and_or_b32 v2, 0x80, v2, v3
	global_store_b8 v[4:5], v2, off
.LBB11_1111:
	s_mov_b32 s1, 0
.LBB11_1112:
	s_delay_alu instid0(SALU_CYCLE_1)
	s_and_not1_b32 vcc_lo, exec_lo, s1
	s_cbranch_vccnz .LBB11_1122
; %bb.1113:
	v_cvt_f32_f64_e32 v2, v[0:1]
	s_mov_b32 s1, exec_lo
                                        ; implicit-def: $vgpr3
	s_delay_alu instid0(VALU_DEP_1) | instskip(NEXT) | instid1(VALU_DEP_1)
	v_and_b32_e32 v7, 0x7fffffff, v2
	v_cmpx_gt_u32_e32 0x47800000, v7
	s_xor_b32 s1, exec_lo, s1
	s_cbranch_execz .LBB11_1119
; %bb.1114:
	s_mov_b32 s2, exec_lo
                                        ; implicit-def: $vgpr3
	v_cmpx_lt_u32_e32 0x387fffff, v7
	s_xor_b32 s2, exec_lo, s2
; %bb.1115:
	v_bfe_u32 v3, v2, 21, 1
	s_delay_alu instid0(VALU_DEP_1) | instskip(NEXT) | instid1(VALU_DEP_1)
	v_add3_u32 v3, v2, v3, 0x80fffff
	v_lshrrev_b32_e32 v3, 21, v3
; %bb.1116:
	s_and_not1_saveexec_b32 s2, s2
; %bb.1117:
	v_add_f32_e64 v3, 0x43000000, |v2|
; %bb.1118:
	s_or_b32 exec_lo, exec_lo, s2
                                        ; implicit-def: $vgpr7
.LBB11_1119:
	s_and_not1_saveexec_b32 s1, s1
; %bb.1120:
	v_mov_b32_e32 v3, 0x7f
	v_cmp_lt_u32_e32 vcc_lo, 0x7f800000, v7
	s_delay_alu instid0(VALU_DEP_2)
	v_cndmask_b32_e32 v3, 0x7c, v3, vcc_lo
; %bb.1121:
	s_or_b32 exec_lo, exec_lo, s1
	v_lshrrev_b32_e32 v2, 24, v2
	s_delay_alu instid0(VALU_DEP_1)
	v_and_or_b32 v2, 0x80, v2, v3
	global_store_b8 v[4:5], v2, off
.LBB11_1122:
	s_mov_b32 s2, 0
	s_mov_b32 s1, -1
.LBB11_1123:
	s_and_not1_b32 vcc_lo, exec_lo, s2
	s_cbranch_vccnz .LBB11_1131
; %bb.1124:
	v_cmp_lt_i16_e32 vcc_lo, 14, v6
	s_mov_b32 s2, -1
	s_cbranch_vccz .LBB11_1128
; %bb.1125:
	v_cmp_eq_u16_e32 vcc_lo, 15, v6
	s_mov_b32 s0, -1
	s_cbranch_vccz .LBB11_1127
; %bb.1126:
	v_cvt_f32_f64_e32 v2, v[0:1]
	s_mov_b32 s1, -1
	s_mov_b32 s0, 0
	s_delay_alu instid0(VALU_DEP_1) | instskip(SKIP_1) | instid1(VALU_DEP_2)
	v_bfe_u32 v3, v2, 16, 1
	v_cmp_o_f32_e32 vcc_lo, v2, v2
	v_add3_u32 v3, v2, v3, 0x7fff
	s_delay_alu instid0(VALU_DEP_1) | instskip(NEXT) | instid1(VALU_DEP_1)
	v_lshrrev_b32_e32 v3, 16, v3
	v_cndmask_b32_e32 v2, 0x7fc0, v3, vcc_lo
	global_store_b16 v[4:5], v2, off
.LBB11_1127:
	s_mov_b32 s2, 0
.LBB11_1128:
	s_delay_alu instid0(SALU_CYCLE_1)
	s_and_b32 vcc_lo, exec_lo, s2
	s_cbranch_vccz .LBB11_1131
; %bb.1129:
	v_cmp_eq_u16_e32 vcc_lo, 11, v6
	s_mov_b32 s0, -1
	s_cbranch_vccz .LBB11_1131
; %bb.1130:
	v_cmp_neq_f64_e32 vcc_lo, 0, v[0:1]
	s_mov_b32 s1, -1
	s_mov_b32 s0, 0
	v_cndmask_b32_e64 v2, 0, 1, vcc_lo
	global_store_b8 v[4:5], v2, off
.LBB11_1131:
	s_mov_b32 s2, 0
.LBB11_1132:
	s_delay_alu instid0(SALU_CYCLE_1)
	s_and_b32 vcc_lo, exec_lo, s2
	s_cbranch_vccz .LBB11_1171
; %bb.1133:
	v_cmp_gt_i16_e32 vcc_lo, 5, v6
	s_mov_b32 s1, -1
	s_cbranch_vccnz .LBB11_1154
; %bb.1134:
	v_cmp_gt_i16_e32 vcc_lo, 8, v6
	s_cbranch_vccnz .LBB11_1144
; %bb.1135:
	v_cmp_gt_i16_e32 vcc_lo, 9, v6
	s_cbranch_vccnz .LBB11_1141
; %bb.1136:
	v_cmp_lt_i16_e32 vcc_lo, 9, v6
	s_cbranch_vccz .LBB11_1138
; %bb.1137:
	v_mov_b32_e32 v2, 0
	s_mov_b32 s1, 0
	s_delay_alu instid0(VALU_DEP_1)
	v_mov_b32_e32 v3, v2
	global_store_b128 v[4:5], v[0:3], off
.LBB11_1138:
	s_and_not1_b32 vcc_lo, exec_lo, s1
	s_cbranch_vccnz .LBB11_1140
; %bb.1139:
	v_cvt_f32_f64_e32 v2, v[0:1]
	v_mov_b32_e32 v3, 0
	global_store_b64 v[4:5], v[2:3], off
.LBB11_1140:
	s_mov_b32 s1, 0
.LBB11_1141:
	s_delay_alu instid0(SALU_CYCLE_1)
	s_and_not1_b32 vcc_lo, exec_lo, s1
	s_cbranch_vccnz .LBB11_1143
; %bb.1142:
	v_cvt_f32_f64_e32 v2, v[0:1]
	s_delay_alu instid0(VALU_DEP_1) | instskip(NEXT) | instid1(VALU_DEP_1)
	v_cvt_f16_f32_e32 v2, v2
	v_and_b32_e32 v2, 0xffff, v2
	global_store_b32 v[4:5], v2, off
.LBB11_1143:
	s_mov_b32 s1, 0
.LBB11_1144:
	s_delay_alu instid0(SALU_CYCLE_1)
	s_and_not1_b32 vcc_lo, exec_lo, s1
	s_cbranch_vccnz .LBB11_1153
; %bb.1145:
	v_cmp_gt_i16_e32 vcc_lo, 6, v6
	s_mov_b32 s1, -1
	s_cbranch_vccnz .LBB11_1151
; %bb.1146:
	v_cmp_lt_i16_e32 vcc_lo, 6, v6
	s_cbranch_vccz .LBB11_1148
; %bb.1147:
	s_mov_b32 s1, 0
	global_store_b64 v[4:5], v[0:1], off
.LBB11_1148:
	s_and_not1_b32 vcc_lo, exec_lo, s1
	s_cbranch_vccnz .LBB11_1150
; %bb.1149:
	v_cvt_f32_f64_e32 v2, v[0:1]
	global_store_b32 v[4:5], v2, off
.LBB11_1150:
	s_mov_b32 s1, 0
.LBB11_1151:
	s_delay_alu instid0(SALU_CYCLE_1)
	s_and_not1_b32 vcc_lo, exec_lo, s1
	s_cbranch_vccnz .LBB11_1153
; %bb.1152:
	v_cvt_f32_f64_e32 v2, v[0:1]
	s_delay_alu instid0(VALU_DEP_1)
	v_cvt_f16_f32_e32 v2, v2
	global_store_b16 v[4:5], v2, off
.LBB11_1153:
	s_mov_b32 s1, 0
.LBB11_1154:
	s_delay_alu instid0(SALU_CYCLE_1)
	s_and_not1_b32 vcc_lo, exec_lo, s1
	s_cbranch_vccnz .LBB11_1170
; %bb.1155:
	v_cmp_gt_i16_e32 vcc_lo, 2, v6
	s_mov_b32 s1, -1
	s_cbranch_vccnz .LBB11_1165
; %bb.1156:
	v_cmp_gt_i16_e32 vcc_lo, 3, v6
	s_cbranch_vccnz .LBB11_1162
; %bb.1157:
	v_cmp_lt_i16_e32 vcc_lo, 3, v6
	s_cbranch_vccz .LBB11_1159
; %bb.1158:
	v_trunc_f64_e32 v[2:3], v[0:1]
	s_mov_b32 s1, 0
	s_delay_alu instid0(VALU_DEP_1) | instskip(NEXT) | instid1(VALU_DEP_1)
	v_ldexp_f64 v[7:8], v[2:3], 0xffffffe0
	v_floor_f64_e32 v[7:8], v[7:8]
	s_delay_alu instid0(VALU_DEP_1) | instskip(SKIP_1) | instid1(VALU_DEP_2)
	v_fma_f64 v[2:3], 0xc1f00000, v[7:8], v[2:3]
	v_cvt_i32_f64_e32 v8, v[7:8]
	v_cvt_u32_f64_e32 v7, v[2:3]
	global_store_b64 v[4:5], v[7:8], off
.LBB11_1159:
	s_and_not1_b32 vcc_lo, exec_lo, s1
	s_cbranch_vccnz .LBB11_1161
; %bb.1160:
	v_cvt_i32_f64_e32 v2, v[0:1]
	global_store_b32 v[4:5], v2, off
.LBB11_1161:
	s_mov_b32 s1, 0
.LBB11_1162:
	s_delay_alu instid0(SALU_CYCLE_1)
	s_and_not1_b32 vcc_lo, exec_lo, s1
	s_cbranch_vccnz .LBB11_1164
; %bb.1163:
	v_cvt_i32_f64_e32 v2, v[0:1]
	global_store_b16 v[4:5], v2, off
.LBB11_1164:
	s_mov_b32 s1, 0
.LBB11_1165:
	s_delay_alu instid0(SALU_CYCLE_1)
	s_and_not1_b32 vcc_lo, exec_lo, s1
	s_cbranch_vccnz .LBB11_1170
; %bb.1166:
	v_cmp_lt_i16_e32 vcc_lo, 0, v6
	s_mov_b32 s1, -1
	s_cbranch_vccz .LBB11_1168
; %bb.1167:
	v_cvt_i32_f64_e32 v2, v[0:1]
	s_mov_b32 s1, 0
	global_store_b8 v[4:5], v2, off
.LBB11_1168:
	s_and_not1_b32 vcc_lo, exec_lo, s1
	s_cbranch_vccnz .LBB11_1170
; %bb.1169:
	v_trunc_f64_e32 v[0:1], v[0:1]
	s_delay_alu instid0(VALU_DEP_1) | instskip(NEXT) | instid1(VALU_DEP_1)
	v_ldexp_f64 v[2:3], v[0:1], 0xffffffe0
	v_floor_f64_e32 v[2:3], v[2:3]
	s_delay_alu instid0(VALU_DEP_1) | instskip(NEXT) | instid1(VALU_DEP_1)
	v_fma_f64 v[0:1], 0xc1f00000, v[2:3], v[0:1]
	v_cvt_u32_f64_e32 v0, v[0:1]
	global_store_b8 v[4:5], v0, off
.LBB11_1170:
	s_mov_b32 s1, -1
.LBB11_1171:
	s_delay_alu instid0(SALU_CYCLE_1)
	s_and_not1_b32 vcc_lo, exec_lo, s1
	s_cbranch_vccnz .LBB11_1173
; %bb.1172:
	v_add_nc_u32_e32 v47, 0x80, v47
	s_mov_b32 s1, -1
	s_branch .LBB11_1175
.LBB11_1173:
	s_mov_b32 s1, 0
.LBB11_1174:
                                        ; implicit-def: $vgpr47
.LBB11_1175:
	s_and_not1_b32 s2, s65, exec_lo
	s_and_b32 s0, s0, exec_lo
	s_and_not1_b32 s5, s64, exec_lo
	s_or_b32 s3, s2, s0
	s_and_not1_b32 s0, s66, exec_lo
	s_and_b32 s2, s70, exec_lo
	s_and_b32 s6, s69, exec_lo
	s_or_b32 s4, s0, s2
	s_or_b32 s2, s5, s6
	s_or_not1_b32 s7, s1, exec_lo
.LBB11_1176:
	s_or_b32 exec_lo, exec_lo, s68
	s_mov_b32 s1, 0
	s_mov_b32 s6, 0
	;; [unrolled: 1-line block ×3, first 2 shown]
                                        ; implicit-def: $vgpr2
                                        ; implicit-def: $vgpr0_vgpr1
                                        ; implicit-def: $vgpr43_vgpr44
	s_and_saveexec_b32 s5, s7
	s_cbranch_execz .LBB11_1259
; %bb.1177:
	s_mov_b32 s7, s2
	s_mov_b32 s9, 0
	s_mov_b32 s6, exec_lo
                                        ; implicit-def: $vgpr2
                                        ; implicit-def: $vgpr0_vgpr1
                                        ; implicit-def: $vgpr43_vgpr44
	v_cmpx_gt_i32_e64 s59, v47
	s_cbranch_execz .LBB11_1258
; %bb.1178:
	v_mul_lo_u32 v0, v47, s49
	v_and_b32_e64 v2, 0xff, s56
	s_delay_alu instid0(VALU_DEP_1) | instskip(NEXT) | instid1(VALU_DEP_3)
	v_cmp_gt_i16_e32 vcc_lo, 11, v2
	v_ashrrev_i32_e32 v1, 31, v0
	v_add_co_u32 v0, s0, s46, v0
	s_delay_alu instid0(VALU_DEP_1)
	v_add_co_ci_u32_e64 v1, s0, s47, v1, s0
	s_cbranch_vccnz .LBB11_1185
; %bb.1179:
	v_cmp_lt_i16_e32 vcc_lo, 25, v2
	s_mov_b32 s8, 0
	s_cbranch_vccz .LBB11_1186
; %bb.1180:
	v_cmp_lt_i16_e32 vcc_lo, 28, v2
	s_cbranch_vccz .LBB11_1187
; %bb.1181:
	v_cmp_lt_i16_e32 vcc_lo, 43, v2
	;; [unrolled: 3-line block ×3, first 2 shown]
	s_cbranch_vccz .LBB11_1189
; %bb.1183:
	v_cmp_eq_u16_e32 vcc_lo, 46, v2
	s_cbranch_vccz .LBB11_1192
; %bb.1184:
	global_load_b32 v3, v[0:1], off
	s_mov_b32 s7, 0
	s_mov_b32 s0, -1
	s_waitcnt vmcnt(0)
	v_lshlrev_b32_e32 v3, 16, v3
	s_delay_alu instid0(VALU_DEP_1)
	v_cvt_f64_f32_e32 v[43:44], v3
	s_branch .LBB11_1194
.LBB11_1185:
	s_mov_b32 s1, -1
	s_mov_b32 s0, 0
	s_mov_b32 s8, 0
	;; [unrolled: 1-line block ×3, first 2 shown]
                                        ; implicit-def: $vgpr43_vgpr44
	s_branch .LBB11_1257
.LBB11_1186:
	s_mov_b32 s1, -1
	s_mov_b32 s0, 0
	s_mov_b32 s7, s2
                                        ; implicit-def: $vgpr43_vgpr44
	s_branch .LBB11_1225
.LBB11_1187:
	s_mov_b32 s1, -1
	s_mov_b32 s0, 0
	s_mov_b32 s7, s2
                                        ; implicit-def: $vgpr43_vgpr44
	s_branch .LBB11_1204
.LBB11_1188:
	s_mov_b32 s1, -1
	s_mov_b32 s0, 0
	s_mov_b32 s7, s2
                                        ; implicit-def: $vgpr43_vgpr44
	s_branch .LBB11_1199
.LBB11_1189:
	s_mov_b32 s1, -1
	s_mov_b32 s0, 0
	s_mov_b32 s7, s2
	s_branch .LBB11_1193
.LBB11_1190:
	s_or_saveexec_b32 s3, s3
                                        ; implicit-def: $sgpr4
	s_delay_alu instid0(SALU_CYCLE_1)
	s_xor_b32 exec_lo, exec_lo, s3
	s_cbranch_execz .LBB11_1084
.LBB11_1191:
	v_add_f32_e64 v3, 0x46000000, |v2|
	s_and_not1_b32 s2, s2, exec_lo
	s_mov_b32 s4, 0
	s_delay_alu instid0(VALU_DEP_1) | instskip(NEXT) | instid1(VALU_DEP_1)
	v_and_b32_e32 v3, 0xff, v3
	v_cmp_ne_u32_e32 vcc_lo, 0, v3
	s_and_b32 s5, vcc_lo, exec_lo
	s_delay_alu instid0(SALU_CYCLE_1)
	s_or_b32 s2, s2, s5
	s_or_b32 exec_lo, exec_lo, s3
	v_mov_b32_e32 v7, s4
	s_and_saveexec_b32 s3, s2
	s_cbranch_execnz .LBB11_1085
	s_branch .LBB11_1086
.LBB11_1192:
	s_mov_b32 s7, -1
	s_mov_b32 s0, 0
.LBB11_1193:
                                        ; implicit-def: $vgpr43_vgpr44
.LBB11_1194:
	s_and_b32 vcc_lo, exec_lo, s1
	s_cbranch_vccz .LBB11_1198
; %bb.1195:
	v_cmp_eq_u16_e32 vcc_lo, 44, v2
	s_cbranch_vccz .LBB11_1197
; %bb.1196:
	global_load_u8 v5, v[0:1], off
	s_mov_b32 s7, 0
	s_mov_b32 s0, -1
	s_waitcnt vmcnt(0)
	v_cmp_ne_u32_e32 vcc_lo, 0xff, v5
	v_lshlrev_b32_e32 v3, 23, v5
	s_delay_alu instid0(VALU_DEP_1) | instskip(NEXT) | instid1(VALU_DEP_1)
	v_cvt_f64_f32_e32 v[3:4], v3
	v_cndmask_b32_e32 v4, 0x7ff80000, v4, vcc_lo
	s_delay_alu instid0(VALU_DEP_2) | instskip(SKIP_1) | instid1(VALU_DEP_3)
	v_cndmask_b32_e32 v3, 0x20000000, v3, vcc_lo
	v_cmp_ne_u32_e32 vcc_lo, 0, v5
	v_cndmask_b32_e32 v44, 0x38000000, v4, vcc_lo
	s_delay_alu instid0(VALU_DEP_3)
	v_cndmask_b32_e32 v43, 0, v3, vcc_lo
	s_branch .LBB11_1198
.LBB11_1197:
	s_mov_b32 s7, -1
                                        ; implicit-def: $vgpr43_vgpr44
.LBB11_1198:
	s_mov_b32 s1, 0
.LBB11_1199:
	s_delay_alu instid0(SALU_CYCLE_1)
	s_and_b32 vcc_lo, exec_lo, s1
	s_cbranch_vccz .LBB11_1203
; %bb.1200:
	v_cmp_eq_u16_e32 vcc_lo, 29, v2
	s_cbranch_vccz .LBB11_1202
; %bb.1201:
	global_load_b64 v[3:4], v[0:1], off
	s_mov_b32 s7, 0
	s_mov_b32 s0, -1
	s_mov_b32 s1, 0
	s_waitcnt vmcnt(0)
	v_cvt_f64_u32_e32 v[4:5], v4
	v_cvt_f64_u32_e32 v[6:7], v3
	s_delay_alu instid0(VALU_DEP_2) | instskip(NEXT) | instid1(VALU_DEP_1)
	v_ldexp_f64 v[4:5], v[4:5], 32
	v_add_f64 v[43:44], v[4:5], v[6:7]
	s_branch .LBB11_1204
.LBB11_1202:
	s_mov_b32 s7, -1
                                        ; implicit-def: $vgpr43_vgpr44
.LBB11_1203:
	s_mov_b32 s1, 0
.LBB11_1204:
	s_delay_alu instid0(SALU_CYCLE_1)
	s_and_b32 vcc_lo, exec_lo, s1
	s_cbranch_vccz .LBB11_1224
; %bb.1205:
	v_cmp_gt_i16_e32 vcc_lo, 27, v2
	s_cbranch_vccnz .LBB11_1208
; %bb.1206:
	v_cmp_lt_i16_e32 vcc_lo, 27, v2
	s_cbranch_vccz .LBB11_1209
; %bb.1207:
	global_load_b32 v3, v[0:1], off
	s_mov_b32 s0, 0
	s_waitcnt vmcnt(0)
	v_cvt_f64_u32_e32 v[43:44], v3
	s_branch .LBB11_1210
.LBB11_1208:
	s_mov_b32 s0, -1
                                        ; implicit-def: $vgpr43_vgpr44
	s_branch .LBB11_1213
.LBB11_1209:
	s_mov_b32 s0, -1
                                        ; implicit-def: $vgpr43_vgpr44
.LBB11_1210:
	s_delay_alu instid0(SALU_CYCLE_1)
	s_and_not1_b32 vcc_lo, exec_lo, s0
	s_cbranch_vccnz .LBB11_1212
; %bb.1211:
	global_load_u16 v3, v[0:1], off
	s_waitcnt vmcnt(0)
	v_cvt_f64_u32_e32 v[43:44], v3
.LBB11_1212:
	s_mov_b32 s0, 0
.LBB11_1213:
	s_delay_alu instid0(SALU_CYCLE_1)
	s_and_not1_b32 vcc_lo, exec_lo, s0
	s_cbranch_vccnz .LBB11_1223
; %bb.1214:
	global_load_u8 v3, v[0:1], off
	s_mov_b32 s10, exec_lo
                                        ; implicit-def: $sgpr0_sgpr1
	s_waitcnt vmcnt(0)
	v_cmpx_lt_i16_e32 0x7f, v3
	s_xor_b32 s10, exec_lo, s10
	s_cbranch_execz .LBB11_1218
; %bb.1215:
	s_mov_b32 s11, -1
	s_mov_b32 s9, exec_lo
                                        ; implicit-def: $sgpr0_sgpr1
	v_cmpx_eq_u16_e32 0x80, v3
; %bb.1216:
	s_mov_b32 s1, 0x7ff80000
	s_brev_b32 s0, 4
	s_xor_b32 s11, exec_lo, -1
; %bb.1217:
	s_or_b32 exec_lo, exec_lo, s9
	s_delay_alu instid0(SALU_CYCLE_1)
	s_and_b32 s9, s11, exec_lo
.LBB11_1218:
	s_or_saveexec_b32 s10, s10
	v_dual_mov_b32 v44, s1 :: v_dual_mov_b32 v43, s0
	s_xor_b32 exec_lo, exec_lo, s10
; %bb.1219:
	v_cmp_ne_u16_e32 vcc_lo, 0, v3
	v_mov_b32_e32 v43, 0
	v_mov_b32_e32 v44, 0
	s_and_not1_b32 s0, s9, exec_lo
	s_and_b32 s1, vcc_lo, exec_lo
	s_delay_alu instid0(SALU_CYCLE_1)
	s_or_b32 s9, s0, s1
; %bb.1220:
	s_or_b32 exec_lo, exec_lo, s10
	s_and_saveexec_b32 s0, s9
	s_cbranch_execz .LBB11_1222
; %bb.1221:
	v_and_b32_e32 v4, 0xffff, v3
	v_lshlrev_b32_e32 v3, 24, v3
	s_delay_alu instid0(VALU_DEP_2) | instskip(NEXT) | instid1(VALU_DEP_2)
	v_and_b32_e32 v5, 7, v4
	v_and_b32_e32 v3, 0x80000000, v3
	s_delay_alu instid0(VALU_DEP_2) | instskip(NEXT) | instid1(VALU_DEP_1)
	v_clz_i32_u32_e32 v6, v5
	v_min_u32_e32 v6, 32, v6
	s_delay_alu instid0(VALU_DEP_1) | instskip(SKIP_1) | instid1(VALU_DEP_2)
	v_subrev_nc_u32_e32 v7, 28, v6
	v_sub_nc_u32_e32 v6, 29, v6
	v_lshlrev_b32_e32 v7, v7, v4
	v_bfe_u32 v4, v4, 3, 4
	s_delay_alu instid0(VALU_DEP_2) | instskip(NEXT) | instid1(VALU_DEP_2)
	v_and_b32_e32 v7, 7, v7
	v_cmp_eq_u32_e32 vcc_lo, 0, v4
	s_delay_alu instid0(VALU_DEP_2) | instskip(NEXT) | instid1(VALU_DEP_1)
	v_dual_cndmask_b32 v4, v4, v6 :: v_dual_cndmask_b32 v5, v5, v7
	v_lshl_add_u32 v4, v4, 23, 0x3b800000
	s_delay_alu instid0(VALU_DEP_2) | instskip(NEXT) | instid1(VALU_DEP_1)
	v_lshlrev_b32_e32 v5, 20, v5
	v_or3_b32 v3, v3, v4, v5
	s_delay_alu instid0(VALU_DEP_1)
	v_cvt_f64_f32_e32 v[43:44], v3
.LBB11_1222:
	s_or_b32 exec_lo, exec_lo, s0
.LBB11_1223:
	s_mov_b32 s0, -1
.LBB11_1224:
	s_mov_b32 s1, 0
.LBB11_1225:
	s_delay_alu instid0(SALU_CYCLE_1)
	s_and_b32 vcc_lo, exec_lo, s1
	s_cbranch_vccz .LBB11_1256
; %bb.1226:
	v_cmp_lt_i16_e32 vcc_lo, 22, v2
	s_cbranch_vccz .LBB11_1238
; %bb.1227:
	v_cmp_gt_i16_e32 vcc_lo, 24, v2
	s_cbranch_vccnz .LBB11_1239
; %bb.1228:
	v_cmp_lt_i16_e32 vcc_lo, 24, v2
	s_cbranch_vccz .LBB11_1240
; %bb.1229:
	global_load_u8 v3, v[0:1], off
	s_mov_b32 s9, exec_lo
                                        ; implicit-def: $sgpr0_sgpr1
	s_waitcnt vmcnt(0)
	v_cmpx_lt_i16_e32 0x7f, v3
	s_xor_b32 s9, exec_lo, s9
	s_cbranch_execz .LBB11_1233
; %bb.1230:
	s_mov_b32 s10, -1
	s_mov_b32 s8, exec_lo
                                        ; implicit-def: $sgpr0_sgpr1
	v_cmpx_eq_u16_e32 0x80, v3
; %bb.1231:
	s_mov_b32 s1, 0x7ff80000
	s_brev_b32 s0, 4
	s_xor_b32 s10, exec_lo, -1
; %bb.1232:
	s_or_b32 exec_lo, exec_lo, s8
	s_delay_alu instid0(SALU_CYCLE_1)
	s_and_b32 s8, s10, exec_lo
.LBB11_1233:
	s_or_saveexec_b32 s9, s9
	v_dual_mov_b32 v44, s1 :: v_dual_mov_b32 v43, s0
	s_xor_b32 exec_lo, exec_lo, s9
; %bb.1234:
	v_cmp_ne_u16_e32 vcc_lo, 0, v3
	v_mov_b32_e32 v43, 0
	v_mov_b32_e32 v44, 0
	s_and_not1_b32 s0, s8, exec_lo
	s_and_b32 s1, vcc_lo, exec_lo
	s_delay_alu instid0(SALU_CYCLE_1)
	s_or_b32 s8, s0, s1
; %bb.1235:
	s_or_b32 exec_lo, exec_lo, s9
	s_and_saveexec_b32 s0, s8
	s_cbranch_execz .LBB11_1237
; %bb.1236:
	v_and_b32_e32 v4, 0xffff, v3
	v_lshlrev_b32_e32 v3, 24, v3
	s_delay_alu instid0(VALU_DEP_2) | instskip(NEXT) | instid1(VALU_DEP_2)
	v_and_b32_e32 v5, 3, v4
	v_and_b32_e32 v3, 0x80000000, v3
	s_delay_alu instid0(VALU_DEP_2) | instskip(NEXT) | instid1(VALU_DEP_1)
	v_clz_i32_u32_e32 v6, v5
	v_min_u32_e32 v6, 32, v6
	s_delay_alu instid0(VALU_DEP_1) | instskip(SKIP_1) | instid1(VALU_DEP_2)
	v_subrev_nc_u32_e32 v7, 29, v6
	v_sub_nc_u32_e32 v6, 30, v6
	v_lshlrev_b32_e32 v7, v7, v4
	v_bfe_u32 v4, v4, 2, 5
	s_delay_alu instid0(VALU_DEP_2) | instskip(NEXT) | instid1(VALU_DEP_2)
	v_and_b32_e32 v7, 3, v7
	v_cmp_eq_u32_e32 vcc_lo, 0, v4
	s_delay_alu instid0(VALU_DEP_2) | instskip(NEXT) | instid1(VALU_DEP_1)
	v_dual_cndmask_b32 v4, v4, v6 :: v_dual_cndmask_b32 v5, v5, v7
	v_lshl_add_u32 v4, v4, 23, 0x37800000
	s_delay_alu instid0(VALU_DEP_2) | instskip(NEXT) | instid1(VALU_DEP_1)
	v_lshlrev_b32_e32 v5, 21, v5
	v_or3_b32 v3, v3, v4, v5
	s_delay_alu instid0(VALU_DEP_1)
	v_cvt_f64_f32_e32 v[43:44], v3
.LBB11_1237:
	s_or_b32 exec_lo, exec_lo, s0
	s_mov_b32 s0, 0
	s_branch .LBB11_1241
.LBB11_1238:
	s_mov_b32 s1, -1
                                        ; implicit-def: $vgpr43_vgpr44
	s_branch .LBB11_1247
.LBB11_1239:
	s_mov_b32 s0, -1
                                        ; implicit-def: $vgpr43_vgpr44
	s_branch .LBB11_1244
.LBB11_1240:
	s_mov_b32 s0, -1
                                        ; implicit-def: $vgpr43_vgpr44
.LBB11_1241:
	s_delay_alu instid0(SALU_CYCLE_1)
	s_and_b32 vcc_lo, exec_lo, s0
	s_cbranch_vccz .LBB11_1243
; %bb.1242:
	global_load_u8 v3, v[0:1], off
	s_waitcnt vmcnt(0)
	v_lshlrev_b32_e32 v3, 24, v3
	s_delay_alu instid0(VALU_DEP_1) | instskip(NEXT) | instid1(VALU_DEP_1)
	v_and_b32_e32 v4, 0x7f000000, v3
	v_clz_i32_u32_e32 v5, v4
	v_add_nc_u32_e32 v7, 0x1000000, v4
	v_cmp_ne_u32_e32 vcc_lo, 0, v4
	s_delay_alu instid0(VALU_DEP_3) | instskip(NEXT) | instid1(VALU_DEP_1)
	v_min_u32_e32 v5, 32, v5
	v_sub_nc_u32_e64 v5, v5, 4 clamp
	s_delay_alu instid0(VALU_DEP_1) | instskip(SKIP_1) | instid1(VALU_DEP_2)
	v_lshlrev_b32_e32 v6, v5, v4
	v_lshlrev_b32_e32 v5, 23, v5
	v_lshrrev_b32_e32 v6, 4, v6
	s_delay_alu instid0(VALU_DEP_1) | instskip(SKIP_1) | instid1(VALU_DEP_2)
	v_sub_nc_u32_e32 v5, v6, v5
	v_ashrrev_i32_e32 v6, 8, v7
	v_add_nc_u32_e32 v5, 0x3c000000, v5
	s_delay_alu instid0(VALU_DEP_1) | instskip(NEXT) | instid1(VALU_DEP_1)
	v_and_or_b32 v5, 0x7f800000, v6, v5
	v_cndmask_b32_e32 v4, 0, v5, vcc_lo
	s_delay_alu instid0(VALU_DEP_1) | instskip(NEXT) | instid1(VALU_DEP_1)
	v_and_or_b32 v3, 0x80000000, v3, v4
	v_cvt_f64_f32_e32 v[43:44], v3
.LBB11_1243:
	s_mov_b32 s0, 0
.LBB11_1244:
	s_delay_alu instid0(SALU_CYCLE_1)
	s_and_not1_b32 vcc_lo, exec_lo, s0
	s_cbranch_vccnz .LBB11_1246
; %bb.1245:
	global_load_u8 v3, v[0:1], off
	s_waitcnt vmcnt(0)
	v_lshlrev_b32_e32 v4, 25, v3
	v_lshlrev_b16 v3, 8, v3
	s_delay_alu instid0(VALU_DEP_2) | instskip(NEXT) | instid1(VALU_DEP_2)
	v_lshrrev_b32_e32 v5, 4, v4
	v_and_or_b32 v6, 0x7f00, v3, 0.5
	v_bfe_i32 v3, v3, 0, 16
	s_delay_alu instid0(VALU_DEP_3) | instskip(NEXT) | instid1(VALU_DEP_1)
	v_or_b32_e32 v5, 0x70000000, v5
	v_dual_add_f32 v6, -0.5, v6 :: v_dual_mul_f32 v5, 0x7800000, v5
	v_cmp_gt_u32_e32 vcc_lo, 0x8000000, v4
	s_delay_alu instid0(VALU_DEP_2) | instskip(NEXT) | instid1(VALU_DEP_1)
	v_cndmask_b32_e32 v4, v5, v6, vcc_lo
	v_and_or_b32 v3, 0x80000000, v3, v4
	s_delay_alu instid0(VALU_DEP_1)
	v_cvt_f64_f32_e32 v[43:44], v3
.LBB11_1246:
	s_mov_b32 s1, 0
	s_mov_b32 s0, -1
.LBB11_1247:
	s_and_not1_b32 vcc_lo, exec_lo, s1
	s_mov_b32 s8, 0
	s_cbranch_vccnz .LBB11_1256
; %bb.1248:
	v_cmp_lt_i16_e32 vcc_lo, 14, v2
	s_cbranch_vccz .LBB11_1251
; %bb.1249:
	v_cmp_eq_u16_e32 vcc_lo, 15, v2
	s_cbranch_vccz .LBB11_1252
; %bb.1250:
	global_load_u16 v3, v[0:1], off
	s_mov_b32 s7, 0
	s_mov_b32 s0, -1
	s_waitcnt vmcnt(0)
	v_lshlrev_b32_e32 v3, 16, v3
	s_delay_alu instid0(VALU_DEP_1)
	v_cvt_f64_f32_e32 v[43:44], v3
	s_branch .LBB11_1253
.LBB11_1251:
	s_mov_b32 s1, -1
                                        ; implicit-def: $vgpr43_vgpr44
	s_branch .LBB11_1254
.LBB11_1252:
	s_mov_b32 s7, -1
                                        ; implicit-def: $vgpr43_vgpr44
.LBB11_1253:
	s_mov_b32 s1, 0
.LBB11_1254:
	s_delay_alu instid0(SALU_CYCLE_1)
	s_and_b32 vcc_lo, exec_lo, s1
	s_cbranch_vccz .LBB11_1256
; %bb.1255:
	v_cmp_ne_u16_e32 vcc_lo, 11, v2
	s_and_not1_b32 s1, s7, exec_lo
	s_mov_b32 s8, -1
                                        ; implicit-def: $vgpr43_vgpr44
	s_and_b32 s7, vcc_lo, exec_lo
	s_delay_alu instid0(SALU_CYCLE_1)
	s_or_b32 s7, s1, s7
.LBB11_1256:
	s_mov_b32 s1, 0
.LBB11_1257:
	s_and_not1_b32 s10, s2, exec_lo
	s_and_b32 s7, s7, exec_lo
	s_and_b32 s0, s0, exec_lo
	;; [unrolled: 1-line block ×4, first 2 shown]
	s_or_b32 s7, s10, s7
.LBB11_1258:
	s_or_b32 exec_lo, exec_lo, s6
	s_delay_alu instid0(SALU_CYCLE_1)
	s_and_not1_b32 s2, s2, exec_lo
	s_and_b32 s7, s7, exec_lo
	s_and_b32 s0, s0, exec_lo
	;; [unrolled: 1-line block ×4, first 2 shown]
	s_or_b32 s2, s2, s7
.LBB11_1259:
	s_or_b32 exec_lo, exec_lo, s5
	s_delay_alu instid0(SALU_CYCLE_1)
	s_and_not1_b32 s7, s66, exec_lo
	s_and_b32 s4, s4, exec_lo
	s_and_not1_b32 s5, s65, exec_lo
	s_and_b32 s3, s3, exec_lo
	s_or_b32 s66, s7, s4
	s_and_not1_b32 s4, s64, exec_lo
	s_and_b32 s2, s2, exec_lo
	s_or_b32 s65, s5, s3
	s_and_b32 s0, s0, exec_lo
	s_and_b32 s3, s6, exec_lo
	;; [unrolled: 1-line block ×3, first 2 shown]
	s_or_b32 s64, s4, s2
.LBB11_1260:
	s_or_b32 exec_lo, exec_lo, s67
	s_delay_alu instid0(SALU_CYCLE_1)
	s_and_not1_b32 s2, s60, exec_lo
	s_and_b32 s4, s65, exec_lo
	s_and_not1_b32 s5, s61, exec_lo
	s_and_b32 s6, s66, exec_lo
	s_or_b32 s60, s2, s4
	s_and_b32 s2, s3, exec_lo
	s_and_not1_b32 s3, s62, exec_lo
	s_and_b32 s4, s64, exec_lo
	s_or_b32 s61, s5, s6
	s_and_b32 s0, s0, exec_lo
	s_and_b32 s64, s1, exec_lo
	s_or_b32 s62, s3, s4
.LBB11_1261:
	s_or_b32 exec_lo, exec_lo, s63
	s_mov_b32 s59, 0
	s_and_saveexec_b32 s1, s62
	s_cbranch_execnz .LBB11_1273
; %bb.1262:
	s_or_b32 exec_lo, exec_lo, s1
	s_and_saveexec_b32 s1, s64
	s_delay_alu instid0(SALU_CYCLE_1)
	s_xor_b32 s1, exec_lo, s1
	s_cbranch_execz .LBB11_1264
.LBB11_1263:
	global_load_u8 v3, v[0:1], off
	s_waitcnt vmcnt(1)
	v_mov_b32_e32 v43, 0
	s_or_b32 s0, s0, exec_lo
	s_waitcnt vmcnt(0)
	v_cmp_ne_u16_e32 vcc_lo, 0, v3
	v_cndmask_b32_e64 v44, 0, 0x3ff00000, vcc_lo
.LBB11_1264:
	s_or_b32 exec_lo, exec_lo, s1
	s_and_saveexec_b32 s1, s2
	s_cbranch_execz .LBB11_1312
; %bb.1265:
	v_cmp_gt_i16_e32 vcc_lo, 5, v2
	s_cbranch_vccnz .LBB11_1270
; %bb.1266:
	v_cmp_gt_i16_e32 vcc_lo, 8, v2
	s_cbranch_vccnz .LBB11_1271
	;; [unrolled: 3-line block ×3, first 2 shown]
; %bb.1268:
	v_cmp_lt_i16_e32 vcc_lo, 9, v2
	s_cbranch_vccz .LBB11_1275
; %bb.1269:
	global_load_b64 v[43:44], v[0:1], off
	s_mov_b32 s2, 0
	s_branch .LBB11_1276
.LBB11_1270:
                                        ; implicit-def: $vgpr43_vgpr44
	s_branch .LBB11_1293
.LBB11_1271:
                                        ; implicit-def: $vgpr43_vgpr44
	s_branch .LBB11_1282
.LBB11_1272:
	s_mov_b32 s2, -1
                                        ; implicit-def: $vgpr43_vgpr44
	s_branch .LBB11_1279
.LBB11_1273:
	s_cbranch_execnz .LBB11_1324
; %bb.1274:
	s_mov_b32 s59, exec_lo
	s_and_not1_b32 s64, s64, exec_lo
                                        ; implicit-def: $vgpr43_vgpr44
	s_or_b32 exec_lo, exec_lo, s1
	s_and_saveexec_b32 s1, s64
	s_delay_alu instid0(SALU_CYCLE_1)
	s_xor_b32 s1, exec_lo, s1
	s_cbranch_execnz .LBB11_1263
	s_branch .LBB11_1264
.LBB11_1275:
	s_mov_b32 s2, -1
                                        ; implicit-def: $vgpr43_vgpr44
.LBB11_1276:
	s_delay_alu instid0(SALU_CYCLE_1)
	s_and_not1_b32 vcc_lo, exec_lo, s2
	s_cbranch_vccnz .LBB11_1278
; %bb.1277:
	global_load_b32 v3, v[0:1], off
	s_waitcnt vmcnt(0)
	v_cvt_f64_f32_e32 v[43:44], v3
.LBB11_1278:
	s_mov_b32 s2, 0
.LBB11_1279:
	s_delay_alu instid0(SALU_CYCLE_1)
	s_and_not1_b32 vcc_lo, exec_lo, s2
	s_cbranch_vccnz .LBB11_1281
; %bb.1280:
	global_load_b32 v3, v[0:1], off
	s_waitcnt vmcnt(0)
	v_cvt_f32_f16_e32 v3, v3
	s_delay_alu instid0(VALU_DEP_1)
	v_cvt_f64_f32_e32 v[43:44], v3
.LBB11_1281:
	s_cbranch_execnz .LBB11_1292
.LBB11_1282:
	v_cmp_gt_i16_e32 vcc_lo, 6, v2
	s_cbranch_vccnz .LBB11_1285
; %bb.1283:
	v_cmp_lt_i16_e32 vcc_lo, 6, v2
	s_cbranch_vccz .LBB11_1286
; %bb.1284:
	global_load_b64 v[43:44], v[0:1], off
	s_mov_b32 s2, 0
	s_branch .LBB11_1287
.LBB11_1285:
	s_mov_b32 s2, -1
                                        ; implicit-def: $vgpr43_vgpr44
	s_branch .LBB11_1290
.LBB11_1286:
	s_mov_b32 s2, -1
                                        ; implicit-def: $vgpr43_vgpr44
.LBB11_1287:
	s_delay_alu instid0(SALU_CYCLE_1)
	s_and_not1_b32 vcc_lo, exec_lo, s2
	s_cbranch_vccnz .LBB11_1289
; %bb.1288:
	global_load_b32 v3, v[0:1], off
	s_waitcnt vmcnt(0)
	v_cvt_f64_f32_e32 v[43:44], v3
.LBB11_1289:
	s_mov_b32 s2, 0
.LBB11_1290:
	s_delay_alu instid0(SALU_CYCLE_1)
	s_and_not1_b32 vcc_lo, exec_lo, s2
	s_cbranch_vccnz .LBB11_1292
; %bb.1291:
	global_load_u16 v3, v[0:1], off
	s_waitcnt vmcnt(0)
	v_cvt_f32_f16_e32 v3, v3
	s_delay_alu instid0(VALU_DEP_1)
	v_cvt_f64_f32_e32 v[43:44], v3
.LBB11_1292:
	s_cbranch_execnz .LBB11_1311
.LBB11_1293:
	v_cmp_gt_i16_e32 vcc_lo, 2, v2
	s_cbranch_vccnz .LBB11_1297
; %bb.1294:
	v_cmp_gt_i16_e32 vcc_lo, 3, v2
	s_cbranch_vccnz .LBB11_1298
; %bb.1295:
	v_cmp_lt_i16_e32 vcc_lo, 3, v2
	s_cbranch_vccz .LBB11_1299
; %bb.1296:
	global_load_b64 v[3:4], v[0:1], off
	s_mov_b32 s2, 0
	s_waitcnt vmcnt(0)
	v_cvt_f64_i32_e32 v[4:5], v4
	v_cvt_f64_u32_e32 v[6:7], v3
	s_delay_alu instid0(VALU_DEP_2) | instskip(NEXT) | instid1(VALU_DEP_1)
	v_ldexp_f64 v[4:5], v[4:5], 32
	v_add_f64 v[43:44], v[4:5], v[6:7]
	s_branch .LBB11_1300
.LBB11_1297:
                                        ; implicit-def: $vgpr43_vgpr44
	s_branch .LBB11_1306
.LBB11_1298:
	s_mov_b32 s2, -1
                                        ; implicit-def: $vgpr43_vgpr44
	s_branch .LBB11_1303
.LBB11_1299:
	s_mov_b32 s2, -1
                                        ; implicit-def: $vgpr43_vgpr44
.LBB11_1300:
	s_delay_alu instid0(SALU_CYCLE_1)
	s_and_not1_b32 vcc_lo, exec_lo, s2
	s_cbranch_vccnz .LBB11_1302
; %bb.1301:
	global_load_b32 v3, v[0:1], off
	s_waitcnt vmcnt(0)
	v_cvt_f64_i32_e32 v[43:44], v3
.LBB11_1302:
	s_mov_b32 s2, 0
.LBB11_1303:
	s_delay_alu instid0(SALU_CYCLE_1)
	s_and_not1_b32 vcc_lo, exec_lo, s2
	s_cbranch_vccnz .LBB11_1305
; %bb.1304:
	global_load_i16 v3, v[0:1], off
	s_waitcnt vmcnt(0)
	v_cvt_f64_i32_e32 v[43:44], v3
.LBB11_1305:
	s_cbranch_execnz .LBB11_1311
.LBB11_1306:
	v_cmp_lt_i16_e32 vcc_lo, 0, v2
	s_mov_b32 s2, 0
	s_cbranch_vccz .LBB11_1308
; %bb.1307:
	global_load_i8 v2, v[0:1], off
	s_waitcnt vmcnt(0)
	v_cvt_f64_i32_e32 v[43:44], v2
	s_branch .LBB11_1309
.LBB11_1308:
	s_mov_b32 s2, -1
                                        ; implicit-def: $vgpr43_vgpr44
.LBB11_1309:
	s_delay_alu instid0(SALU_CYCLE_1)
	s_and_not1_b32 vcc_lo, exec_lo, s2
	s_cbranch_vccnz .LBB11_1311
; %bb.1310:
	global_load_u8 v0, v[0:1], off
	s_waitcnt vmcnt(0)
	v_cvt_f64_u32_e32 v[43:44], v0
.LBB11_1311:
	s_or_b32 s0, s0, exec_lo
.LBB11_1312:
	s_or_b32 exec_lo, exec_lo, s1
	s_mov_b32 s3, 0
	s_mov_b32 s5, 0
	;; [unrolled: 1-line block ×3, first 2 shown]
                                        ; implicit-def: $vgpr0_vgpr1
                                        ; implicit-def: $vgpr45_vgpr46
	s_and_saveexec_b32 s2, s0
	s_cbranch_execz .LBB11_1392
; %bb.1313:
	v_mul_lo_u32 v0, v47, s50
	v_cmp_lt_i16_e64 s0, s51, 11
	s_delay_alu instid0(VALU_DEP_2) | instskip(SKIP_1) | instid1(VALU_DEP_2)
	v_ashrrev_i32_e32 v1, 31, v0
	v_add_co_u32 v0, vcc_lo, s52, v0
	v_add_co_ci_u32_e32 v1, vcc_lo, s53, v1, vcc_lo
	s_delay_alu instid0(VALU_DEP_4)
	s_and_b32 vcc_lo, exec_lo, s0
	s_cbranch_vccnz .LBB11_1320
; %bb.1314:
	v_cmp_gt_i16_e64 s0, s51, 25
	s_mov_b32 s4, 0
	s_delay_alu instid0(VALU_DEP_1)
	s_and_b32 vcc_lo, exec_lo, s0
	s_cbranch_vccz .LBB11_1321
; %bb.1315:
	v_cmp_gt_i16_e64 s0, s51, 28
	s_delay_alu instid0(VALU_DEP_1)
	s_and_b32 vcc_lo, exec_lo, s0
	s_cbranch_vccz .LBB11_1322
; %bb.1316:
	v_cmp_gt_i16_e64 s0, s51, 43
	;; [unrolled: 5-line block ×3, first 2 shown]
	s_delay_alu instid0(VALU_DEP_1)
	s_and_b32 vcc_lo, exec_lo, s0
	s_cbranch_vccz .LBB11_1326
; %bb.1318:
	v_cmp_eq_u16_e64 s0, s51, 46
	s_delay_alu instid0(VALU_DEP_1)
	s_and_b32 vcc_lo, exec_lo, s0
	s_cbranch_vccz .LBB11_1327
; %bb.1319:
	global_load_b32 v2, v[0:1], off
	s_mov_b32 s0, -1
	s_waitcnt vmcnt(0)
	v_lshlrev_b32_e32 v2, 16, v2
	s_delay_alu instid0(VALU_DEP_1)
	v_cvt_f64_f32_e32 v[45:46], v2
	s_branch .LBB11_1329
.LBB11_1320:
	s_mov_b32 s5, -1
	s_mov_b32 s0, 0
	s_mov_b32 s4, 0
	;; [unrolled: 1-line block ×3, first 2 shown]
                                        ; implicit-def: $vgpr45_vgpr46
	s_branch .LBB11_1391
.LBB11_1321:
	s_mov_b32 s0, 0
	s_mov_b32 s3, s61
                                        ; implicit-def: $vgpr45_vgpr46
	s_cbranch_execnz .LBB11_1360
	s_branch .LBB11_1390
.LBB11_1322:
	s_mov_b32 s1, -1
	s_mov_b32 s0, 0
	s_mov_b32 s3, s61
                                        ; implicit-def: $vgpr45_vgpr46
	s_branch .LBB11_1339
.LBB11_1323:
	s_mov_b32 s1, -1
	s_mov_b32 s0, 0
	s_mov_b32 s3, s61
                                        ; implicit-def: $vgpr45_vgpr46
	s_branch .LBB11_1334
.LBB11_1324:
	s_trap 2
	s_sendmsg_rtn_b32 s0, sendmsg(MSG_RTN_GET_DOORBELL)
	s_mov_b32 ttmp2, m0
	s_waitcnt lgkmcnt(0)
	s_and_b32 s0, s0, 0x3ff
	s_delay_alu instid0(SALU_CYCLE_1) | instskip(NEXT) | instid1(SALU_CYCLE_1)
	s_bitset1_b32 s0, 10
	s_mov_b32 m0, s0
	s_sendmsg sendmsg(MSG_INTERRUPT)
	s_mov_b32 m0, ttmp2
.LBB11_1325:                            ; =>This Inner Loop Header: Depth=1
	s_sethalt 5
	s_branch .LBB11_1325
.LBB11_1326:
	s_mov_b32 s1, -1
	s_mov_b32 s0, 0
	s_mov_b32 s3, s61
	s_branch .LBB11_1328
.LBB11_1327:
	s_mov_b32 s3, -1
	s_mov_b32 s0, 0
.LBB11_1328:
                                        ; implicit-def: $vgpr45_vgpr46
.LBB11_1329:
	s_and_b32 vcc_lo, exec_lo, s1
	s_cbranch_vccz .LBB11_1333
; %bb.1330:
	v_cmp_eq_u16_e64 s1, s51, 44
	s_delay_alu instid0(VALU_DEP_1)
	s_and_b32 vcc_lo, exec_lo, s1
	s_cbranch_vccz .LBB11_1332
; %bb.1331:
	global_load_u8 v4, v[0:1], off
	s_mov_b32 s3, 0
	s_mov_b32 s0, -1
	s_waitcnt vmcnt(0)
	v_cmp_ne_u32_e32 vcc_lo, 0xff, v4
	v_lshlrev_b32_e32 v2, 23, v4
	s_delay_alu instid0(VALU_DEP_1) | instskip(NEXT) | instid1(VALU_DEP_1)
	v_cvt_f64_f32_e32 v[2:3], v2
	v_cndmask_b32_e32 v3, 0x7ff80000, v3, vcc_lo
	s_delay_alu instid0(VALU_DEP_2) | instskip(SKIP_1) | instid1(VALU_DEP_3)
	v_cndmask_b32_e32 v2, 0x20000000, v2, vcc_lo
	v_cmp_ne_u32_e32 vcc_lo, 0, v4
	v_cndmask_b32_e32 v46, 0x38000000, v3, vcc_lo
	s_delay_alu instid0(VALU_DEP_3)
	v_cndmask_b32_e32 v45, 0, v2, vcc_lo
	s_branch .LBB11_1333
.LBB11_1332:
	s_mov_b32 s3, -1
                                        ; implicit-def: $vgpr45_vgpr46
.LBB11_1333:
	s_mov_b32 s1, 0
.LBB11_1334:
	s_delay_alu instid0(SALU_CYCLE_1)
	s_and_b32 vcc_lo, exec_lo, s1
	s_cbranch_vccz .LBB11_1338
; %bb.1335:
	v_cmp_eq_u16_e64 s1, s51, 29
	s_delay_alu instid0(VALU_DEP_1)
	s_and_b32 vcc_lo, exec_lo, s1
	s_cbranch_vccz .LBB11_1337
; %bb.1336:
	global_load_b64 v[2:3], v[0:1], off
	s_mov_b32 s3, 0
	s_mov_b32 s0, -1
	s_mov_b32 s1, 0
	s_waitcnt vmcnt(0)
	v_cvt_f64_u32_e32 v[3:4], v3
	v_cvt_f64_u32_e32 v[5:6], v2
	s_delay_alu instid0(VALU_DEP_2) | instskip(NEXT) | instid1(VALU_DEP_1)
	v_ldexp_f64 v[3:4], v[3:4], 32
	v_add_f64 v[45:46], v[3:4], v[5:6]
	s_branch .LBB11_1339
.LBB11_1337:
	s_mov_b32 s3, -1
                                        ; implicit-def: $vgpr45_vgpr46
.LBB11_1338:
	s_mov_b32 s1, 0
.LBB11_1339:
	s_delay_alu instid0(SALU_CYCLE_1)
	s_and_b32 vcc_lo, exec_lo, s1
	s_cbranch_vccz .LBB11_1359
; %bb.1340:
	v_cmp_lt_i16_e64 s0, s51, 27
	s_delay_alu instid0(VALU_DEP_1)
	s_and_b32 vcc_lo, exec_lo, s0
	s_cbranch_vccnz .LBB11_1343
; %bb.1341:
	v_cmp_gt_i16_e64 s0, s51, 27
	s_delay_alu instid0(VALU_DEP_1)
	s_and_b32 vcc_lo, exec_lo, s0
	s_cbranch_vccz .LBB11_1344
; %bb.1342:
	global_load_b32 v2, v[0:1], off
	s_mov_b32 s0, 0
	s_waitcnt vmcnt(0)
	v_cvt_f64_u32_e32 v[45:46], v2
	s_branch .LBB11_1345
.LBB11_1343:
	s_mov_b32 s0, -1
                                        ; implicit-def: $vgpr45_vgpr46
	s_branch .LBB11_1348
.LBB11_1344:
	s_mov_b32 s0, -1
                                        ; implicit-def: $vgpr45_vgpr46
.LBB11_1345:
	s_delay_alu instid0(SALU_CYCLE_1)
	s_and_not1_b32 vcc_lo, exec_lo, s0
	s_cbranch_vccnz .LBB11_1347
; %bb.1346:
	global_load_u16 v2, v[0:1], off
	s_waitcnt vmcnt(0)
	v_cvt_f64_u32_e32 v[45:46], v2
.LBB11_1347:
	s_mov_b32 s0, 0
.LBB11_1348:
	s_delay_alu instid0(SALU_CYCLE_1)
	s_and_not1_b32 vcc_lo, exec_lo, s0
	s_cbranch_vccnz .LBB11_1358
; %bb.1349:
	global_load_u8 v2, v[0:1], off
	s_mov_b32 s6, exec_lo
                                        ; implicit-def: $sgpr0_sgpr1
	s_waitcnt vmcnt(0)
	v_cmpx_lt_i16_e32 0x7f, v2
	s_xor_b32 s6, exec_lo, s6
	s_cbranch_execz .LBB11_1353
; %bb.1350:
	s_mov_b32 s7, -1
	s_mov_b32 s5, exec_lo
                                        ; implicit-def: $sgpr0_sgpr1
	v_cmpx_eq_u16_e32 0x80, v2
; %bb.1351:
	s_mov_b32 s1, 0x7ff80000
	s_brev_b32 s0, 4
	s_xor_b32 s7, exec_lo, -1
; %bb.1352:
	s_or_b32 exec_lo, exec_lo, s5
	s_delay_alu instid0(SALU_CYCLE_1)
	s_and_b32 s5, s7, exec_lo
.LBB11_1353:
	s_or_saveexec_b32 s6, s6
	v_dual_mov_b32 v46, s1 :: v_dual_mov_b32 v45, s0
	s_xor_b32 exec_lo, exec_lo, s6
; %bb.1354:
	v_cmp_ne_u16_e32 vcc_lo, 0, v2
	v_mov_b32_e32 v45, 0
	v_mov_b32_e32 v46, 0
	s_and_not1_b32 s0, s5, exec_lo
	s_and_b32 s1, vcc_lo, exec_lo
	s_delay_alu instid0(SALU_CYCLE_1)
	s_or_b32 s5, s0, s1
; %bb.1355:
	s_or_b32 exec_lo, exec_lo, s6
	s_and_saveexec_b32 s0, s5
	s_cbranch_execz .LBB11_1357
; %bb.1356:
	v_and_b32_e32 v3, 0xffff, v2
	v_lshlrev_b32_e32 v2, 24, v2
	s_delay_alu instid0(VALU_DEP_2) | instskip(NEXT) | instid1(VALU_DEP_2)
	v_and_b32_e32 v4, 7, v3
	v_and_b32_e32 v2, 0x80000000, v2
	s_delay_alu instid0(VALU_DEP_2) | instskip(NEXT) | instid1(VALU_DEP_1)
	v_clz_i32_u32_e32 v5, v4
	v_min_u32_e32 v5, 32, v5
	s_delay_alu instid0(VALU_DEP_1) | instskip(SKIP_1) | instid1(VALU_DEP_2)
	v_subrev_nc_u32_e32 v6, 28, v5
	v_sub_nc_u32_e32 v5, 29, v5
	v_lshlrev_b32_e32 v6, v6, v3
	v_bfe_u32 v3, v3, 3, 4
	s_delay_alu instid0(VALU_DEP_2) | instskip(NEXT) | instid1(VALU_DEP_2)
	v_and_b32_e32 v6, 7, v6
	v_cmp_eq_u32_e32 vcc_lo, 0, v3
	s_delay_alu instid0(VALU_DEP_2) | instskip(NEXT) | instid1(VALU_DEP_1)
	v_dual_cndmask_b32 v3, v3, v5 :: v_dual_cndmask_b32 v4, v4, v6
	v_lshl_add_u32 v3, v3, 23, 0x3b800000
	s_delay_alu instid0(VALU_DEP_2) | instskip(NEXT) | instid1(VALU_DEP_1)
	v_lshlrev_b32_e32 v4, 20, v4
	v_or3_b32 v2, v2, v3, v4
	s_delay_alu instid0(VALU_DEP_1)
	v_cvt_f64_f32_e32 v[45:46], v2
.LBB11_1357:
	s_or_b32 exec_lo, exec_lo, s0
.LBB11_1358:
	s_mov_b32 s0, -1
.LBB11_1359:
	s_branch .LBB11_1390
.LBB11_1360:
	v_cmp_gt_i16_e64 s1, s51, 22
	s_delay_alu instid0(VALU_DEP_1)
	s_and_b32 vcc_lo, exec_lo, s1
	s_cbranch_vccz .LBB11_1372
; %bb.1361:
	v_cmp_lt_i16_e64 s0, s51, 24
	s_delay_alu instid0(VALU_DEP_1)
	s_and_b32 vcc_lo, exec_lo, s0
	s_cbranch_vccnz .LBB11_1373
; %bb.1362:
	v_cmp_gt_i16_e64 s0, s51, 24
	s_delay_alu instid0(VALU_DEP_1)
	s_and_b32 vcc_lo, exec_lo, s0
	s_cbranch_vccz .LBB11_1374
; %bb.1363:
	global_load_u8 v2, v[0:1], off
	s_mov_b32 s5, exec_lo
                                        ; implicit-def: $sgpr0_sgpr1
	s_waitcnt vmcnt(0)
	v_cmpx_lt_i16_e32 0x7f, v2
	s_xor_b32 s5, exec_lo, s5
	s_cbranch_execz .LBB11_1367
; %bb.1364:
	s_mov_b32 s6, -1
	s_mov_b32 s4, exec_lo
                                        ; implicit-def: $sgpr0_sgpr1
	v_cmpx_eq_u16_e32 0x80, v2
; %bb.1365:
	s_mov_b32 s1, 0x7ff80000
	s_brev_b32 s0, 4
	s_xor_b32 s6, exec_lo, -1
; %bb.1366:
	s_or_b32 exec_lo, exec_lo, s4
	s_delay_alu instid0(SALU_CYCLE_1)
	s_and_b32 s4, s6, exec_lo
.LBB11_1367:
	s_or_saveexec_b32 s5, s5
	v_dual_mov_b32 v46, s1 :: v_dual_mov_b32 v45, s0
	s_xor_b32 exec_lo, exec_lo, s5
; %bb.1368:
	v_cmp_ne_u16_e32 vcc_lo, 0, v2
	v_mov_b32_e32 v45, 0
	v_mov_b32_e32 v46, 0
	s_and_not1_b32 s0, s4, exec_lo
	s_and_b32 s1, vcc_lo, exec_lo
	s_delay_alu instid0(SALU_CYCLE_1)
	s_or_b32 s4, s0, s1
; %bb.1369:
	s_or_b32 exec_lo, exec_lo, s5
	s_and_saveexec_b32 s0, s4
	s_cbranch_execz .LBB11_1371
; %bb.1370:
	v_and_b32_e32 v3, 0xffff, v2
	v_lshlrev_b32_e32 v2, 24, v2
	s_delay_alu instid0(VALU_DEP_2) | instskip(NEXT) | instid1(VALU_DEP_2)
	v_and_b32_e32 v4, 3, v3
	v_and_b32_e32 v2, 0x80000000, v2
	s_delay_alu instid0(VALU_DEP_2) | instskip(NEXT) | instid1(VALU_DEP_1)
	v_clz_i32_u32_e32 v5, v4
	v_min_u32_e32 v5, 32, v5
	s_delay_alu instid0(VALU_DEP_1) | instskip(SKIP_1) | instid1(VALU_DEP_2)
	v_subrev_nc_u32_e32 v6, 29, v5
	v_sub_nc_u32_e32 v5, 30, v5
	v_lshlrev_b32_e32 v6, v6, v3
	v_bfe_u32 v3, v3, 2, 5
	s_delay_alu instid0(VALU_DEP_2) | instskip(NEXT) | instid1(VALU_DEP_2)
	v_and_b32_e32 v6, 3, v6
	v_cmp_eq_u32_e32 vcc_lo, 0, v3
	s_delay_alu instid0(VALU_DEP_2) | instskip(NEXT) | instid1(VALU_DEP_1)
	v_dual_cndmask_b32 v3, v3, v5 :: v_dual_cndmask_b32 v4, v4, v6
	v_lshl_add_u32 v3, v3, 23, 0x37800000
	s_delay_alu instid0(VALU_DEP_2) | instskip(NEXT) | instid1(VALU_DEP_1)
	v_lshlrev_b32_e32 v4, 21, v4
	v_or3_b32 v2, v2, v3, v4
	s_delay_alu instid0(VALU_DEP_1)
	v_cvt_f64_f32_e32 v[45:46], v2
.LBB11_1371:
	s_or_b32 exec_lo, exec_lo, s0
	s_mov_b32 s0, 0
	s_branch .LBB11_1375
.LBB11_1372:
	s_mov_b32 s1, -1
                                        ; implicit-def: $vgpr45_vgpr46
	s_branch .LBB11_1381
.LBB11_1373:
	s_mov_b32 s0, -1
                                        ; implicit-def: $vgpr45_vgpr46
	s_branch .LBB11_1378
.LBB11_1374:
	s_mov_b32 s0, -1
                                        ; implicit-def: $vgpr45_vgpr46
.LBB11_1375:
	s_delay_alu instid0(SALU_CYCLE_1)
	s_and_b32 vcc_lo, exec_lo, s0
	s_cbranch_vccz .LBB11_1377
; %bb.1376:
	global_load_u8 v2, v[0:1], off
	s_waitcnt vmcnt(0)
	v_lshlrev_b32_e32 v2, 24, v2
	s_delay_alu instid0(VALU_DEP_1) | instskip(NEXT) | instid1(VALU_DEP_1)
	v_and_b32_e32 v3, 0x7f000000, v2
	v_clz_i32_u32_e32 v4, v3
	v_add_nc_u32_e32 v6, 0x1000000, v3
	v_cmp_ne_u32_e32 vcc_lo, 0, v3
	s_delay_alu instid0(VALU_DEP_3) | instskip(NEXT) | instid1(VALU_DEP_1)
	v_min_u32_e32 v4, 32, v4
	v_sub_nc_u32_e64 v4, v4, 4 clamp
	s_delay_alu instid0(VALU_DEP_1) | instskip(SKIP_1) | instid1(VALU_DEP_2)
	v_lshlrev_b32_e32 v5, v4, v3
	v_lshlrev_b32_e32 v4, 23, v4
	v_lshrrev_b32_e32 v5, 4, v5
	s_delay_alu instid0(VALU_DEP_1) | instskip(SKIP_1) | instid1(VALU_DEP_2)
	v_sub_nc_u32_e32 v4, v5, v4
	v_ashrrev_i32_e32 v5, 8, v6
	v_add_nc_u32_e32 v4, 0x3c000000, v4
	s_delay_alu instid0(VALU_DEP_1) | instskip(NEXT) | instid1(VALU_DEP_1)
	v_and_or_b32 v4, 0x7f800000, v5, v4
	v_cndmask_b32_e32 v3, 0, v4, vcc_lo
	s_delay_alu instid0(VALU_DEP_1) | instskip(NEXT) | instid1(VALU_DEP_1)
	v_and_or_b32 v2, 0x80000000, v2, v3
	v_cvt_f64_f32_e32 v[45:46], v2
.LBB11_1377:
	s_mov_b32 s0, 0
.LBB11_1378:
	s_delay_alu instid0(SALU_CYCLE_1)
	s_and_not1_b32 vcc_lo, exec_lo, s0
	s_cbranch_vccnz .LBB11_1380
; %bb.1379:
	global_load_u8 v2, v[0:1], off
	s_waitcnt vmcnt(0)
	v_lshlrev_b32_e32 v3, 25, v2
	v_lshlrev_b16 v2, 8, v2
	s_delay_alu instid0(VALU_DEP_2) | instskip(NEXT) | instid1(VALU_DEP_2)
	v_lshrrev_b32_e32 v4, 4, v3
	v_and_or_b32 v5, 0x7f00, v2, 0.5
	v_bfe_i32 v2, v2, 0, 16
	s_delay_alu instid0(VALU_DEP_3) | instskip(NEXT) | instid1(VALU_DEP_1)
	v_or_b32_e32 v4, 0x70000000, v4
	v_dual_add_f32 v5, -0.5, v5 :: v_dual_mul_f32 v4, 0x7800000, v4
	v_cmp_gt_u32_e32 vcc_lo, 0x8000000, v3
	s_delay_alu instid0(VALU_DEP_2) | instskip(NEXT) | instid1(VALU_DEP_1)
	v_cndmask_b32_e32 v3, v4, v5, vcc_lo
	v_and_or_b32 v2, 0x80000000, v2, v3
	s_delay_alu instid0(VALU_DEP_1)
	v_cvt_f64_f32_e32 v[45:46], v2
.LBB11_1380:
	s_mov_b32 s1, 0
	s_mov_b32 s0, -1
.LBB11_1381:
	s_and_not1_b32 vcc_lo, exec_lo, s1
	s_mov_b32 s4, 0
	s_cbranch_vccnz .LBB11_1390
; %bb.1382:
	v_cmp_gt_i16_e64 s1, s51, 14
	s_delay_alu instid0(VALU_DEP_1)
	s_and_b32 vcc_lo, exec_lo, s1
	s_cbranch_vccz .LBB11_1385
; %bb.1383:
	v_cmp_eq_u16_e64 s1, s51, 15
	s_delay_alu instid0(VALU_DEP_1)
	s_and_b32 vcc_lo, exec_lo, s1
	s_cbranch_vccz .LBB11_1386
; %bb.1384:
	global_load_u16 v2, v[0:1], off
	s_mov_b32 s3, 0
	s_mov_b32 s0, -1
	s_waitcnt vmcnt(0)
	v_lshlrev_b32_e32 v2, 16, v2
	s_delay_alu instid0(VALU_DEP_1)
	v_cvt_f64_f32_e32 v[45:46], v2
	s_branch .LBB11_1387
.LBB11_1385:
	s_mov_b32 s1, -1
                                        ; implicit-def: $vgpr45_vgpr46
	s_branch .LBB11_1388
.LBB11_1386:
	s_mov_b32 s3, -1
                                        ; implicit-def: $vgpr45_vgpr46
.LBB11_1387:
	s_mov_b32 s1, 0
.LBB11_1388:
	s_delay_alu instid0(SALU_CYCLE_1)
	s_and_b32 vcc_lo, exec_lo, s1
	s_cbranch_vccz .LBB11_1390
; %bb.1389:
	v_cmp_ne_u16_e64 s1, s51, 11
	s_and_not1_b32 s3, s3, exec_lo
	s_mov_b32 s4, -1
                                        ; implicit-def: $vgpr45_vgpr46
	s_delay_alu instid0(VALU_DEP_1) | instskip(NEXT) | instid1(SALU_CYCLE_1)
	s_and_b32 s1, s1, exec_lo
	s_or_b32 s3, s3, s1
.LBB11_1390:
	s_mov_b32 s5, 0
.LBB11_1391:
	s_and_b32 s1, s0, exec_lo
	s_and_not1_b32 s0, s61, exec_lo
	s_and_b32 s6, s3, exec_lo
	s_and_b32 s5, s5, exec_lo
	;; [unrolled: 1-line block ×3, first 2 shown]
	s_or_b32 s61, s0, s6
.LBB11_1392:
	s_or_b32 exec_lo, exec_lo, s2
	s_and_saveexec_b32 s0, s61
	s_cbranch_execnz .LBB11_1404
; %bb.1393:
	s_or_b32 exec_lo, exec_lo, s0
	s_and_saveexec_b32 s0, s3
	s_delay_alu instid0(SALU_CYCLE_1)
	s_xor_b32 s0, exec_lo, s0
	s_cbranch_execz .LBB11_1395
.LBB11_1394:
	global_load_u8 v2, v[0:1], off
	s_waitcnt vmcnt(1)
	v_mov_b32_e32 v45, 0
	s_or_b32 s1, s1, exec_lo
	s_waitcnt vmcnt(0)
	v_cmp_ne_u16_e32 vcc_lo, 0, v2
	v_cndmask_b32_e64 v46, 0, 0x3ff00000, vcc_lo
.LBB11_1395:
	s_or_b32 exec_lo, exec_lo, s0
	s_and_saveexec_b32 s0, s5
	s_cbranch_execz .LBB11_1443
; %bb.1396:
	v_cmp_lt_i16_e64 s2, s51, 5
	s_delay_alu instid0(VALU_DEP_1)
	s_and_b32 vcc_lo, exec_lo, s2
	s_cbranch_vccnz .LBB11_1401
; %bb.1397:
	v_cmp_lt_i16_e64 s2, s51, 8
	s_delay_alu instid0(VALU_DEP_1)
	s_and_b32 vcc_lo, exec_lo, s2
	s_cbranch_vccnz .LBB11_1402
; %bb.1398:
	v_cmp_lt_i16_e64 s2, s51, 9
	s_delay_alu instid0(VALU_DEP_1)
	s_and_b32 vcc_lo, exec_lo, s2
	s_cbranch_vccnz .LBB11_1403
; %bb.1399:
	v_cmp_gt_i16_e64 s2, s51, 9
	s_delay_alu instid0(VALU_DEP_1)
	s_and_b32 vcc_lo, exec_lo, s2
	s_cbranch_vccz .LBB11_1406
; %bb.1400:
	global_load_b64 v[45:46], v[0:1], off
	s_mov_b32 s2, 0
	s_branch .LBB11_1407
.LBB11_1401:
                                        ; implicit-def: $vgpr45_vgpr46
	s_branch .LBB11_1424
.LBB11_1402:
                                        ; implicit-def: $vgpr45_vgpr46
	s_branch .LBB11_1413
.LBB11_1403:
	s_mov_b32 s2, -1
                                        ; implicit-def: $vgpr45_vgpr46
	s_branch .LBB11_1410
.LBB11_1404:
	s_cbranch_execnz .LBB11_1456
; %bb.1405:
	s_or_b32 s59, s59, exec_lo
	s_and_not1_b32 s3, s3, exec_lo
                                        ; implicit-def: $vgpr45_vgpr46
	s_or_b32 exec_lo, exec_lo, s0
	s_and_saveexec_b32 s0, s3
	s_delay_alu instid0(SALU_CYCLE_1)
	s_xor_b32 s0, exec_lo, s0
	s_cbranch_execnz .LBB11_1394
	s_branch .LBB11_1395
.LBB11_1406:
	s_mov_b32 s2, -1
                                        ; implicit-def: $vgpr45_vgpr46
.LBB11_1407:
	s_delay_alu instid0(SALU_CYCLE_1)
	s_and_not1_b32 vcc_lo, exec_lo, s2
	s_cbranch_vccnz .LBB11_1409
; %bb.1408:
	global_load_b32 v2, v[0:1], off
	s_waitcnt vmcnt(0)
	v_cvt_f64_f32_e32 v[45:46], v2
.LBB11_1409:
	s_mov_b32 s2, 0
.LBB11_1410:
	s_delay_alu instid0(SALU_CYCLE_1)
	s_and_not1_b32 vcc_lo, exec_lo, s2
	s_cbranch_vccnz .LBB11_1412
; %bb.1411:
	global_load_b32 v2, v[0:1], off
	s_waitcnt vmcnt(0)
	v_cvt_f32_f16_e32 v2, v2
	s_delay_alu instid0(VALU_DEP_1)
	v_cvt_f64_f32_e32 v[45:46], v2
.LBB11_1412:
	s_cbranch_execnz .LBB11_1423
.LBB11_1413:
	v_cmp_lt_i16_e64 s2, s51, 6
	s_delay_alu instid0(VALU_DEP_1)
	s_and_b32 vcc_lo, exec_lo, s2
	s_cbranch_vccnz .LBB11_1416
; %bb.1414:
	v_cmp_gt_i16_e64 s2, s51, 6
	s_delay_alu instid0(VALU_DEP_1)
	s_and_b32 vcc_lo, exec_lo, s2
	s_cbranch_vccz .LBB11_1417
; %bb.1415:
	global_load_b64 v[45:46], v[0:1], off
	s_mov_b32 s2, 0
	s_branch .LBB11_1418
.LBB11_1416:
	s_mov_b32 s2, -1
                                        ; implicit-def: $vgpr45_vgpr46
	s_branch .LBB11_1421
.LBB11_1417:
	s_mov_b32 s2, -1
                                        ; implicit-def: $vgpr45_vgpr46
.LBB11_1418:
	s_delay_alu instid0(SALU_CYCLE_1)
	s_and_not1_b32 vcc_lo, exec_lo, s2
	s_cbranch_vccnz .LBB11_1420
; %bb.1419:
	global_load_b32 v2, v[0:1], off
	s_waitcnt vmcnt(0)
	v_cvt_f64_f32_e32 v[45:46], v2
.LBB11_1420:
	s_mov_b32 s2, 0
.LBB11_1421:
	s_delay_alu instid0(SALU_CYCLE_1)
	s_and_not1_b32 vcc_lo, exec_lo, s2
	s_cbranch_vccnz .LBB11_1423
; %bb.1422:
	global_load_u16 v2, v[0:1], off
	s_waitcnt vmcnt(0)
	v_cvt_f32_f16_e32 v2, v2
	s_delay_alu instid0(VALU_DEP_1)
	v_cvt_f64_f32_e32 v[45:46], v2
.LBB11_1423:
	s_cbranch_execnz .LBB11_1442
.LBB11_1424:
	v_cmp_lt_i16_e64 s2, s51, 2
	s_delay_alu instid0(VALU_DEP_1)
	s_and_b32 vcc_lo, exec_lo, s2
	s_cbranch_vccnz .LBB11_1428
; %bb.1425:
	v_cmp_lt_i16_e64 s2, s51, 3
	s_delay_alu instid0(VALU_DEP_1)
	s_and_b32 vcc_lo, exec_lo, s2
	s_cbranch_vccnz .LBB11_1429
; %bb.1426:
	v_cmp_gt_i16_e64 s2, s51, 3
	s_delay_alu instid0(VALU_DEP_1)
	s_and_b32 vcc_lo, exec_lo, s2
	s_cbranch_vccz .LBB11_1430
; %bb.1427:
	global_load_b64 v[2:3], v[0:1], off
	s_mov_b32 s2, 0
	s_waitcnt vmcnt(0)
	v_cvt_f64_i32_e32 v[3:4], v3
	v_cvt_f64_u32_e32 v[5:6], v2
	s_delay_alu instid0(VALU_DEP_2) | instskip(NEXT) | instid1(VALU_DEP_1)
	v_ldexp_f64 v[3:4], v[3:4], 32
	v_add_f64 v[45:46], v[3:4], v[5:6]
	s_branch .LBB11_1431
.LBB11_1428:
                                        ; implicit-def: $vgpr45_vgpr46
	s_branch .LBB11_1437
.LBB11_1429:
	s_mov_b32 s2, -1
                                        ; implicit-def: $vgpr45_vgpr46
	s_branch .LBB11_1434
.LBB11_1430:
	s_mov_b32 s2, -1
                                        ; implicit-def: $vgpr45_vgpr46
.LBB11_1431:
	s_delay_alu instid0(SALU_CYCLE_1)
	s_and_not1_b32 vcc_lo, exec_lo, s2
	s_cbranch_vccnz .LBB11_1433
; %bb.1432:
	global_load_b32 v2, v[0:1], off
	s_waitcnt vmcnt(0)
	v_cvt_f64_i32_e32 v[45:46], v2
.LBB11_1433:
	s_mov_b32 s2, 0
.LBB11_1434:
	s_delay_alu instid0(SALU_CYCLE_1)
	s_and_not1_b32 vcc_lo, exec_lo, s2
	s_cbranch_vccnz .LBB11_1436
; %bb.1435:
	global_load_i16 v2, v[0:1], off
	s_waitcnt vmcnt(0)
	v_cvt_f64_i32_e32 v[45:46], v2
.LBB11_1436:
	s_cbranch_execnz .LBB11_1442
.LBB11_1437:
	v_cmp_gt_i16_e64 s2, s51, 0
	s_delay_alu instid0(VALU_DEP_1)
	s_and_b32 vcc_lo, exec_lo, s2
	s_mov_b32 s2, 0
	s_cbranch_vccz .LBB11_1439
; %bb.1438:
	global_load_i8 v2, v[0:1], off
	s_waitcnt vmcnt(0)
	v_cvt_f64_i32_e32 v[45:46], v2
	s_branch .LBB11_1440
.LBB11_1439:
	s_mov_b32 s2, -1
                                        ; implicit-def: $vgpr45_vgpr46
.LBB11_1440:
	s_delay_alu instid0(SALU_CYCLE_1)
	s_and_not1_b32 vcc_lo, exec_lo, s2
	s_cbranch_vccnz .LBB11_1442
; %bb.1441:
	global_load_u8 v0, v[0:1], off
	s_waitcnt vmcnt(0)
	v_cvt_f64_u32_e32 v[45:46], v0
.LBB11_1442:
	s_or_b32 s1, s1, exec_lo
.LBB11_1443:
	s_or_b32 exec_lo, exec_lo, s0
	s_mov_b32 s0, 0
	s_mov_b32 s2, 0
                                        ; implicit-def: $vgpr6
                                        ; implicit-def: $vgpr4_vgpr5
                                        ; implicit-def: $vgpr0_vgpr1
	s_and_saveexec_b32 s61, s1
	s_cbranch_execz .LBB11_1527
; %bb.1444:
	s_and_not1_b32 vcc_lo, exec_lo, s58
	s_cbranch_vccnz .LBB11_1446
; %bb.1445:
	s_waitcnt vmcnt(0)
	s_delay_alu instid0(VALU_DEP_1) | instskip(NEXT) | instid1(VALU_DEP_2)
	v_dual_mov_b32 v0, v43 :: v_dual_mov_b32 v1, v44
	v_dual_mov_b32 v2, v45 :: v_dual_mov_b32 v3, v46
	s_getpc_b64 s[0:1]
	s_add_u32 s0, s0, _ZN12_GLOBAL__N_111calc_igammaIdEET_S1_S1_@rel32@lo+4
	s_addc_u32 s1, s1, _ZN12_GLOBAL__N_111calc_igammaIdEET_S1_S1_@rel32@hi+12
	s_delay_alu instid0(SALU_CYCLE_1)
	s_swappc_b64 s[30:31], s[0:1]
	s_cbranch_execz .LBB11_1447
	s_branch .LBB11_1448
.LBB11_1446:
                                        ; implicit-def: $vgpr0_vgpr1
.LBB11_1447:
	s_waitcnt vmcnt(0)
	s_delay_alu instid0(VALU_DEP_1) | instskip(NEXT) | instid1(VALU_DEP_2)
	v_dual_mov_b32 v0, v43 :: v_dual_mov_b32 v1, v44
	v_dual_mov_b32 v2, v45 :: v_dual_mov_b32 v3, v46
	s_getpc_b64 s[0:1]
	s_add_u32 s0, s0, _ZN12_GLOBAL__N_112calc_igammacIdEET_S1_S1_@rel32@lo+4
	s_addc_u32 s1, s1, _ZN12_GLOBAL__N_112calc_igammacIdEET_S1_S1_@rel32@hi+12
	s_delay_alu instid0(SALU_CYCLE_1)
	s_swappc_b64 s[30:31], s[0:1]
.LBB11_1448:
	v_mul_lo_u32 v2, v47, s48
	v_and_b32_e64 v6, 0xff, s43
	s_delay_alu instid0(VALU_DEP_1) | instskip(NEXT) | instid1(VALU_DEP_3)
	v_cmp_gt_i16_e32 vcc_lo, 11, v6
	v_ashrrev_i32_e32 v3, 31, v2
	v_add_co_u32 v4, s0, s44, v2
	s_delay_alu instid0(VALU_DEP_1)
	v_add_co_ci_u32_e64 v5, s0, s45, v3, s0
	s_cbranch_vccnz .LBB11_1455
; %bb.1449:
	v_cmp_lt_i16_e32 vcc_lo, 25, v6
	s_mov_b32 s1, -1
	s_mov_b32 s0, s60
	s_cbranch_vccz .LBB11_1485
; %bb.1450:
	v_cmp_lt_i16_e32 vcc_lo, 28, v6
	s_mov_b32 s0, s60
	s_cbranch_vccz .LBB11_1469
; %bb.1451:
	v_cmp_lt_i16_e32 vcc_lo, 43, v6
	;; [unrolled: 4-line block ×3, first 2 shown]
	s_mov_b32 s0, s60
	s_cbranch_vccz .LBB11_1459
; %bb.1453:
	v_cmp_eq_u16_e32 vcc_lo, 46, v6
	s_mov_b32 s0, -1
	s_cbranch_vccz .LBB11_1458
; %bb.1454:
	v_cvt_f32_f64_e32 v2, v[0:1]
	s_mov_b32 s0, 0
	s_mov_b32 s1, 0
	s_delay_alu instid0(VALU_DEP_1) | instskip(SKIP_1) | instid1(VALU_DEP_2)
	v_bfe_u32 v3, v2, 16, 1
	v_cmp_o_f32_e32 vcc_lo, v2, v2
	v_add3_u32 v3, v2, v3, 0x7fff
	s_delay_alu instid0(VALU_DEP_1) | instskip(NEXT) | instid1(VALU_DEP_1)
	v_lshrrev_b32_e32 v3, 16, v3
	v_cndmask_b32_e32 v2, 0x7fc0, v3, vcc_lo
	global_store_b32 v[4:5], v2, off
	s_branch .LBB11_1459
.LBB11_1455:
	s_mov_b32 s3, 0
	s_mov_b32 s1, -1
	s_mov_b32 s0, s60
	s_branch .LBB11_1526
.LBB11_1456:
	s_trap 2
	s_sendmsg_rtn_b32 s0, sendmsg(MSG_RTN_GET_DOORBELL)
	s_mov_b32 ttmp2, m0
	s_waitcnt lgkmcnt(0)
	s_and_b32 s0, s0, 0x3ff
	s_delay_alu instid0(SALU_CYCLE_1) | instskip(NEXT) | instid1(SALU_CYCLE_1)
	s_bitset1_b32 s0, 10
	s_mov_b32 m0, s0
	s_sendmsg sendmsg(MSG_INTERRUPT)
	s_mov_b32 m0, ttmp2
.LBB11_1457:                            ; =>This Inner Loop Header: Depth=1
	s_sethalt 5
	s_branch .LBB11_1457
.LBB11_1458:
	s_mov_b32 s1, 0
.LBB11_1459:
	s_delay_alu instid0(SALU_CYCLE_1)
	s_and_b32 vcc_lo, exec_lo, s1
	s_cbranch_vccz .LBB11_1464
; %bb.1460:
	v_cmp_eq_u16_e32 vcc_lo, 44, v6
	s_mov_b32 s0, -1
	s_cbranch_vccz .LBB11_1464
; %bb.1461:
	v_cvt_f32_f64_e32 v2, v[0:1]
	v_mov_b32_e32 v3, 0xff
	s_mov_b32 s1, exec_lo
	s_delay_alu instid0(VALU_DEP_2) | instskip(NEXT) | instid1(VALU_DEP_1)
	v_bfe_u32 v7, v2, 23, 8
	v_cmpx_ne_u32_e32 0xff, v7
; %bb.1462:
	v_and_b32_e32 v3, 0x400000, v2
	v_and_or_b32 v7, 0x3fffff, v2, v7
	v_lshrrev_b32_e32 v2, 23, v2
	s_delay_alu instid0(VALU_DEP_3) | instskip(NEXT) | instid1(VALU_DEP_3)
	v_cmp_ne_u32_e32 vcc_lo, 0, v3
	v_cmp_ne_u32_e64 s0, 0, v7
	s_delay_alu instid0(VALU_DEP_1) | instskip(NEXT) | instid1(SALU_CYCLE_1)
	s_and_b32 s0, vcc_lo, s0
	v_cndmask_b32_e64 v3, 0, 1, s0
	s_delay_alu instid0(VALU_DEP_1)
	v_add_nc_u32_e32 v3, v2, v3
; %bb.1463:
	s_or_b32 exec_lo, exec_lo, s1
	s_mov_b32 s0, 0
	global_store_b8 v[4:5], v3, off
.LBB11_1464:
	s_mov_b32 s1, 0
.LBB11_1465:
	s_delay_alu instid0(SALU_CYCLE_1)
	s_and_b32 vcc_lo, exec_lo, s1
	s_cbranch_vccz .LBB11_1468
; %bb.1466:
	v_cmp_eq_u16_e32 vcc_lo, 29, v6
	s_mov_b32 s0, -1
	s_cbranch_vccz .LBB11_1468
; %bb.1467:
	v_trunc_f64_e32 v[2:3], v[0:1]
	s_mov_b32 s0, 0
	s_mov_b32 s1, 0
	s_delay_alu instid0(VALU_DEP_1) | instskip(NEXT) | instid1(VALU_DEP_1)
	v_ldexp_f64 v[7:8], v[2:3], 0xffffffe0
	v_floor_f64_e32 v[7:8], v[7:8]
	s_delay_alu instid0(VALU_DEP_1) | instskip(SKIP_1) | instid1(VALU_DEP_2)
	v_fma_f64 v[2:3], 0xc1f00000, v[7:8], v[2:3]
	v_cvt_u32_f64_e32 v8, v[7:8]
	v_cvt_u32_f64_e32 v7, v[2:3]
	global_store_b64 v[4:5], v[7:8], off
	s_branch .LBB11_1469
.LBB11_1468:
	s_mov_b32 s1, 0
.LBB11_1469:
	s_delay_alu instid0(SALU_CYCLE_1)
	s_and_b32 vcc_lo, exec_lo, s1
	s_cbranch_vccz .LBB11_1484
; %bb.1470:
	v_cmp_gt_i16_e32 vcc_lo, 27, v6
	s_mov_b32 s1, -1
	s_cbranch_vccnz .LBB11_1476
; %bb.1471:
	v_cvt_u32_f64_e32 v2, v[0:1]
	v_cmp_lt_i16_e32 vcc_lo, 27, v6
	s_cbranch_vccz .LBB11_1473
; %bb.1472:
	s_mov_b32 s1, 0
	global_store_b32 v[4:5], v2, off
.LBB11_1473:
	s_and_not1_b32 vcc_lo, exec_lo, s1
	s_cbranch_vccnz .LBB11_1475
; %bb.1474:
	global_store_b16 v[4:5], v2, off
.LBB11_1475:
	s_mov_b32 s1, 0
.LBB11_1476:
	s_delay_alu instid0(SALU_CYCLE_1)
	s_and_not1_b32 vcc_lo, exec_lo, s1
	s_cbranch_vccnz .LBB11_1484
; %bb.1477:
	v_cvt_f32_f64_e32 v2, v[0:1]
	v_mov_b32_e32 v7, 0x80
	s_mov_b32 s1, exec_lo
	s_delay_alu instid0(VALU_DEP_2) | instskip(NEXT) | instid1(VALU_DEP_1)
	v_and_b32_e32 v3, 0x7fffffff, v2
	v_cmpx_gt_u32_e32 0x43800000, v3
	s_cbranch_execz .LBB11_1483
; %bb.1478:
	v_cmp_lt_u32_e32 vcc_lo, 0x3bffffff, v3
	s_mov_b32 s2, 0
                                        ; implicit-def: $vgpr3
	s_and_saveexec_b32 s3, vcc_lo
	s_delay_alu instid0(SALU_CYCLE_1)
	s_xor_b32 s3, exec_lo, s3
	s_cbranch_execz .LBB11_1719
; %bb.1479:
	v_bfe_u32 v3, v2, 20, 1
	s_mov_b32 s2, exec_lo
	s_delay_alu instid0(VALU_DEP_1) | instskip(NEXT) | instid1(VALU_DEP_1)
	v_add3_u32 v3, v2, v3, 0x487ffff
	v_lshrrev_b32_e32 v3, 20, v3
	s_or_saveexec_b32 s3, s3
                                        ; implicit-def: $sgpr4
	s_delay_alu instid0(SALU_CYCLE_1)
	s_xor_b32 exec_lo, exec_lo, s3
	s_cbranch_execnz .LBB11_1720
.LBB11_1480:
	s_or_b32 exec_lo, exec_lo, s3
	v_mov_b32_e32 v7, s4
	s_and_saveexec_b32 s3, s2
.LBB11_1481:
	v_lshrrev_b32_e32 v2, 24, v2
	s_delay_alu instid0(VALU_DEP_1)
	v_and_or_b32 v7, 0x80, v2, v3
.LBB11_1482:
	s_or_b32 exec_lo, exec_lo, s3
.LBB11_1483:
	s_delay_alu instid0(SALU_CYCLE_1)
	s_or_b32 exec_lo, exec_lo, s1
	global_store_b8 v[4:5], v7, off
.LBB11_1484:
	s_mov_b32 s1, 0
.LBB11_1485:
	s_delay_alu instid0(SALU_CYCLE_1)
	s_and_b32 vcc_lo, exec_lo, s1
	s_mov_b32 s1, 0
	s_cbranch_vccz .LBB11_1525
; %bb.1486:
	v_cmp_lt_i16_e32 vcc_lo, 22, v6
	s_mov_b32 s2, -1
	s_cbranch_vccz .LBB11_1518
; %bb.1487:
	v_cmp_gt_i16_e32 vcc_lo, 24, v6
	s_cbranch_vccnz .LBB11_1507
; %bb.1488:
	v_cmp_lt_i16_e32 vcc_lo, 24, v6
	s_cbranch_vccz .LBB11_1496
; %bb.1489:
	v_cvt_f32_f64_e32 v2, v[0:1]
	v_mov_b32_e32 v7, 0x80
	s_mov_b32 s2, exec_lo
	s_delay_alu instid0(VALU_DEP_2) | instskip(NEXT) | instid1(VALU_DEP_1)
	v_and_b32_e32 v3, 0x7fffffff, v2
	v_cmpx_gt_u32_e32 0x47800000, v3
	s_cbranch_execz .LBB11_1495
; %bb.1490:
	v_cmp_lt_u32_e32 vcc_lo, 0x37ffffff, v3
	s_mov_b32 s3, 0
                                        ; implicit-def: $vgpr3
	s_and_saveexec_b32 s4, vcc_lo
	s_delay_alu instid0(SALU_CYCLE_1)
	s_xor_b32 s4, exec_lo, s4
	s_cbranch_execz .LBB11_1855
; %bb.1491:
	v_bfe_u32 v3, v2, 21, 1
	s_mov_b32 s3, exec_lo
	s_delay_alu instid0(VALU_DEP_1) | instskip(NEXT) | instid1(VALU_DEP_1)
	v_add3_u32 v3, v2, v3, 0x88fffff
	v_lshrrev_b32_e32 v3, 21, v3
	s_or_saveexec_b32 s4, s4
                                        ; implicit-def: $sgpr5
	s_delay_alu instid0(SALU_CYCLE_1)
	s_xor_b32 exec_lo, exec_lo, s4
	s_cbranch_execnz .LBB11_1856
.LBB11_1492:
	s_or_b32 exec_lo, exec_lo, s4
	v_mov_b32_e32 v7, s5
	s_and_saveexec_b32 s4, s3
.LBB11_1493:
	v_lshrrev_b32_e32 v2, 24, v2
	s_delay_alu instid0(VALU_DEP_1)
	v_and_or_b32 v7, 0x80, v2, v3
.LBB11_1494:
	s_or_b32 exec_lo, exec_lo, s4
.LBB11_1495:
	s_delay_alu instid0(SALU_CYCLE_1)
	s_or_b32 exec_lo, exec_lo, s2
	s_mov_b32 s2, 0
	global_store_b8 v[4:5], v7, off
.LBB11_1496:
	s_and_b32 vcc_lo, exec_lo, s2
	s_cbranch_vccz .LBB11_1506
; %bb.1497:
	v_cvt_f32_f64_e32 v2, v[0:1]
	s_mov_b32 s2, exec_lo
                                        ; implicit-def: $vgpr3
	s_delay_alu instid0(VALU_DEP_1) | instskip(NEXT) | instid1(VALU_DEP_1)
	v_and_b32_e32 v7, 0x7fffffff, v2
	v_cmpx_gt_u32_e32 0x43f00000, v7
	s_xor_b32 s2, exec_lo, s2
	s_cbranch_execz .LBB11_1503
; %bb.1498:
	s_mov_b32 s3, exec_lo
                                        ; implicit-def: $vgpr3
	v_cmpx_lt_u32_e32 0x3c7fffff, v7
	s_xor_b32 s3, exec_lo, s3
; %bb.1499:
	v_bfe_u32 v3, v2, 20, 1
	s_delay_alu instid0(VALU_DEP_1) | instskip(NEXT) | instid1(VALU_DEP_1)
	v_add3_u32 v3, v2, v3, 0x407ffff
	v_and_b32_e32 v7, 0xff00000, v3
	v_lshrrev_b32_e32 v3, 20, v3
	s_delay_alu instid0(VALU_DEP_2) | instskip(NEXT) | instid1(VALU_DEP_2)
	v_cmp_ne_u32_e32 vcc_lo, 0x7f00000, v7
	v_cndmask_b32_e32 v3, 0x7e, v3, vcc_lo
; %bb.1500:
	s_and_not1_saveexec_b32 s3, s3
; %bb.1501:
	v_add_f32_e64 v3, 0x46800000, |v2|
; %bb.1502:
	s_or_b32 exec_lo, exec_lo, s3
                                        ; implicit-def: $vgpr7
.LBB11_1503:
	s_and_not1_saveexec_b32 s2, s2
; %bb.1504:
	v_mov_b32_e32 v3, 0x7f
	v_cmp_lt_u32_e32 vcc_lo, 0x7f800000, v7
	s_delay_alu instid0(VALU_DEP_2)
	v_cndmask_b32_e32 v3, 0x7e, v3, vcc_lo
; %bb.1505:
	s_or_b32 exec_lo, exec_lo, s2
	v_lshrrev_b32_e32 v2, 24, v2
	s_delay_alu instid0(VALU_DEP_1)
	v_and_or_b32 v2, 0x80, v2, v3
	global_store_b8 v[4:5], v2, off
.LBB11_1506:
	s_mov_b32 s2, 0
.LBB11_1507:
	s_delay_alu instid0(SALU_CYCLE_1)
	s_and_not1_b32 vcc_lo, exec_lo, s2
	s_cbranch_vccnz .LBB11_1517
; %bb.1508:
	v_cvt_f32_f64_e32 v2, v[0:1]
	s_mov_b32 s2, exec_lo
                                        ; implicit-def: $vgpr3
	s_delay_alu instid0(VALU_DEP_1) | instskip(NEXT) | instid1(VALU_DEP_1)
	v_and_b32_e32 v7, 0x7fffffff, v2
	v_cmpx_gt_u32_e32 0x47800000, v7
	s_xor_b32 s2, exec_lo, s2
	s_cbranch_execz .LBB11_1514
; %bb.1509:
	s_mov_b32 s3, exec_lo
                                        ; implicit-def: $vgpr3
	v_cmpx_lt_u32_e32 0x387fffff, v7
	s_xor_b32 s3, exec_lo, s3
; %bb.1510:
	v_bfe_u32 v3, v2, 21, 1
	s_delay_alu instid0(VALU_DEP_1) | instskip(NEXT) | instid1(VALU_DEP_1)
	v_add3_u32 v3, v2, v3, 0x80fffff
	v_lshrrev_b32_e32 v3, 21, v3
; %bb.1511:
	s_and_not1_saveexec_b32 s3, s3
; %bb.1512:
	v_add_f32_e64 v3, 0x43000000, |v2|
; %bb.1513:
	s_or_b32 exec_lo, exec_lo, s3
                                        ; implicit-def: $vgpr7
.LBB11_1514:
	s_and_not1_saveexec_b32 s2, s2
; %bb.1515:
	v_mov_b32_e32 v3, 0x7f
	v_cmp_lt_u32_e32 vcc_lo, 0x7f800000, v7
	s_delay_alu instid0(VALU_DEP_2)
	v_cndmask_b32_e32 v3, 0x7c, v3, vcc_lo
; %bb.1516:
	s_or_b32 exec_lo, exec_lo, s2
	v_lshrrev_b32_e32 v2, 24, v2
	s_delay_alu instid0(VALU_DEP_1)
	v_and_or_b32 v2, 0x80, v2, v3
	global_store_b8 v[4:5], v2, off
.LBB11_1517:
	s_mov_b32 s2, 0
.LBB11_1518:
	s_delay_alu instid0(SALU_CYCLE_1)
	s_and_not1_b32 vcc_lo, exec_lo, s2
	s_mov_b32 s3, 0
	s_cbranch_vccnz .LBB11_1526
; %bb.1519:
	v_cmp_lt_i16_e32 vcc_lo, 14, v6
	s_mov_b32 s2, -1
	s_cbranch_vccz .LBB11_1523
; %bb.1520:
	v_cmp_eq_u16_e32 vcc_lo, 15, v6
	s_mov_b32 s0, -1
	s_cbranch_vccz .LBB11_1522
; %bb.1521:
	v_cvt_f32_f64_e32 v2, v[0:1]
	s_mov_b32 s0, 0
	s_delay_alu instid0(VALU_DEP_1) | instskip(SKIP_1) | instid1(VALU_DEP_2)
	v_bfe_u32 v3, v2, 16, 1
	v_cmp_o_f32_e32 vcc_lo, v2, v2
	v_add3_u32 v3, v2, v3, 0x7fff
	s_delay_alu instid0(VALU_DEP_1) | instskip(NEXT) | instid1(VALU_DEP_1)
	v_lshrrev_b32_e32 v3, 16, v3
	v_cndmask_b32_e32 v2, 0x7fc0, v3, vcc_lo
	global_store_b16 v[4:5], v2, off
.LBB11_1522:
	s_mov_b32 s2, 0
.LBB11_1523:
	s_delay_alu instid0(SALU_CYCLE_1)
	s_and_b32 vcc_lo, exec_lo, s2
	s_cbranch_vccz .LBB11_1526
; %bb.1524:
	v_cmp_ne_u16_e32 vcc_lo, 11, v6
	s_and_not1_b32 s0, s0, exec_lo
	s_mov_b32 s3, -1
	s_and_b32 s2, vcc_lo, exec_lo
	s_delay_alu instid0(SALU_CYCLE_1)
	s_or_b32 s0, s0, s2
	s_branch .LBB11_1526
.LBB11_1525:
	s_mov_b32 s3, 0
.LBB11_1526:
	s_and_b32 s2, s1, exec_lo
	s_and_not1_b32 s1, s60, exec_lo
	s_and_b32 s4, s0, exec_lo
	s_and_b32 s0, s3, exec_lo
	s_or_b32 s60, s1, s4
.LBB11_1527:
	s_or_b32 exec_lo, exec_lo, s61
	s_and_saveexec_b32 s1, s60
	s_cbranch_execnz .LBB11_1589
; %bb.1528:
	s_or_b32 exec_lo, exec_lo, s1
	s_and_saveexec_b32 s1, s0
	s_delay_alu instid0(SALU_CYCLE_1)
	s_xor_b32 s0, exec_lo, s1
	s_cbranch_execz .LBB11_1530
.LBB11_1529:
	v_cmp_neq_f64_e32 vcc_lo, 0, v[0:1]
	v_cndmask_b32_e64 v2, 0, 1, vcc_lo
	global_store_b8 v[4:5], v2, off
.LBB11_1530:
	s_or_b32 exec_lo, exec_lo, s0
	s_and_saveexec_b32 s0, s2
	s_delay_alu instid0(SALU_CYCLE_1)
	s_xor_b32 s0, exec_lo, s0
	s_cbranch_execz .LBB11_1568
; %bb.1531:
	v_cmp_gt_i16_e32 vcc_lo, 5, v6
	s_mov_b32 s1, -1
	s_cbranch_vccnz .LBB11_1552
; %bb.1532:
	v_cmp_gt_i16_e32 vcc_lo, 8, v6
	s_cbranch_vccnz .LBB11_1542
; %bb.1533:
	v_cmp_gt_i16_e32 vcc_lo, 9, v6
	s_cbranch_vccnz .LBB11_1539
; %bb.1534:
	v_cmp_lt_i16_e32 vcc_lo, 9, v6
	s_cbranch_vccz .LBB11_1536
; %bb.1535:
	v_mov_b32_e32 v2, 0
	s_mov_b32 s1, 0
	s_delay_alu instid0(VALU_DEP_1)
	v_mov_b32_e32 v3, v2
	global_store_b128 v[4:5], v[0:3], off
.LBB11_1536:
	s_and_not1_b32 vcc_lo, exec_lo, s1
	s_cbranch_vccnz .LBB11_1538
; %bb.1537:
	v_cvt_f32_f64_e32 v2, v[0:1]
	v_mov_b32_e32 v3, 0
	global_store_b64 v[4:5], v[2:3], off
.LBB11_1538:
	s_mov_b32 s1, 0
.LBB11_1539:
	s_delay_alu instid0(SALU_CYCLE_1)
	s_and_not1_b32 vcc_lo, exec_lo, s1
	s_cbranch_vccnz .LBB11_1541
; %bb.1540:
	v_cvt_f32_f64_e32 v2, v[0:1]
	s_delay_alu instid0(VALU_DEP_1) | instskip(NEXT) | instid1(VALU_DEP_1)
	v_cvt_f16_f32_e32 v2, v2
	v_and_b32_e32 v2, 0xffff, v2
	global_store_b32 v[4:5], v2, off
.LBB11_1541:
	s_mov_b32 s1, 0
.LBB11_1542:
	s_delay_alu instid0(SALU_CYCLE_1)
	s_and_not1_b32 vcc_lo, exec_lo, s1
	s_cbranch_vccnz .LBB11_1551
; %bb.1543:
	v_cmp_gt_i16_e32 vcc_lo, 6, v6
	s_mov_b32 s1, -1
	s_cbranch_vccnz .LBB11_1549
; %bb.1544:
	v_cmp_lt_i16_e32 vcc_lo, 6, v6
	s_cbranch_vccz .LBB11_1546
; %bb.1545:
	s_mov_b32 s1, 0
	global_store_b64 v[4:5], v[0:1], off
.LBB11_1546:
	s_and_not1_b32 vcc_lo, exec_lo, s1
	s_cbranch_vccnz .LBB11_1548
; %bb.1547:
	v_cvt_f32_f64_e32 v2, v[0:1]
	global_store_b32 v[4:5], v2, off
.LBB11_1548:
	s_mov_b32 s1, 0
.LBB11_1549:
	s_delay_alu instid0(SALU_CYCLE_1)
	s_and_not1_b32 vcc_lo, exec_lo, s1
	s_cbranch_vccnz .LBB11_1551
; %bb.1550:
	v_cvt_f32_f64_e32 v2, v[0:1]
	s_delay_alu instid0(VALU_DEP_1)
	v_cvt_f16_f32_e32 v2, v2
	global_store_b16 v[4:5], v2, off
.LBB11_1551:
	s_mov_b32 s1, 0
.LBB11_1552:
	s_delay_alu instid0(SALU_CYCLE_1)
	s_and_not1_b32 vcc_lo, exec_lo, s1
	s_cbranch_vccnz .LBB11_1568
; %bb.1553:
	v_cmp_gt_i16_e32 vcc_lo, 2, v6
	s_mov_b32 s1, -1
	s_cbranch_vccnz .LBB11_1563
; %bb.1554:
	v_cmp_gt_i16_e32 vcc_lo, 3, v6
	s_cbranch_vccnz .LBB11_1560
; %bb.1555:
	v_cmp_lt_i16_e32 vcc_lo, 3, v6
	s_cbranch_vccz .LBB11_1557
; %bb.1556:
	v_trunc_f64_e32 v[2:3], v[0:1]
	s_mov_b32 s1, 0
	s_delay_alu instid0(VALU_DEP_1) | instskip(NEXT) | instid1(VALU_DEP_1)
	v_ldexp_f64 v[7:8], v[2:3], 0xffffffe0
	v_floor_f64_e32 v[7:8], v[7:8]
	s_delay_alu instid0(VALU_DEP_1) | instskip(SKIP_1) | instid1(VALU_DEP_2)
	v_fma_f64 v[2:3], 0xc1f00000, v[7:8], v[2:3]
	v_cvt_i32_f64_e32 v8, v[7:8]
	v_cvt_u32_f64_e32 v7, v[2:3]
	global_store_b64 v[4:5], v[7:8], off
.LBB11_1557:
	s_and_not1_b32 vcc_lo, exec_lo, s1
	s_cbranch_vccnz .LBB11_1559
; %bb.1558:
	v_cvt_i32_f64_e32 v2, v[0:1]
	global_store_b32 v[4:5], v2, off
.LBB11_1559:
	s_mov_b32 s1, 0
.LBB11_1560:
	s_delay_alu instid0(SALU_CYCLE_1)
	s_and_not1_b32 vcc_lo, exec_lo, s1
	s_cbranch_vccnz .LBB11_1562
; %bb.1561:
	v_cvt_i32_f64_e32 v2, v[0:1]
	global_store_b16 v[4:5], v2, off
.LBB11_1562:
	s_mov_b32 s1, 0
.LBB11_1563:
	s_delay_alu instid0(SALU_CYCLE_1)
	s_and_not1_b32 vcc_lo, exec_lo, s1
	s_cbranch_vccnz .LBB11_1568
; %bb.1564:
	v_cmp_lt_i16_e32 vcc_lo, 0, v6
	s_mov_b32 s1, -1
	s_cbranch_vccz .LBB11_1566
; %bb.1565:
	v_cvt_i32_f64_e32 v2, v[0:1]
	s_mov_b32 s1, 0
	global_store_b8 v[4:5], v2, off
.LBB11_1566:
	s_and_not1_b32 vcc_lo, exec_lo, s1
	s_cbranch_vccnz .LBB11_1568
; %bb.1567:
	v_trunc_f64_e32 v[0:1], v[0:1]
	s_delay_alu instid0(VALU_DEP_1) | instskip(NEXT) | instid1(VALU_DEP_1)
	v_ldexp_f64 v[2:3], v[0:1], 0xffffffe0
	v_floor_f64_e32 v[2:3], v[2:3]
	s_delay_alu instid0(VALU_DEP_1) | instskip(NEXT) | instid1(VALU_DEP_1)
	v_fma_f64 v[0:1], 0xc1f00000, v[2:3], v[0:1]
	v_cvt_u32_f64_e32 v0, v[0:1]
	global_store_b8 v[4:5], v0, off
.LBB11_1568:
	s_or_b32 exec_lo, exec_lo, s0
	s_delay_alu instid0(SALU_CYCLE_1)
	s_and_b32 s58, s59, exec_lo
                                        ; implicit-def: $vgpr47
.LBB11_1569:
	s_or_saveexec_b32 s57, s57
	s_mov_b32 s0, 0
                                        ; implicit-def: $vgpr6
                                        ; implicit-def: $vgpr4_vgpr5
                                        ; implicit-def: $vgpr0_vgpr1
	s_xor_b32 exec_lo, exec_lo, s57
	s_cbranch_execz .LBB11_2655
; %bb.1570:
	v_mul_lo_u32 v58, s49, v47
	v_and_b32_e64 v62, 0xff, s56
	s_delay_alu instid0(VALU_DEP_1) | instskip(NEXT) | instid1(VALU_DEP_3)
	v_cmp_gt_i16_e32 vcc_lo, 11, v62
	v_ashrrev_i32_e32 v1, 31, v58
	v_add_co_u32 v0, s0, s46, v58
	s_delay_alu instid0(VALU_DEP_1)
	v_add_co_ci_u32_e64 v1, s0, s47, v1, s0
	s_cbranch_vccnz .LBB11_1577
; %bb.1571:
	v_cmp_lt_i16_e32 vcc_lo, 25, v62
	s_mov_b32 s3, 0
	s_cbranch_vccz .LBB11_1583
; %bb.1572:
	v_cmp_lt_i16_e32 vcc_lo, 28, v62
	s_cbranch_vccz .LBB11_1585
; %bb.1573:
	v_cmp_lt_i16_e32 vcc_lo, 43, v62
	;; [unrolled: 3-line block ×3, first 2 shown]
	s_cbranch_vccz .LBB11_1591
; %bb.1575:
	v_cmp_eq_u16_e32 vcc_lo, 46, v62
	s_mov_b32 s1, 0
	s_cbranch_vccz .LBB11_1631
; %bb.1576:
	global_load_b32 v2, v[0:1], off
	s_mov_b32 s2, 0
	s_mov_b32 s0, -1
	s_waitcnt vmcnt(0)
	v_lshlrev_b32_e32 v2, 16, v2
	s_delay_alu instid0(VALU_DEP_1)
	v_cvt_f64_f32_e32 v[45:46], v2
	s_branch .LBB11_1633
.LBB11_1577:
	s_mov_b32 s0, 0
	s_mov_b32 s55, s58
                                        ; implicit-def: $vgpr45_vgpr46
	s_cbranch_execz .LBB11_1696
; %bb.1578:
	v_cmp_gt_i16_e32 vcc_lo, 5, v62
	s_cbranch_vccnz .LBB11_1584
; %bb.1579:
	v_cmp_gt_i16_e32 vcc_lo, 8, v62
	s_cbranch_vccnz .LBB11_1586
	;; [unrolled: 3-line block ×3, first 2 shown]
; %bb.1581:
	v_cmp_lt_i16_e32 vcc_lo, 9, v62
	s_cbranch_vccz .LBB11_1592
; %bb.1582:
	global_load_b64 v[45:46], v[0:1], off
	s_mov_b32 s0, 0
	s_branch .LBB11_1593
.LBB11_1583:
	s_mov_b32 s0, 0
	s_mov_b32 s2, 0
                                        ; implicit-def: $vgpr45_vgpr46
	s_cbranch_execnz .LBB11_1663
	s_branch .LBB11_1692
.LBB11_1584:
                                        ; implicit-def: $vgpr45_vgpr46
	s_branch .LBB11_1610
.LBB11_1585:
	s_mov_b32 s1, -1
	s_mov_b32 s0, 0
	s_mov_b32 s2, 0
                                        ; implicit-def: $vgpr45_vgpr46
	s_branch .LBB11_1642
.LBB11_1586:
                                        ; implicit-def: $vgpr45_vgpr46
	s_branch .LBB11_1599
.LBB11_1587:
	s_mov_b32 s0, 0
	s_mov_b32 s2, 0
                                        ; implicit-def: $vgpr45_vgpr46
	s_cbranch_execnz .LBB11_1638
	s_branch .LBB11_1641
.LBB11_1588:
	s_mov_b32 s0, -1
                                        ; implicit-def: $vgpr45_vgpr46
	s_branch .LBB11_1596
.LBB11_1589:
	s_cbranch_execnz .LBB11_1629
; %bb.1590:
	s_or_b32 s59, s59, exec_lo
	s_and_not1_b32 s0, s0, exec_lo
	s_or_b32 exec_lo, exec_lo, s1
	s_and_saveexec_b32 s1, s0
	s_delay_alu instid0(SALU_CYCLE_1)
	s_xor_b32 s0, exec_lo, s1
	s_cbranch_execnz .LBB11_1529
	s_branch .LBB11_1530
.LBB11_1591:
	s_mov_b32 s1, -1
	s_mov_b32 s0, 0
	s_mov_b32 s2, 0
	s_branch .LBB11_1632
.LBB11_1592:
	s_mov_b32 s0, -1
                                        ; implicit-def: $vgpr45_vgpr46
.LBB11_1593:
	s_delay_alu instid0(SALU_CYCLE_1)
	s_and_not1_b32 vcc_lo, exec_lo, s0
	s_cbranch_vccnz .LBB11_1595
; %bb.1594:
	global_load_b32 v2, v[0:1], off
	s_waitcnt vmcnt(0)
	v_cvt_f64_f32_e32 v[45:46], v2
.LBB11_1595:
	s_mov_b32 s0, 0
.LBB11_1596:
	s_delay_alu instid0(SALU_CYCLE_1)
	s_and_not1_b32 vcc_lo, exec_lo, s0
	s_cbranch_vccnz .LBB11_1598
; %bb.1597:
	global_load_b32 v2, v[0:1], off
	s_waitcnt vmcnt(0)
	v_cvt_f32_f16_e32 v2, v2
	s_delay_alu instid0(VALU_DEP_1)
	v_cvt_f64_f32_e32 v[45:46], v2
.LBB11_1598:
	s_cbranch_execnz .LBB11_1609
.LBB11_1599:
	v_cmp_gt_i16_e32 vcc_lo, 6, v62
	s_cbranch_vccnz .LBB11_1602
; %bb.1600:
	v_cmp_lt_i16_e32 vcc_lo, 6, v62
	s_cbranch_vccz .LBB11_1603
; %bb.1601:
	global_load_b64 v[45:46], v[0:1], off
	s_mov_b32 s0, 0
	s_branch .LBB11_1604
.LBB11_1602:
	s_mov_b32 s0, -1
                                        ; implicit-def: $vgpr45_vgpr46
	s_branch .LBB11_1607
.LBB11_1603:
	s_mov_b32 s0, -1
                                        ; implicit-def: $vgpr45_vgpr46
.LBB11_1604:
	s_delay_alu instid0(SALU_CYCLE_1)
	s_and_not1_b32 vcc_lo, exec_lo, s0
	s_cbranch_vccnz .LBB11_1606
; %bb.1605:
	global_load_b32 v2, v[0:1], off
	s_waitcnt vmcnt(0)
	v_cvt_f64_f32_e32 v[45:46], v2
.LBB11_1606:
	s_mov_b32 s0, 0
.LBB11_1607:
	s_delay_alu instid0(SALU_CYCLE_1)
	s_and_not1_b32 vcc_lo, exec_lo, s0
	s_cbranch_vccnz .LBB11_1609
; %bb.1608:
	global_load_u16 v2, v[0:1], off
	s_waitcnt vmcnt(0)
	v_cvt_f32_f16_e32 v2, v2
	s_delay_alu instid0(VALU_DEP_1)
	v_cvt_f64_f32_e32 v[45:46], v2
.LBB11_1609:
	s_cbranch_execnz .LBB11_1628
.LBB11_1610:
	v_cmp_gt_i16_e32 vcc_lo, 2, v62
	s_cbranch_vccnz .LBB11_1614
; %bb.1611:
	v_cmp_gt_i16_e32 vcc_lo, 3, v62
	s_cbranch_vccnz .LBB11_1615
; %bb.1612:
	v_cmp_lt_i16_e32 vcc_lo, 3, v62
	s_cbranch_vccz .LBB11_1616
; %bb.1613:
	global_load_b64 v[2:3], v[0:1], off
	s_mov_b32 s0, 0
	s_waitcnt vmcnt(0)
	v_cvt_f64_i32_e32 v[3:4], v3
	v_cvt_f64_u32_e32 v[5:6], v2
	s_delay_alu instid0(VALU_DEP_2) | instskip(NEXT) | instid1(VALU_DEP_1)
	v_ldexp_f64 v[3:4], v[3:4], 32
	v_add_f64 v[45:46], v[3:4], v[5:6]
	s_branch .LBB11_1617
.LBB11_1614:
                                        ; implicit-def: $vgpr45_vgpr46
	s_branch .LBB11_1623
.LBB11_1615:
	s_mov_b32 s0, -1
                                        ; implicit-def: $vgpr45_vgpr46
	s_branch .LBB11_1620
.LBB11_1616:
	s_mov_b32 s0, -1
                                        ; implicit-def: $vgpr45_vgpr46
.LBB11_1617:
	s_delay_alu instid0(SALU_CYCLE_1)
	s_and_not1_b32 vcc_lo, exec_lo, s0
	s_cbranch_vccnz .LBB11_1619
; %bb.1618:
	global_load_b32 v2, v[0:1], off
	s_waitcnt vmcnt(0)
	v_cvt_f64_i32_e32 v[45:46], v2
.LBB11_1619:
	s_mov_b32 s0, 0
.LBB11_1620:
	s_delay_alu instid0(SALU_CYCLE_1)
	s_and_not1_b32 vcc_lo, exec_lo, s0
	s_cbranch_vccnz .LBB11_1622
; %bb.1621:
	global_load_i16 v2, v[0:1], off
	s_waitcnt vmcnt(0)
	v_cvt_f64_i32_e32 v[45:46], v2
.LBB11_1622:
	s_cbranch_execnz .LBB11_1628
.LBB11_1623:
	v_cmp_lt_i16_e32 vcc_lo, 0, v62
	s_mov_b32 s0, 0
	s_cbranch_vccz .LBB11_1625
; %bb.1624:
	global_load_i8 v2, v[0:1], off
	s_waitcnt vmcnt(0)
	v_cvt_f64_i32_e32 v[45:46], v2
	s_branch .LBB11_1626
.LBB11_1625:
	s_mov_b32 s0, -1
                                        ; implicit-def: $vgpr45_vgpr46
.LBB11_1626:
	s_delay_alu instid0(SALU_CYCLE_1)
	s_and_not1_b32 vcc_lo, exec_lo, s0
	s_cbranch_vccnz .LBB11_1628
; %bb.1627:
	global_load_u8 v0, v[0:1], off
	s_waitcnt vmcnt(0)
	v_cvt_f64_u32_e32 v[45:46], v0
.LBB11_1628:
                                        ; implicit-def: $vgpr2_vgpr3
	s_branch .LBB11_1697
.LBB11_1629:
	s_trap 2
	s_sendmsg_rtn_b32 s0, sendmsg(MSG_RTN_GET_DOORBELL)
	s_mov_b32 ttmp2, m0
	s_waitcnt lgkmcnt(0)
	s_and_b32 s0, s0, 0x3ff
	s_delay_alu instid0(SALU_CYCLE_1) | instskip(NEXT) | instid1(SALU_CYCLE_1)
	s_bitset1_b32 s0, 10
	s_mov_b32 m0, s0
	s_sendmsg sendmsg(MSG_INTERRUPT)
	s_mov_b32 m0, ttmp2
.LBB11_1630:                            ; =>This Inner Loop Header: Depth=1
	s_sethalt 5
	s_branch .LBB11_1630
.LBB11_1631:
	s_mov_b32 s2, -1
	s_mov_b32 s0, 0
.LBB11_1632:
                                        ; implicit-def: $vgpr45_vgpr46
.LBB11_1633:
	s_and_b32 vcc_lo, exec_lo, s1
	s_cbranch_vccz .LBB11_1636
; %bb.1634:
	v_cmp_eq_u16_e32 vcc_lo, 44, v62
	s_cbranch_vccz .LBB11_1637
; %bb.1635:
	global_load_u8 v4, v[0:1], off
	s_mov_b32 s2, 0
	s_mov_b32 s0, -1
	s_waitcnt vmcnt(0)
	v_cmp_ne_u32_e32 vcc_lo, 0xff, v4
	v_lshlrev_b32_e32 v2, 23, v4
	s_delay_alu instid0(VALU_DEP_1) | instskip(NEXT) | instid1(VALU_DEP_1)
	v_cvt_f64_f32_e32 v[2:3], v2
	v_cndmask_b32_e32 v3, 0x7ff80000, v3, vcc_lo
	s_delay_alu instid0(VALU_DEP_2) | instskip(SKIP_1) | instid1(VALU_DEP_3)
	v_cndmask_b32_e32 v2, 0x20000000, v2, vcc_lo
	v_cmp_ne_u32_e32 vcc_lo, 0, v4
	v_cndmask_b32_e32 v46, 0x38000000, v3, vcc_lo
	s_delay_alu instid0(VALU_DEP_3)
	v_cndmask_b32_e32 v45, 0, v2, vcc_lo
.LBB11_1636:
	s_branch .LBB11_1641
.LBB11_1637:
	s_mov_b32 s2, -1
                                        ; implicit-def: $vgpr45_vgpr46
	s_branch .LBB11_1641
.LBB11_1638:
	v_cmp_eq_u16_e32 vcc_lo, 29, v62
	s_cbranch_vccz .LBB11_1640
; %bb.1639:
	global_load_b64 v[2:3], v[0:1], off
	s_mov_b32 s2, 0
	s_mov_b32 s0, -1
	s_mov_b32 s1, 0
	s_waitcnt vmcnt(0)
	v_cvt_f64_u32_e32 v[3:4], v3
	v_cvt_f64_u32_e32 v[5:6], v2
	s_delay_alu instid0(VALU_DEP_2) | instskip(NEXT) | instid1(VALU_DEP_1)
	v_ldexp_f64 v[3:4], v[3:4], 32
	v_add_f64 v[45:46], v[3:4], v[5:6]
	s_branch .LBB11_1642
.LBB11_1640:
	s_mov_b32 s2, -1
                                        ; implicit-def: $vgpr45_vgpr46
.LBB11_1641:
	s_mov_b32 s1, 0
.LBB11_1642:
	s_delay_alu instid0(SALU_CYCLE_1)
	s_and_b32 vcc_lo, exec_lo, s1
	s_cbranch_vccz .LBB11_1662
; %bb.1643:
	v_cmp_gt_i16_e32 vcc_lo, 27, v62
	s_cbranch_vccnz .LBB11_1646
; %bb.1644:
	v_cmp_lt_i16_e32 vcc_lo, 27, v62
	s_cbranch_vccz .LBB11_1647
; %bb.1645:
	global_load_b32 v2, v[0:1], off
	s_mov_b32 s0, 0
	s_waitcnt vmcnt(0)
	v_cvt_f64_u32_e32 v[45:46], v2
	s_branch .LBB11_1648
.LBB11_1646:
	s_mov_b32 s0, -1
                                        ; implicit-def: $vgpr45_vgpr46
	s_branch .LBB11_1651
.LBB11_1647:
	s_mov_b32 s0, -1
                                        ; implicit-def: $vgpr45_vgpr46
.LBB11_1648:
	s_delay_alu instid0(SALU_CYCLE_1)
	s_and_not1_b32 vcc_lo, exec_lo, s0
	s_cbranch_vccnz .LBB11_1650
; %bb.1649:
	global_load_u16 v2, v[0:1], off
	s_waitcnt vmcnt(0)
	v_cvt_f64_u32_e32 v[45:46], v2
.LBB11_1650:
	s_mov_b32 s0, 0
.LBB11_1651:
	s_delay_alu instid0(SALU_CYCLE_1)
	s_and_not1_b32 vcc_lo, exec_lo, s0
	s_cbranch_vccnz .LBB11_1661
; %bb.1652:
	global_load_u8 v2, v[0:1], off
	s_mov_b32 s4, 0
	s_mov_b32 s5, exec_lo
                                        ; implicit-def: $sgpr0_sgpr1
	s_waitcnt vmcnt(0)
	v_cmpx_lt_i16_e32 0x7f, v2
	s_xor_b32 s5, exec_lo, s5
	s_cbranch_execz .LBB11_1656
; %bb.1653:
	s_mov_b32 s6, -1
	s_mov_b32 s4, exec_lo
                                        ; implicit-def: $sgpr0_sgpr1
	v_cmpx_eq_u16_e32 0x80, v2
; %bb.1654:
	s_mov_b32 s1, 0x7ff80000
	s_brev_b32 s0, 4
	s_xor_b32 s6, exec_lo, -1
; %bb.1655:
	s_or_b32 exec_lo, exec_lo, s4
	s_delay_alu instid0(SALU_CYCLE_1)
	s_and_b32 s4, s6, exec_lo
.LBB11_1656:
	s_or_saveexec_b32 s5, s5
	v_dual_mov_b32 v46, s1 :: v_dual_mov_b32 v45, s0
	s_xor_b32 exec_lo, exec_lo, s5
; %bb.1657:
	v_cmp_ne_u16_e32 vcc_lo, 0, v2
	v_mov_b32_e32 v45, 0
	v_mov_b32_e32 v46, 0
	s_and_not1_b32 s0, s4, exec_lo
	s_and_b32 s1, vcc_lo, exec_lo
	s_delay_alu instid0(SALU_CYCLE_1)
	s_or_b32 s4, s0, s1
; %bb.1658:
	s_or_b32 exec_lo, exec_lo, s5
	s_and_saveexec_b32 s0, s4
	s_cbranch_execz .LBB11_1660
; %bb.1659:
	v_and_b32_e32 v3, 0xffff, v2
	v_lshlrev_b32_e32 v2, 24, v2
	s_delay_alu instid0(VALU_DEP_2) | instskip(NEXT) | instid1(VALU_DEP_2)
	v_and_b32_e32 v4, 7, v3
	v_and_b32_e32 v2, 0x80000000, v2
	s_delay_alu instid0(VALU_DEP_2) | instskip(NEXT) | instid1(VALU_DEP_1)
	v_clz_i32_u32_e32 v5, v4
	v_min_u32_e32 v5, 32, v5
	s_delay_alu instid0(VALU_DEP_1) | instskip(SKIP_1) | instid1(VALU_DEP_2)
	v_subrev_nc_u32_e32 v6, 28, v5
	v_sub_nc_u32_e32 v5, 29, v5
	v_lshlrev_b32_e32 v6, v6, v3
	v_bfe_u32 v3, v3, 3, 4
	s_delay_alu instid0(VALU_DEP_2) | instskip(NEXT) | instid1(VALU_DEP_2)
	v_and_b32_e32 v6, 7, v6
	v_cmp_eq_u32_e32 vcc_lo, 0, v3
	s_delay_alu instid0(VALU_DEP_2) | instskip(NEXT) | instid1(VALU_DEP_1)
	v_dual_cndmask_b32 v3, v3, v5 :: v_dual_cndmask_b32 v4, v4, v6
	v_lshl_add_u32 v3, v3, 23, 0x3b800000
	s_delay_alu instid0(VALU_DEP_2) | instskip(NEXT) | instid1(VALU_DEP_1)
	v_lshlrev_b32_e32 v4, 20, v4
	v_or3_b32 v2, v2, v3, v4
	s_delay_alu instid0(VALU_DEP_1)
	v_cvt_f64_f32_e32 v[45:46], v2
.LBB11_1660:
	s_or_b32 exec_lo, exec_lo, s0
.LBB11_1661:
	s_mov_b32 s0, -1
.LBB11_1662:
	s_branch .LBB11_1692
.LBB11_1663:
	v_cmp_lt_i16_e32 vcc_lo, 22, v62
	s_cbranch_vccz .LBB11_1675
; %bb.1664:
	v_cmp_gt_i16_e32 vcc_lo, 24, v62
	s_cbranch_vccnz .LBB11_1676
; %bb.1665:
	v_cmp_lt_i16_e32 vcc_lo, 24, v62
	s_cbranch_vccz .LBB11_1677
; %bb.1666:
	global_load_u8 v2, v[0:1], off
	s_mov_b32 s4, exec_lo
                                        ; implicit-def: $sgpr0_sgpr1
	s_waitcnt vmcnt(0)
	v_cmpx_lt_i16_e32 0x7f, v2
	s_xor_b32 s4, exec_lo, s4
	s_cbranch_execz .LBB11_1670
; %bb.1667:
	s_mov_b32 s5, -1
	s_mov_b32 s3, exec_lo
                                        ; implicit-def: $sgpr0_sgpr1
	v_cmpx_eq_u16_e32 0x80, v2
; %bb.1668:
	s_mov_b32 s1, 0x7ff80000
	s_brev_b32 s0, 4
	s_xor_b32 s5, exec_lo, -1
; %bb.1669:
	s_or_b32 exec_lo, exec_lo, s3
	s_delay_alu instid0(SALU_CYCLE_1)
	s_and_b32 s3, s5, exec_lo
.LBB11_1670:
	s_or_saveexec_b32 s4, s4
	v_dual_mov_b32 v46, s1 :: v_dual_mov_b32 v45, s0
	s_xor_b32 exec_lo, exec_lo, s4
; %bb.1671:
	v_cmp_ne_u16_e32 vcc_lo, 0, v2
	v_mov_b32_e32 v45, 0
	v_mov_b32_e32 v46, 0
	s_and_not1_b32 s0, s3, exec_lo
	s_and_b32 s1, vcc_lo, exec_lo
	s_delay_alu instid0(SALU_CYCLE_1)
	s_or_b32 s3, s0, s1
; %bb.1672:
	s_or_b32 exec_lo, exec_lo, s4
	s_and_saveexec_b32 s0, s3
	s_cbranch_execz .LBB11_1674
; %bb.1673:
	v_and_b32_e32 v3, 0xffff, v2
	v_lshlrev_b32_e32 v2, 24, v2
	s_delay_alu instid0(VALU_DEP_2) | instskip(NEXT) | instid1(VALU_DEP_2)
	v_and_b32_e32 v4, 3, v3
	v_and_b32_e32 v2, 0x80000000, v2
	s_delay_alu instid0(VALU_DEP_2) | instskip(NEXT) | instid1(VALU_DEP_1)
	v_clz_i32_u32_e32 v5, v4
	v_min_u32_e32 v5, 32, v5
	s_delay_alu instid0(VALU_DEP_1) | instskip(SKIP_1) | instid1(VALU_DEP_2)
	v_subrev_nc_u32_e32 v6, 29, v5
	v_sub_nc_u32_e32 v5, 30, v5
	v_lshlrev_b32_e32 v6, v6, v3
	v_bfe_u32 v3, v3, 2, 5
	s_delay_alu instid0(VALU_DEP_2) | instskip(NEXT) | instid1(VALU_DEP_2)
	v_and_b32_e32 v6, 3, v6
	v_cmp_eq_u32_e32 vcc_lo, 0, v3
	s_delay_alu instid0(VALU_DEP_2) | instskip(NEXT) | instid1(VALU_DEP_1)
	v_dual_cndmask_b32 v3, v3, v5 :: v_dual_cndmask_b32 v4, v4, v6
	v_lshl_add_u32 v3, v3, 23, 0x37800000
	s_delay_alu instid0(VALU_DEP_2) | instskip(NEXT) | instid1(VALU_DEP_1)
	v_lshlrev_b32_e32 v4, 21, v4
	v_or3_b32 v2, v2, v3, v4
	s_delay_alu instid0(VALU_DEP_1)
	v_cvt_f64_f32_e32 v[45:46], v2
.LBB11_1674:
	s_or_b32 exec_lo, exec_lo, s0
	s_mov_b32 s0, 0
	s_branch .LBB11_1678
.LBB11_1675:
                                        ; implicit-def: $vgpr45_vgpr46
	s_mov_b32 s3, 0
	s_branch .LBB11_1684
.LBB11_1676:
	s_mov_b32 s0, -1
                                        ; implicit-def: $vgpr45_vgpr46
	s_branch .LBB11_1681
.LBB11_1677:
	s_mov_b32 s0, -1
                                        ; implicit-def: $vgpr45_vgpr46
.LBB11_1678:
	s_delay_alu instid0(SALU_CYCLE_1)
	s_and_b32 vcc_lo, exec_lo, s0
	s_cbranch_vccz .LBB11_1680
; %bb.1679:
	global_load_u8 v2, v[0:1], off
	s_waitcnt vmcnt(0)
	v_lshlrev_b32_e32 v2, 24, v2
	s_delay_alu instid0(VALU_DEP_1) | instskip(NEXT) | instid1(VALU_DEP_1)
	v_and_b32_e32 v3, 0x7f000000, v2
	v_clz_i32_u32_e32 v4, v3
	v_add_nc_u32_e32 v6, 0x1000000, v3
	v_cmp_ne_u32_e32 vcc_lo, 0, v3
	s_delay_alu instid0(VALU_DEP_3) | instskip(NEXT) | instid1(VALU_DEP_1)
	v_min_u32_e32 v4, 32, v4
	v_sub_nc_u32_e64 v4, v4, 4 clamp
	s_delay_alu instid0(VALU_DEP_1) | instskip(SKIP_1) | instid1(VALU_DEP_2)
	v_lshlrev_b32_e32 v5, v4, v3
	v_lshlrev_b32_e32 v4, 23, v4
	v_lshrrev_b32_e32 v5, 4, v5
	s_delay_alu instid0(VALU_DEP_1) | instskip(SKIP_1) | instid1(VALU_DEP_2)
	v_sub_nc_u32_e32 v4, v5, v4
	v_ashrrev_i32_e32 v5, 8, v6
	v_add_nc_u32_e32 v4, 0x3c000000, v4
	s_delay_alu instid0(VALU_DEP_1) | instskip(NEXT) | instid1(VALU_DEP_1)
	v_and_or_b32 v4, 0x7f800000, v5, v4
	v_cndmask_b32_e32 v3, 0, v4, vcc_lo
	s_delay_alu instid0(VALU_DEP_1) | instskip(NEXT) | instid1(VALU_DEP_1)
	v_and_or_b32 v2, 0x80000000, v2, v3
	v_cvt_f64_f32_e32 v[45:46], v2
.LBB11_1680:
	s_mov_b32 s0, 0
.LBB11_1681:
	s_delay_alu instid0(SALU_CYCLE_1)
	s_and_not1_b32 vcc_lo, exec_lo, s0
	s_cbranch_vccnz .LBB11_1683
; %bb.1682:
	global_load_u8 v2, v[0:1], off
	s_waitcnt vmcnt(0)
	v_lshlrev_b32_e32 v3, 25, v2
	v_lshlrev_b16 v2, 8, v2
	s_delay_alu instid0(VALU_DEP_2) | instskip(NEXT) | instid1(VALU_DEP_2)
	v_lshrrev_b32_e32 v4, 4, v3
	v_and_or_b32 v5, 0x7f00, v2, 0.5
	v_bfe_i32 v2, v2, 0, 16
	s_delay_alu instid0(VALU_DEP_3) | instskip(NEXT) | instid1(VALU_DEP_1)
	v_or_b32_e32 v4, 0x70000000, v4
	v_dual_add_f32 v5, -0.5, v5 :: v_dual_mul_f32 v4, 0x7800000, v4
	v_cmp_gt_u32_e32 vcc_lo, 0x8000000, v3
	s_delay_alu instid0(VALU_DEP_2) | instskip(NEXT) | instid1(VALU_DEP_1)
	v_cndmask_b32_e32 v3, v4, v5, vcc_lo
	v_and_or_b32 v2, 0x80000000, v2, v3
	s_delay_alu instid0(VALU_DEP_1)
	v_cvt_f64_f32_e32 v[45:46], v2
.LBB11_1683:
	s_mov_b32 s0, -1
	s_mov_b32 s3, 0
	s_cbranch_execnz .LBB11_1692
.LBB11_1684:
	v_cmp_lt_i16_e32 vcc_lo, 14, v62
	s_cbranch_vccz .LBB11_1687
; %bb.1685:
	v_cmp_eq_u16_e32 vcc_lo, 15, v62
	s_cbranch_vccz .LBB11_1688
; %bb.1686:
	global_load_u16 v2, v[0:1], off
	s_mov_b32 s2, 0
	s_mov_b32 s0, -1
	s_waitcnt vmcnt(0)
	v_lshlrev_b32_e32 v2, 16, v2
	s_delay_alu instid0(VALU_DEP_1)
	v_cvt_f64_f32_e32 v[45:46], v2
	s_branch .LBB11_1689
.LBB11_1687:
	s_mov_b32 s1, -1
                                        ; implicit-def: $vgpr45_vgpr46
	s_branch .LBB11_1690
.LBB11_1688:
	s_mov_b32 s2, -1
                                        ; implicit-def: $vgpr45_vgpr46
.LBB11_1689:
	s_mov_b32 s1, 0
.LBB11_1690:
	s_delay_alu instid0(SALU_CYCLE_1)
	s_and_b32 vcc_lo, exec_lo, s1
	s_cbranch_vccz .LBB11_1692
; %bb.1691:
	v_cmp_ne_u16_e64 s2, 11, v62
	s_mov_b32 s3, -1
                                        ; implicit-def: $vgpr45_vgpr46
.LBB11_1692:
	s_delay_alu instid0(VALU_DEP_1)
	s_and_b32 vcc_lo, exec_lo, s2
	s_mov_b32 s55, s58
	s_cbranch_vccnz .LBB11_1716
; %bb.1693:
	s_and_not1_b32 vcc_lo, exec_lo, s3
	s_cbranch_vccnz .LBB11_1695
.LBB11_1694:
	global_load_u8 v2, v[0:1], off
	s_waitcnt vmcnt(1)
	v_mov_b32_e32 v45, 0
	s_mov_b32 s0, -1
	s_waitcnt vmcnt(0)
	v_cmp_ne_u16_e32 vcc_lo, 0, v2
	v_cndmask_b32_e64 v46, 0, 0x3ff00000, vcc_lo
.LBB11_1695:
.LBB11_1696:
	s_and_not1_b32 vcc_lo, exec_lo, s0
                                        ; implicit-def: $vgpr2_vgpr3
	s_cbranch_vccnz .LBB11_2653
.LBB11_1697:
	v_mul_lo_u32 v59, s50, v47
	v_cmp_lt_i16_e64 s0, s51, 11
	s_delay_alu instid0(VALU_DEP_2) | instskip(SKIP_1) | instid1(VALU_DEP_2)
	v_ashrrev_i32_e32 v1, 31, v59
	v_add_co_u32 v0, vcc_lo, s52, v59
	v_add_co_ci_u32_e32 v1, vcc_lo, s53, v1, vcc_lo
	s_delay_alu instid0(VALU_DEP_4)
	s_and_b32 vcc_lo, exec_lo, s0
	s_cbranch_vccnz .LBB11_1704
; %bb.1698:
	v_cmp_gt_i16_e64 s0, s51, 25
	s_mov_b32 s3, 0
	s_delay_alu instid0(VALU_DEP_1)
	s_and_b32 vcc_lo, exec_lo, s0
	s_cbranch_vccz .LBB11_1710
; %bb.1699:
	v_cmp_gt_i16_e64 s0, s51, 28
	s_delay_alu instid0(VALU_DEP_1)
	s_and_b32 vcc_lo, exec_lo, s0
	s_cbranch_vccz .LBB11_1712
; %bb.1700:
	v_cmp_gt_i16_e64 s0, s51, 43
	;; [unrolled: 5-line block ×3, first 2 shown]
	s_delay_alu instid0(VALU_DEP_1)
	s_and_b32 vcc_lo, exec_lo, s0
	s_cbranch_vccz .LBB11_1718
; %bb.1702:
	v_cmp_eq_u16_e64 s0, s51, 46
	s_mov_b32 s1, 0
	s_delay_alu instid0(VALU_DEP_1)
	s_and_b32 vcc_lo, exec_lo, s0
	s_cbranch_vccz .LBB11_1762
; %bb.1703:
	global_load_b32 v2, v[0:1], off
	s_mov_b32 s2, 0
	s_mov_b32 s0, -1
	s_waitcnt vmcnt(0)
	v_lshlrev_b32_e32 v2, 16, v2
	s_delay_alu instid0(VALU_DEP_1)
	v_cvt_f64_f32_e32 v[56:57], v2
	s_branch .LBB11_1764
.LBB11_1704:
	s_mov_b32 s0, 0
                                        ; implicit-def: $vgpr56_vgpr57
	s_cbranch_execz .LBB11_1829
; %bb.1705:
	v_cmp_lt_i16_e64 s0, s51, 5
	s_delay_alu instid0(VALU_DEP_1)
	s_and_b32 vcc_lo, exec_lo, s0
	s_cbranch_vccnz .LBB11_1711
; %bb.1706:
	v_cmp_lt_i16_e64 s0, s51, 8
	s_delay_alu instid0(VALU_DEP_1)
	s_and_b32 vcc_lo, exec_lo, s0
	s_cbranch_vccnz .LBB11_1713
	;; [unrolled: 5-line block ×3, first 2 shown]
; %bb.1708:
	v_cmp_gt_i16_e64 s0, s51, 9
	s_delay_alu instid0(VALU_DEP_1)
	s_and_b32 vcc_lo, exec_lo, s0
	s_cbranch_vccz .LBB11_1721
; %bb.1709:
	global_load_b64 v[56:57], v[0:1], off
	s_mov_b32 s0, 0
	s_branch .LBB11_1722
.LBB11_1710:
	s_mov_b32 s0, 0
	s_mov_b32 s2, 0
                                        ; implicit-def: $vgpr56_vgpr57
	s_cbranch_execnz .LBB11_1795
	s_branch .LBB11_1825
.LBB11_1711:
                                        ; implicit-def: $vgpr56_vgpr57
	s_branch .LBB11_1740
.LBB11_1712:
	s_mov_b32 s1, -1
	s_mov_b32 s0, 0
	s_mov_b32 s2, 0
                                        ; implicit-def: $vgpr56_vgpr57
	s_branch .LBB11_1774
.LBB11_1713:
	s_mov_b32 s0, -1
                                        ; implicit-def: $vgpr56_vgpr57
	s_branch .LBB11_1728
.LBB11_1714:
	s_mov_b32 s1, -1
	s_mov_b32 s0, 0
	s_mov_b32 s2, 0
                                        ; implicit-def: $vgpr56_vgpr57
	s_branch .LBB11_1769
.LBB11_1715:
	s_mov_b32 s0, -1
                                        ; implicit-def: $vgpr56_vgpr57
	s_branch .LBB11_1725
.LBB11_1716:
	s_cbranch_execnz .LBB11_1760
; %bb.1717:
	s_or_b32 s55, s58, exec_lo
                                        ; implicit-def: $vgpr45_vgpr46
	s_cbranch_execz .LBB11_1694
	s_branch .LBB11_1695
.LBB11_1718:
	s_mov_b32 s1, -1
	s_mov_b32 s0, 0
	s_mov_b32 s2, 0
	s_branch .LBB11_1763
.LBB11_1719:
	s_or_saveexec_b32 s3, s3
                                        ; implicit-def: $sgpr4
	s_delay_alu instid0(SALU_CYCLE_1)
	s_xor_b32 exec_lo, exec_lo, s3
	s_cbranch_execz .LBB11_1480
.LBB11_1720:
	v_add_f32_e64 v3, 0x46000000, |v2|
	s_and_not1_b32 s2, s2, exec_lo
	s_mov_b32 s4, 0
	s_delay_alu instid0(VALU_DEP_1) | instskip(NEXT) | instid1(VALU_DEP_1)
	v_and_b32_e32 v3, 0xff, v3
	v_cmp_ne_u32_e32 vcc_lo, 0, v3
	s_and_b32 s5, vcc_lo, exec_lo
	s_delay_alu instid0(SALU_CYCLE_1)
	s_or_b32 s2, s2, s5
	s_or_b32 exec_lo, exec_lo, s3
	v_mov_b32_e32 v7, s4
	s_and_saveexec_b32 s3, s2
	s_cbranch_execnz .LBB11_1481
	s_branch .LBB11_1482
.LBB11_1721:
	s_mov_b32 s0, -1
                                        ; implicit-def: $vgpr56_vgpr57
.LBB11_1722:
	s_delay_alu instid0(SALU_CYCLE_1)
	s_and_not1_b32 vcc_lo, exec_lo, s0
	s_cbranch_vccnz .LBB11_1724
; %bb.1723:
	global_load_b32 v2, v[0:1], off
	s_waitcnt vmcnt(0)
	v_cvt_f64_f32_e32 v[56:57], v2
.LBB11_1724:
	s_mov_b32 s0, 0
.LBB11_1725:
	s_delay_alu instid0(SALU_CYCLE_1)
	s_and_not1_b32 vcc_lo, exec_lo, s0
	s_cbranch_vccnz .LBB11_1727
; %bb.1726:
	global_load_b32 v2, v[0:1], off
	s_waitcnt vmcnt(0)
	v_cvt_f32_f16_e32 v2, v2
	s_delay_alu instid0(VALU_DEP_1)
	v_cvt_f64_f32_e32 v[56:57], v2
.LBB11_1727:
	s_mov_b32 s0, 0
.LBB11_1728:
	s_delay_alu instid0(SALU_CYCLE_1)
	s_and_not1_b32 vcc_lo, exec_lo, s0
	s_cbranch_vccnz .LBB11_1739
; %bb.1729:
	v_cmp_lt_i16_e64 s0, s51, 6
	s_delay_alu instid0(VALU_DEP_1)
	s_and_b32 vcc_lo, exec_lo, s0
	s_cbranch_vccnz .LBB11_1732
; %bb.1730:
	v_cmp_gt_i16_e64 s0, s51, 6
	s_delay_alu instid0(VALU_DEP_1)
	s_and_b32 vcc_lo, exec_lo, s0
	s_cbranch_vccz .LBB11_1733
; %bb.1731:
	global_load_b64 v[56:57], v[0:1], off
	s_mov_b32 s0, 0
	s_branch .LBB11_1734
.LBB11_1732:
	s_mov_b32 s0, -1
                                        ; implicit-def: $vgpr56_vgpr57
	s_branch .LBB11_1737
.LBB11_1733:
	s_mov_b32 s0, -1
                                        ; implicit-def: $vgpr56_vgpr57
.LBB11_1734:
	s_delay_alu instid0(SALU_CYCLE_1)
	s_and_not1_b32 vcc_lo, exec_lo, s0
	s_cbranch_vccnz .LBB11_1736
; %bb.1735:
	global_load_b32 v2, v[0:1], off
	s_waitcnt vmcnt(0)
	v_cvt_f64_f32_e32 v[56:57], v2
.LBB11_1736:
	s_mov_b32 s0, 0
.LBB11_1737:
	s_delay_alu instid0(SALU_CYCLE_1)
	s_and_not1_b32 vcc_lo, exec_lo, s0
	s_cbranch_vccnz .LBB11_1739
; %bb.1738:
	global_load_u16 v2, v[0:1], off
	s_waitcnt vmcnt(0)
	v_cvt_f32_f16_e32 v2, v2
	s_delay_alu instid0(VALU_DEP_1)
	v_cvt_f64_f32_e32 v[56:57], v2
.LBB11_1739:
	s_cbranch_execnz .LBB11_1759
.LBB11_1740:
	v_cmp_lt_i16_e64 s0, s51, 2
	s_delay_alu instid0(VALU_DEP_1)
	s_and_b32 vcc_lo, exec_lo, s0
	s_cbranch_vccnz .LBB11_1744
; %bb.1741:
	v_cmp_lt_i16_e64 s0, s51, 3
	s_delay_alu instid0(VALU_DEP_1)
	s_and_b32 vcc_lo, exec_lo, s0
	s_cbranch_vccnz .LBB11_1745
; %bb.1742:
	v_cmp_gt_i16_e64 s0, s51, 3
	s_delay_alu instid0(VALU_DEP_1)
	s_and_b32 vcc_lo, exec_lo, s0
	s_cbranch_vccz .LBB11_1746
; %bb.1743:
	global_load_b64 v[2:3], v[0:1], off
	s_mov_b32 s0, 0
	s_waitcnt vmcnt(0)
	v_cvt_f64_i32_e32 v[3:4], v3
	v_cvt_f64_u32_e32 v[5:6], v2
	s_delay_alu instid0(VALU_DEP_2) | instskip(NEXT) | instid1(VALU_DEP_1)
	v_ldexp_f64 v[3:4], v[3:4], 32
	v_add_f64 v[56:57], v[3:4], v[5:6]
	s_branch .LBB11_1747
.LBB11_1744:
	s_mov_b32 s0, -1
                                        ; implicit-def: $vgpr56_vgpr57
	s_branch .LBB11_1753
.LBB11_1745:
	s_mov_b32 s0, -1
                                        ; implicit-def: $vgpr56_vgpr57
	s_branch .LBB11_1750
.LBB11_1746:
	s_mov_b32 s0, -1
                                        ; implicit-def: $vgpr56_vgpr57
.LBB11_1747:
	s_delay_alu instid0(SALU_CYCLE_1)
	s_and_not1_b32 vcc_lo, exec_lo, s0
	s_cbranch_vccnz .LBB11_1749
; %bb.1748:
	global_load_b32 v2, v[0:1], off
	s_waitcnt vmcnt(0)
	v_cvt_f64_i32_e32 v[56:57], v2
.LBB11_1749:
	s_mov_b32 s0, 0
.LBB11_1750:
	s_delay_alu instid0(SALU_CYCLE_1)
	s_and_not1_b32 vcc_lo, exec_lo, s0
	s_cbranch_vccnz .LBB11_1752
; %bb.1751:
	global_load_i16 v2, v[0:1], off
	s_waitcnt vmcnt(0)
	v_cvt_f64_i32_e32 v[56:57], v2
.LBB11_1752:
	s_mov_b32 s0, 0
.LBB11_1753:
	s_delay_alu instid0(SALU_CYCLE_1)
	s_and_not1_b32 vcc_lo, exec_lo, s0
	s_cbranch_vccnz .LBB11_1759
; %bb.1754:
	v_cmp_gt_i16_e64 s0, s51, 0
	s_delay_alu instid0(VALU_DEP_1)
	s_and_b32 vcc_lo, exec_lo, s0
	s_mov_b32 s0, 0
	s_cbranch_vccz .LBB11_1756
; %bb.1755:
	global_load_i8 v2, v[0:1], off
	s_waitcnt vmcnt(0)
	v_cvt_f64_i32_e32 v[56:57], v2
	s_branch .LBB11_1757
.LBB11_1756:
	s_mov_b32 s0, -1
                                        ; implicit-def: $vgpr56_vgpr57
.LBB11_1757:
	s_delay_alu instid0(SALU_CYCLE_1)
	s_and_not1_b32 vcc_lo, exec_lo, s0
	s_cbranch_vccnz .LBB11_1759
; %bb.1758:
	global_load_u8 v0, v[0:1], off
	s_waitcnt vmcnt(0)
	v_cvt_f64_u32_e32 v[56:57], v0
.LBB11_1759:
	s_branch .LBB11_1830
.LBB11_1760:
	s_trap 2
	s_sendmsg_rtn_b32 s0, sendmsg(MSG_RTN_GET_DOORBELL)
	s_mov_b32 ttmp2, m0
	s_waitcnt lgkmcnt(0)
	s_and_b32 s0, s0, 0x3ff
	s_delay_alu instid0(SALU_CYCLE_1) | instskip(NEXT) | instid1(SALU_CYCLE_1)
	s_bitset1_b32 s0, 10
	s_mov_b32 m0, s0
	s_sendmsg sendmsg(MSG_INTERRUPT)
	s_mov_b32 m0, ttmp2
.LBB11_1761:                            ; =>This Inner Loop Header: Depth=1
	s_sethalt 5
	s_branch .LBB11_1761
.LBB11_1762:
	s_mov_b32 s2, -1
	s_mov_b32 s0, 0
.LBB11_1763:
                                        ; implicit-def: $vgpr56_vgpr57
.LBB11_1764:
	s_and_b32 vcc_lo, exec_lo, s1
	s_cbranch_vccz .LBB11_1768
; %bb.1765:
	v_cmp_eq_u16_e64 s1, s51, 44
	s_delay_alu instid0(VALU_DEP_1)
	s_and_b32 vcc_lo, exec_lo, s1
	s_cbranch_vccz .LBB11_1767
; %bb.1766:
	global_load_u8 v4, v[0:1], off
	s_mov_b32 s2, 0
	s_mov_b32 s0, -1
	s_waitcnt vmcnt(0)
	v_cmp_ne_u32_e32 vcc_lo, 0xff, v4
	v_lshlrev_b32_e32 v2, 23, v4
	s_delay_alu instid0(VALU_DEP_1) | instskip(NEXT) | instid1(VALU_DEP_1)
	v_cvt_f64_f32_e32 v[2:3], v2
	v_cndmask_b32_e32 v3, 0x7ff80000, v3, vcc_lo
	s_delay_alu instid0(VALU_DEP_2) | instskip(SKIP_1) | instid1(VALU_DEP_3)
	v_cndmask_b32_e32 v2, 0x20000000, v2, vcc_lo
	v_cmp_ne_u32_e32 vcc_lo, 0, v4
	v_cndmask_b32_e32 v57, 0x38000000, v3, vcc_lo
	s_delay_alu instid0(VALU_DEP_3)
	v_cndmask_b32_e32 v56, 0, v2, vcc_lo
	s_branch .LBB11_1768
.LBB11_1767:
	s_mov_b32 s2, -1
                                        ; implicit-def: $vgpr56_vgpr57
.LBB11_1768:
	s_mov_b32 s1, 0
.LBB11_1769:
	s_delay_alu instid0(SALU_CYCLE_1)
	s_and_b32 vcc_lo, exec_lo, s1
	s_cbranch_vccz .LBB11_1773
; %bb.1770:
	v_cmp_eq_u16_e64 s1, s51, 29
	s_delay_alu instid0(VALU_DEP_1)
	s_and_b32 vcc_lo, exec_lo, s1
	s_cbranch_vccz .LBB11_1772
; %bb.1771:
	global_load_b64 v[2:3], v[0:1], off
	s_mov_b32 s2, 0
	s_mov_b32 s0, -1
	s_mov_b32 s1, 0
	s_waitcnt vmcnt(0)
	v_cvt_f64_u32_e32 v[3:4], v3
	v_cvt_f64_u32_e32 v[5:6], v2
	s_delay_alu instid0(VALU_DEP_2) | instskip(NEXT) | instid1(VALU_DEP_1)
	v_ldexp_f64 v[3:4], v[3:4], 32
	v_add_f64 v[56:57], v[3:4], v[5:6]
	s_branch .LBB11_1774
.LBB11_1772:
	s_mov_b32 s2, -1
                                        ; implicit-def: $vgpr56_vgpr57
.LBB11_1773:
	s_mov_b32 s1, 0
.LBB11_1774:
	s_delay_alu instid0(SALU_CYCLE_1)
	s_and_b32 vcc_lo, exec_lo, s1
	s_cbranch_vccz .LBB11_1794
; %bb.1775:
	v_cmp_lt_i16_e64 s0, s51, 27
	s_delay_alu instid0(VALU_DEP_1)
	s_and_b32 vcc_lo, exec_lo, s0
	s_cbranch_vccnz .LBB11_1778
; %bb.1776:
	v_cmp_gt_i16_e64 s0, s51, 27
	s_delay_alu instid0(VALU_DEP_1)
	s_and_b32 vcc_lo, exec_lo, s0
	s_cbranch_vccz .LBB11_1779
; %bb.1777:
	global_load_b32 v2, v[0:1], off
	s_mov_b32 s0, 0
	s_waitcnt vmcnt(0)
	v_cvt_f64_u32_e32 v[56:57], v2
	s_branch .LBB11_1780
.LBB11_1778:
	s_mov_b32 s0, -1
                                        ; implicit-def: $vgpr56_vgpr57
	s_branch .LBB11_1783
.LBB11_1779:
	s_mov_b32 s0, -1
                                        ; implicit-def: $vgpr56_vgpr57
.LBB11_1780:
	s_delay_alu instid0(SALU_CYCLE_1)
	s_and_not1_b32 vcc_lo, exec_lo, s0
	s_cbranch_vccnz .LBB11_1782
; %bb.1781:
	global_load_u16 v2, v[0:1], off
	s_waitcnt vmcnt(0)
	v_cvt_f64_u32_e32 v[56:57], v2
.LBB11_1782:
	s_mov_b32 s0, 0
.LBB11_1783:
	s_delay_alu instid0(SALU_CYCLE_1)
	s_and_not1_b32 vcc_lo, exec_lo, s0
	s_cbranch_vccnz .LBB11_1793
; %bb.1784:
	global_load_u8 v2, v[0:1], off
	s_mov_b32 s4, 0
	s_mov_b32 s5, exec_lo
                                        ; implicit-def: $sgpr0_sgpr1
	s_waitcnt vmcnt(0)
	v_cmpx_lt_i16_e32 0x7f, v2
	s_xor_b32 s5, exec_lo, s5
	s_cbranch_execz .LBB11_1788
; %bb.1785:
	s_mov_b32 s6, -1
	s_mov_b32 s4, exec_lo
                                        ; implicit-def: $sgpr0_sgpr1
	v_cmpx_eq_u16_e32 0x80, v2
; %bb.1786:
	s_mov_b32 s1, 0x7ff80000
	s_brev_b32 s0, 4
	s_xor_b32 s6, exec_lo, -1
; %bb.1787:
	s_or_b32 exec_lo, exec_lo, s4
	s_delay_alu instid0(SALU_CYCLE_1)
	s_and_b32 s4, s6, exec_lo
.LBB11_1788:
	s_or_saveexec_b32 s5, s5
	v_dual_mov_b32 v57, s1 :: v_dual_mov_b32 v56, s0
	s_xor_b32 exec_lo, exec_lo, s5
; %bb.1789:
	v_cmp_ne_u16_e32 vcc_lo, 0, v2
	v_mov_b32_e32 v56, 0
	v_mov_b32_e32 v57, 0
	s_and_not1_b32 s0, s4, exec_lo
	s_and_b32 s1, vcc_lo, exec_lo
	s_delay_alu instid0(SALU_CYCLE_1)
	s_or_b32 s4, s0, s1
; %bb.1790:
	s_or_b32 exec_lo, exec_lo, s5
	s_and_saveexec_b32 s0, s4
	s_cbranch_execz .LBB11_1792
; %bb.1791:
	v_and_b32_e32 v3, 0xffff, v2
	v_lshlrev_b32_e32 v2, 24, v2
	s_delay_alu instid0(VALU_DEP_2) | instskip(NEXT) | instid1(VALU_DEP_2)
	v_and_b32_e32 v4, 7, v3
	v_and_b32_e32 v2, 0x80000000, v2
	s_delay_alu instid0(VALU_DEP_2) | instskip(NEXT) | instid1(VALU_DEP_1)
	v_clz_i32_u32_e32 v5, v4
	v_min_u32_e32 v5, 32, v5
	s_delay_alu instid0(VALU_DEP_1) | instskip(SKIP_1) | instid1(VALU_DEP_2)
	v_subrev_nc_u32_e32 v6, 28, v5
	v_sub_nc_u32_e32 v5, 29, v5
	v_lshlrev_b32_e32 v6, v6, v3
	v_bfe_u32 v3, v3, 3, 4
	s_delay_alu instid0(VALU_DEP_2) | instskip(NEXT) | instid1(VALU_DEP_2)
	v_and_b32_e32 v6, 7, v6
	v_cmp_eq_u32_e32 vcc_lo, 0, v3
	s_delay_alu instid0(VALU_DEP_2) | instskip(NEXT) | instid1(VALU_DEP_1)
	v_dual_cndmask_b32 v3, v3, v5 :: v_dual_cndmask_b32 v4, v4, v6
	v_lshl_add_u32 v3, v3, 23, 0x3b800000
	s_delay_alu instid0(VALU_DEP_2) | instskip(NEXT) | instid1(VALU_DEP_1)
	v_lshlrev_b32_e32 v4, 20, v4
	v_or3_b32 v2, v2, v3, v4
	s_delay_alu instid0(VALU_DEP_1)
	v_cvt_f64_f32_e32 v[56:57], v2
.LBB11_1792:
	s_or_b32 exec_lo, exec_lo, s0
.LBB11_1793:
	s_mov_b32 s0, -1
.LBB11_1794:
	s_branch .LBB11_1825
.LBB11_1795:
	v_cmp_gt_i16_e64 s1, s51, 22
	s_delay_alu instid0(VALU_DEP_1)
	s_and_b32 vcc_lo, exec_lo, s1
	s_cbranch_vccz .LBB11_1807
; %bb.1796:
	v_cmp_lt_i16_e64 s0, s51, 24
	s_delay_alu instid0(VALU_DEP_1)
	s_and_b32 vcc_lo, exec_lo, s0
	s_cbranch_vccnz .LBB11_1808
; %bb.1797:
	v_cmp_gt_i16_e64 s0, s51, 24
	s_delay_alu instid0(VALU_DEP_1)
	s_and_b32 vcc_lo, exec_lo, s0
	s_cbranch_vccz .LBB11_1809
; %bb.1798:
	global_load_u8 v2, v[0:1], off
	s_mov_b32 s4, exec_lo
                                        ; implicit-def: $sgpr0_sgpr1
	s_waitcnt vmcnt(0)
	v_cmpx_lt_i16_e32 0x7f, v2
	s_xor_b32 s4, exec_lo, s4
	s_cbranch_execz .LBB11_1802
; %bb.1799:
	s_mov_b32 s5, -1
	s_mov_b32 s3, exec_lo
                                        ; implicit-def: $sgpr0_sgpr1
	v_cmpx_eq_u16_e32 0x80, v2
; %bb.1800:
	s_mov_b32 s1, 0x7ff80000
	s_brev_b32 s0, 4
	s_xor_b32 s5, exec_lo, -1
; %bb.1801:
	s_or_b32 exec_lo, exec_lo, s3
	s_delay_alu instid0(SALU_CYCLE_1)
	s_and_b32 s3, s5, exec_lo
.LBB11_1802:
	s_or_saveexec_b32 s4, s4
	v_dual_mov_b32 v57, s1 :: v_dual_mov_b32 v56, s0
	s_xor_b32 exec_lo, exec_lo, s4
; %bb.1803:
	v_cmp_ne_u16_e32 vcc_lo, 0, v2
	v_mov_b32_e32 v56, 0
	v_mov_b32_e32 v57, 0
	s_and_not1_b32 s0, s3, exec_lo
	s_and_b32 s1, vcc_lo, exec_lo
	s_delay_alu instid0(SALU_CYCLE_1)
	s_or_b32 s3, s0, s1
; %bb.1804:
	s_or_b32 exec_lo, exec_lo, s4
	s_and_saveexec_b32 s0, s3
	s_cbranch_execz .LBB11_1806
; %bb.1805:
	v_and_b32_e32 v3, 0xffff, v2
	v_lshlrev_b32_e32 v2, 24, v2
	s_delay_alu instid0(VALU_DEP_2) | instskip(NEXT) | instid1(VALU_DEP_2)
	v_and_b32_e32 v4, 3, v3
	v_and_b32_e32 v2, 0x80000000, v2
	s_delay_alu instid0(VALU_DEP_2) | instskip(NEXT) | instid1(VALU_DEP_1)
	v_clz_i32_u32_e32 v5, v4
	v_min_u32_e32 v5, 32, v5
	s_delay_alu instid0(VALU_DEP_1) | instskip(SKIP_1) | instid1(VALU_DEP_2)
	v_subrev_nc_u32_e32 v6, 29, v5
	v_sub_nc_u32_e32 v5, 30, v5
	v_lshlrev_b32_e32 v6, v6, v3
	v_bfe_u32 v3, v3, 2, 5
	s_delay_alu instid0(VALU_DEP_2) | instskip(NEXT) | instid1(VALU_DEP_2)
	v_and_b32_e32 v6, 3, v6
	v_cmp_eq_u32_e32 vcc_lo, 0, v3
	s_delay_alu instid0(VALU_DEP_2) | instskip(NEXT) | instid1(VALU_DEP_1)
	v_dual_cndmask_b32 v3, v3, v5 :: v_dual_cndmask_b32 v4, v4, v6
	v_lshl_add_u32 v3, v3, 23, 0x37800000
	s_delay_alu instid0(VALU_DEP_2) | instskip(NEXT) | instid1(VALU_DEP_1)
	v_lshlrev_b32_e32 v4, 21, v4
	v_or3_b32 v2, v2, v3, v4
	s_delay_alu instid0(VALU_DEP_1)
	v_cvt_f64_f32_e32 v[56:57], v2
.LBB11_1806:
	s_or_b32 exec_lo, exec_lo, s0
	s_mov_b32 s0, 0
	s_branch .LBB11_1810
.LBB11_1807:
	s_mov_b32 s1, -1
                                        ; implicit-def: $vgpr56_vgpr57
	s_branch .LBB11_1816
.LBB11_1808:
	s_mov_b32 s0, -1
                                        ; implicit-def: $vgpr56_vgpr57
	s_branch .LBB11_1813
.LBB11_1809:
	s_mov_b32 s0, -1
                                        ; implicit-def: $vgpr56_vgpr57
.LBB11_1810:
	s_delay_alu instid0(SALU_CYCLE_1)
	s_and_b32 vcc_lo, exec_lo, s0
	s_cbranch_vccz .LBB11_1812
; %bb.1811:
	global_load_u8 v2, v[0:1], off
	s_waitcnt vmcnt(0)
	v_lshlrev_b32_e32 v2, 24, v2
	s_delay_alu instid0(VALU_DEP_1) | instskip(NEXT) | instid1(VALU_DEP_1)
	v_and_b32_e32 v3, 0x7f000000, v2
	v_clz_i32_u32_e32 v4, v3
	v_add_nc_u32_e32 v6, 0x1000000, v3
	v_cmp_ne_u32_e32 vcc_lo, 0, v3
	s_delay_alu instid0(VALU_DEP_3) | instskip(NEXT) | instid1(VALU_DEP_1)
	v_min_u32_e32 v4, 32, v4
	v_sub_nc_u32_e64 v4, v4, 4 clamp
	s_delay_alu instid0(VALU_DEP_1) | instskip(SKIP_1) | instid1(VALU_DEP_2)
	v_lshlrev_b32_e32 v5, v4, v3
	v_lshlrev_b32_e32 v4, 23, v4
	v_lshrrev_b32_e32 v5, 4, v5
	s_delay_alu instid0(VALU_DEP_1) | instskip(SKIP_1) | instid1(VALU_DEP_2)
	v_sub_nc_u32_e32 v4, v5, v4
	v_ashrrev_i32_e32 v5, 8, v6
	v_add_nc_u32_e32 v4, 0x3c000000, v4
	s_delay_alu instid0(VALU_DEP_1) | instskip(NEXT) | instid1(VALU_DEP_1)
	v_and_or_b32 v4, 0x7f800000, v5, v4
	v_cndmask_b32_e32 v3, 0, v4, vcc_lo
	s_delay_alu instid0(VALU_DEP_1) | instskip(NEXT) | instid1(VALU_DEP_1)
	v_and_or_b32 v2, 0x80000000, v2, v3
	v_cvt_f64_f32_e32 v[56:57], v2
.LBB11_1812:
	s_mov_b32 s0, 0
.LBB11_1813:
	s_delay_alu instid0(SALU_CYCLE_1)
	s_and_not1_b32 vcc_lo, exec_lo, s0
	s_cbranch_vccnz .LBB11_1815
; %bb.1814:
	global_load_u8 v2, v[0:1], off
	s_waitcnt vmcnt(0)
	v_lshlrev_b32_e32 v3, 25, v2
	v_lshlrev_b16 v2, 8, v2
	s_delay_alu instid0(VALU_DEP_2) | instskip(NEXT) | instid1(VALU_DEP_2)
	v_lshrrev_b32_e32 v4, 4, v3
	v_and_or_b32 v5, 0x7f00, v2, 0.5
	v_bfe_i32 v2, v2, 0, 16
	s_delay_alu instid0(VALU_DEP_3) | instskip(NEXT) | instid1(VALU_DEP_1)
	v_or_b32_e32 v4, 0x70000000, v4
	v_dual_add_f32 v5, -0.5, v5 :: v_dual_mul_f32 v4, 0x7800000, v4
	v_cmp_gt_u32_e32 vcc_lo, 0x8000000, v3
	s_delay_alu instid0(VALU_DEP_2) | instskip(NEXT) | instid1(VALU_DEP_1)
	v_cndmask_b32_e32 v3, v4, v5, vcc_lo
	v_and_or_b32 v2, 0x80000000, v2, v3
	s_delay_alu instid0(VALU_DEP_1)
	v_cvt_f64_f32_e32 v[56:57], v2
.LBB11_1815:
	s_mov_b32 s1, 0
	s_mov_b32 s0, -1
.LBB11_1816:
	s_and_not1_b32 vcc_lo, exec_lo, s1
	s_mov_b32 s3, 0
	s_cbranch_vccnz .LBB11_1825
; %bb.1817:
	v_cmp_gt_i16_e64 s1, s51, 14
	s_delay_alu instid0(VALU_DEP_1)
	s_and_b32 vcc_lo, exec_lo, s1
	s_cbranch_vccz .LBB11_1820
; %bb.1818:
	v_cmp_eq_u16_e64 s1, s51, 15
	s_delay_alu instid0(VALU_DEP_1)
	s_and_b32 vcc_lo, exec_lo, s1
	s_cbranch_vccz .LBB11_1821
; %bb.1819:
	global_load_u16 v2, v[0:1], off
	s_mov_b32 s2, 0
	s_mov_b32 s0, -1
	s_waitcnt vmcnt(0)
	v_lshlrev_b32_e32 v2, 16, v2
	s_delay_alu instid0(VALU_DEP_1)
	v_cvt_f64_f32_e32 v[56:57], v2
	s_branch .LBB11_1822
.LBB11_1820:
	s_mov_b32 s1, -1
                                        ; implicit-def: $vgpr56_vgpr57
	s_branch .LBB11_1823
.LBB11_1821:
	s_mov_b32 s2, -1
                                        ; implicit-def: $vgpr56_vgpr57
.LBB11_1822:
	s_mov_b32 s1, 0
.LBB11_1823:
	s_delay_alu instid0(SALU_CYCLE_1)
	s_and_b32 vcc_lo, exec_lo, s1
	s_cbranch_vccz .LBB11_1825
; %bb.1824:
	v_cmp_ne_u16_e64 s2, s51, 11
	s_mov_b32 s3, -1
                                        ; implicit-def: $vgpr56_vgpr57
.LBB11_1825:
	s_delay_alu instid0(VALU_DEP_1)
	s_and_b32 vcc_lo, exec_lo, s2
	s_cbranch_vccnz .LBB11_1853
; %bb.1826:
	s_and_not1_b32 vcc_lo, exec_lo, s3
	s_cbranch_vccnz .LBB11_1828
.LBB11_1827:
	global_load_u8 v2, v[0:1], off
	v_mov_b32_e32 v56, 0
	s_mov_b32 s0, -1
	s_waitcnt vmcnt(0)
	v_cmp_ne_u16_e32 vcc_lo, 0, v2
	v_cndmask_b32_e64 v57, 0, 0x3ff00000, vcc_lo
.LBB11_1828:
.LBB11_1829:
	s_and_not1_b32 vcc_lo, exec_lo, s0
	s_cbranch_vccnz .LBB11_2653
.LBB11_1830:
	s_bitcmp1_b32 s54, 0
	s_cselect_b32 s0, -1, 0
	s_delay_alu instid0(SALU_CYCLE_1)
	s_xor_b32 s54, s0, -1
	s_mov_b32 s0, -1
	s_and_b32 vcc_lo, exec_lo, s54
	s_cbranch_vccz .LBB11_1832
; %bb.1831:
	s_waitcnt vmcnt(0)
	v_dual_mov_b32 v0, v45 :: v_dual_mov_b32 v1, v46
	s_delay_alu instid0(VALU_DEP_2) | instskip(SKIP_3) | instid1(SALU_CYCLE_1)
	v_dual_mov_b32 v2, v56 :: v_dual_mov_b32 v3, v57
	s_getpc_b64 s[0:1]
	s_add_u32 s0, s0, _ZN12_GLOBAL__N_111calc_igammaIdEET_S1_S1_@rel32@lo+4
	s_addc_u32 s1, s1, _ZN12_GLOBAL__N_111calc_igammaIdEET_S1_S1_@rel32@hi+12
	s_swappc_b64 s[30:31], s[0:1]
	v_dual_mov_b32 v43, v0 :: v_dual_mov_b32 v44, v1
	s_cbranch_execz .LBB11_1833
	s_branch .LBB11_1834
.LBB11_1832:
                                        ; implicit-def: $vgpr43_vgpr44
	s_and_not1_b32 vcc_lo, exec_lo, s0
	s_cbranch_vccnz .LBB11_1834
.LBB11_1833:
	s_waitcnt vmcnt(0)
	v_dual_mov_b32 v0, v45 :: v_dual_mov_b32 v1, v46
	s_delay_alu instid0(VALU_DEP_2) | instskip(SKIP_3) | instid1(SALU_CYCLE_1)
	v_dual_mov_b32 v2, v56 :: v_dual_mov_b32 v3, v57
	s_getpc_b64 s[0:1]
	s_add_u32 s0, s0, _ZN12_GLOBAL__N_112calc_igammacIdEET_S1_S1_@rel32@lo+4
	s_addc_u32 s1, s1, _ZN12_GLOBAL__N_112calc_igammacIdEET_S1_S1_@rel32@hi+12
	s_swappc_b64 s[30:31], s[0:1]
	v_dual_mov_b32 v43, v0 :: v_dual_mov_b32 v44, v1
.LBB11_1834:
	s_lshl_b32 s49, s49, 7
	v_cmp_gt_i16_e32 vcc_lo, 11, v62
	v_add_nc_u32_e32 v60, s49, v58
	s_delay_alu instid0(VALU_DEP_1) | instskip(SKIP_1) | instid1(VALU_DEP_1)
	v_ashrrev_i32_e32 v1, 31, v60
	v_add_co_u32 v0, s0, s46, v60
	v_add_co_ci_u32_e64 v1, s0, s47, v1, s0
	s_cbranch_vccnz .LBB11_1841
; %bb.1835:
	v_cmp_lt_i16_e32 vcc_lo, 25, v62
	s_mov_b32 s3, 0
	s_cbranch_vccz .LBB11_1847
; %bb.1836:
	v_cmp_lt_i16_e32 vcc_lo, 28, v62
	s_cbranch_vccz .LBB11_1849
; %bb.1837:
	v_cmp_lt_i16_e32 vcc_lo, 43, v62
	s_cbranch_vccz .LBB11_1851
; %bb.1838:
	v_cmp_lt_i16_e32 vcc_lo, 45, v62
	s_cbranch_vccz .LBB11_1857
; %bb.1839:
	v_cmp_eq_u16_e32 vcc_lo, 46, v62
	s_mov_b32 s1, 0
	s_cbranch_vccz .LBB11_1900
; %bb.1840:
	global_load_b32 v2, v[0:1], off
	s_mov_b32 s2, 0
	s_mov_b32 s0, -1
	s_waitcnt vmcnt(0)
	v_lshlrev_b32_e32 v2, 16, v2
	s_delay_alu instid0(VALU_DEP_1)
	v_cvt_f64_f32_e32 v[45:46], v2
	s_branch .LBB11_1902
.LBB11_1841:
	s_mov_b32 s0, 0
                                        ; implicit-def: $vgpr45_vgpr46
	s_cbranch_execz .LBB11_1968
; %bb.1842:
	v_cmp_gt_i16_e32 vcc_lo, 5, v62
	s_cbranch_vccnz .LBB11_1848
; %bb.1843:
	v_cmp_gt_i16_e32 vcc_lo, 8, v62
	s_cbranch_vccnz .LBB11_1850
	;; [unrolled: 3-line block ×3, first 2 shown]
; %bb.1845:
	v_cmp_lt_i16_e32 vcc_lo, 9, v62
	s_cbranch_vccz .LBB11_1858
; %bb.1846:
	global_load_b64 v[45:46], v[0:1], off
	s_mov_b32 s0, 0
	s_branch .LBB11_1859
.LBB11_1847:
	s_mov_b32 s1, -1
	s_mov_b32 s0, 0
	s_mov_b32 s2, 0
                                        ; implicit-def: $vgpr45_vgpr46
	s_branch .LBB11_1933
.LBB11_1848:
	s_mov_b32 s0, -1
                                        ; implicit-def: $vgpr45_vgpr46
	s_branch .LBB11_1877
.LBB11_1849:
	s_mov_b32 s1, -1
	s_mov_b32 s0, 0
	s_mov_b32 s2, 0
                                        ; implicit-def: $vgpr45_vgpr46
	s_branch .LBB11_1912
.LBB11_1850:
	s_mov_b32 s0, -1
                                        ; implicit-def: $vgpr45_vgpr46
	s_branch .LBB11_1865
.LBB11_1851:
	s_mov_b32 s1, -1
	s_mov_b32 s0, 0
	s_mov_b32 s2, 0
                                        ; implicit-def: $vgpr45_vgpr46
	s_branch .LBB11_1907
.LBB11_1852:
	s_mov_b32 s0, -1
                                        ; implicit-def: $vgpr45_vgpr46
	s_branch .LBB11_1862
.LBB11_1853:
	s_cbranch_execnz .LBB11_1898
; %bb.1854:
	s_or_b32 s55, s55, exec_lo
                                        ; implicit-def: $vgpr56_vgpr57
	s_cbranch_execz .LBB11_1827
	s_branch .LBB11_1828
.LBB11_1855:
	s_or_saveexec_b32 s4, s4
                                        ; implicit-def: $sgpr5
	s_delay_alu instid0(SALU_CYCLE_1)
	s_xor_b32 exec_lo, exec_lo, s4
	s_cbranch_execz .LBB11_1492
.LBB11_1856:
	v_add_f32_e64 v3, 0x42800000, |v2|
	s_and_not1_b32 s3, s3, exec_lo
	s_mov_b32 s5, 0
	s_delay_alu instid0(VALU_DEP_1) | instskip(NEXT) | instid1(VALU_DEP_1)
	v_and_b32_e32 v3, 0xff, v3
	v_cmp_ne_u32_e32 vcc_lo, 0, v3
	s_and_b32 s6, vcc_lo, exec_lo
	s_delay_alu instid0(SALU_CYCLE_1)
	s_or_b32 s3, s3, s6
	s_or_b32 exec_lo, exec_lo, s4
	v_mov_b32_e32 v7, s5
	s_and_saveexec_b32 s4, s3
	s_cbranch_execnz .LBB11_1493
	s_branch .LBB11_1494
.LBB11_1857:
	s_mov_b32 s1, -1
	s_mov_b32 s0, 0
	s_mov_b32 s2, 0
	s_branch .LBB11_1901
.LBB11_1858:
	s_mov_b32 s0, -1
                                        ; implicit-def: $vgpr45_vgpr46
.LBB11_1859:
	s_delay_alu instid0(SALU_CYCLE_1)
	s_and_not1_b32 vcc_lo, exec_lo, s0
	s_cbranch_vccnz .LBB11_1861
; %bb.1860:
	global_load_b32 v2, v[0:1], off
	s_waitcnt vmcnt(0)
	v_cvt_f64_f32_e32 v[45:46], v2
.LBB11_1861:
	s_mov_b32 s0, 0
.LBB11_1862:
	s_delay_alu instid0(SALU_CYCLE_1)
	s_and_not1_b32 vcc_lo, exec_lo, s0
	s_cbranch_vccnz .LBB11_1864
; %bb.1863:
	global_load_b32 v2, v[0:1], off
	s_waitcnt vmcnt(0)
	v_cvt_f32_f16_e32 v2, v2
	s_delay_alu instid0(VALU_DEP_1)
	v_cvt_f64_f32_e32 v[45:46], v2
.LBB11_1864:
	s_mov_b32 s0, 0
.LBB11_1865:
	s_delay_alu instid0(SALU_CYCLE_1)
	s_and_not1_b32 vcc_lo, exec_lo, s0
	s_cbranch_vccnz .LBB11_1876
; %bb.1866:
	v_cmp_gt_i16_e32 vcc_lo, 6, v62
	s_cbranch_vccnz .LBB11_1869
; %bb.1867:
	v_cmp_lt_i16_e32 vcc_lo, 6, v62
	s_cbranch_vccz .LBB11_1870
; %bb.1868:
	global_load_b64 v[45:46], v[0:1], off
	s_mov_b32 s0, 0
	s_branch .LBB11_1871
.LBB11_1869:
	s_mov_b32 s0, -1
                                        ; implicit-def: $vgpr45_vgpr46
	s_branch .LBB11_1874
.LBB11_1870:
	s_mov_b32 s0, -1
                                        ; implicit-def: $vgpr45_vgpr46
.LBB11_1871:
	s_delay_alu instid0(SALU_CYCLE_1)
	s_and_not1_b32 vcc_lo, exec_lo, s0
	s_cbranch_vccnz .LBB11_1873
; %bb.1872:
	global_load_b32 v2, v[0:1], off
	s_waitcnt vmcnt(0)
	v_cvt_f64_f32_e32 v[45:46], v2
.LBB11_1873:
	s_mov_b32 s0, 0
.LBB11_1874:
	s_delay_alu instid0(SALU_CYCLE_1)
	s_and_not1_b32 vcc_lo, exec_lo, s0
	s_cbranch_vccnz .LBB11_1876
; %bb.1875:
	global_load_u16 v2, v[0:1], off
	s_waitcnt vmcnt(0)
	v_cvt_f32_f16_e32 v2, v2
	s_delay_alu instid0(VALU_DEP_1)
	v_cvt_f64_f32_e32 v[45:46], v2
.LBB11_1876:
	s_mov_b32 s0, 0
.LBB11_1877:
	s_delay_alu instid0(SALU_CYCLE_1)
	s_and_not1_b32 vcc_lo, exec_lo, s0
	s_cbranch_vccnz .LBB11_1897
; %bb.1878:
	v_cmp_gt_i16_e32 vcc_lo, 2, v62
	s_cbranch_vccnz .LBB11_1882
; %bb.1879:
	v_cmp_gt_i16_e32 vcc_lo, 3, v62
	s_cbranch_vccnz .LBB11_1883
; %bb.1880:
	v_cmp_lt_i16_e32 vcc_lo, 3, v62
	s_cbranch_vccz .LBB11_1884
; %bb.1881:
	global_load_b64 v[2:3], v[0:1], off
	s_mov_b32 s0, 0
	s_waitcnt vmcnt(0)
	v_cvt_f64_i32_e32 v[3:4], v3
	v_cvt_f64_u32_e32 v[5:6], v2
	s_delay_alu instid0(VALU_DEP_2) | instskip(NEXT) | instid1(VALU_DEP_1)
	v_ldexp_f64 v[3:4], v[3:4], 32
	v_add_f64 v[45:46], v[3:4], v[5:6]
	s_branch .LBB11_1885
.LBB11_1882:
	s_mov_b32 s0, -1
                                        ; implicit-def: $vgpr45_vgpr46
	s_branch .LBB11_1891
.LBB11_1883:
	s_mov_b32 s0, -1
                                        ; implicit-def: $vgpr45_vgpr46
	s_branch .LBB11_1888
.LBB11_1884:
	s_mov_b32 s0, -1
                                        ; implicit-def: $vgpr45_vgpr46
.LBB11_1885:
	s_delay_alu instid0(SALU_CYCLE_1)
	s_and_not1_b32 vcc_lo, exec_lo, s0
	s_cbranch_vccnz .LBB11_1887
; %bb.1886:
	global_load_b32 v2, v[0:1], off
	s_waitcnt vmcnt(0)
	v_cvt_f64_i32_e32 v[45:46], v2
.LBB11_1887:
	s_mov_b32 s0, 0
.LBB11_1888:
	s_delay_alu instid0(SALU_CYCLE_1)
	s_and_not1_b32 vcc_lo, exec_lo, s0
	s_cbranch_vccnz .LBB11_1890
; %bb.1889:
	global_load_i16 v2, v[0:1], off
	s_waitcnt vmcnt(0)
	v_cvt_f64_i32_e32 v[45:46], v2
.LBB11_1890:
	s_mov_b32 s0, 0
.LBB11_1891:
	s_delay_alu instid0(SALU_CYCLE_1)
	s_and_not1_b32 vcc_lo, exec_lo, s0
	s_cbranch_vccnz .LBB11_1897
; %bb.1892:
	v_cmp_lt_i16_e32 vcc_lo, 0, v62
	s_mov_b32 s0, 0
	s_cbranch_vccz .LBB11_1894
; %bb.1893:
	global_load_i8 v2, v[0:1], off
	s_waitcnt vmcnt(0)
	v_cvt_f64_i32_e32 v[45:46], v2
	s_branch .LBB11_1895
.LBB11_1894:
	s_mov_b32 s0, -1
                                        ; implicit-def: $vgpr45_vgpr46
.LBB11_1895:
	s_delay_alu instid0(SALU_CYCLE_1)
	s_and_not1_b32 vcc_lo, exec_lo, s0
	s_cbranch_vccnz .LBB11_1897
; %bb.1896:
	global_load_u8 v0, v[0:1], off
	s_waitcnt vmcnt(0)
	v_cvt_f64_u32_e32 v[45:46], v0
.LBB11_1897:
	s_branch .LBB11_1969
.LBB11_1898:
	s_trap 2
	s_sendmsg_rtn_b32 s0, sendmsg(MSG_RTN_GET_DOORBELL)
	s_mov_b32 ttmp2, m0
	s_waitcnt lgkmcnt(0)
	s_and_b32 s0, s0, 0x3ff
	s_delay_alu instid0(SALU_CYCLE_1) | instskip(NEXT) | instid1(SALU_CYCLE_1)
	s_bitset1_b32 s0, 10
	s_mov_b32 m0, s0
	s_sendmsg sendmsg(MSG_INTERRUPT)
	s_mov_b32 m0, ttmp2
.LBB11_1899:                            ; =>This Inner Loop Header: Depth=1
	s_sethalt 5
	s_branch .LBB11_1899
.LBB11_1900:
	s_mov_b32 s2, -1
	s_mov_b32 s0, 0
.LBB11_1901:
                                        ; implicit-def: $vgpr45_vgpr46
.LBB11_1902:
	s_and_b32 vcc_lo, exec_lo, s1
	s_cbranch_vccz .LBB11_1906
; %bb.1903:
	v_cmp_eq_u16_e32 vcc_lo, 44, v62
	s_cbranch_vccz .LBB11_1905
; %bb.1904:
	global_load_u8 v4, v[0:1], off
	s_mov_b32 s2, 0
	s_mov_b32 s0, -1
	s_waitcnt vmcnt(0)
	v_cmp_ne_u32_e32 vcc_lo, 0xff, v4
	v_lshlrev_b32_e32 v2, 23, v4
	s_delay_alu instid0(VALU_DEP_1) | instskip(NEXT) | instid1(VALU_DEP_1)
	v_cvt_f64_f32_e32 v[2:3], v2
	v_cndmask_b32_e32 v3, 0x7ff80000, v3, vcc_lo
	s_delay_alu instid0(VALU_DEP_2) | instskip(SKIP_1) | instid1(VALU_DEP_3)
	v_cndmask_b32_e32 v2, 0x20000000, v2, vcc_lo
	v_cmp_ne_u32_e32 vcc_lo, 0, v4
	v_cndmask_b32_e32 v46, 0x38000000, v3, vcc_lo
	s_delay_alu instid0(VALU_DEP_3)
	v_cndmask_b32_e32 v45, 0, v2, vcc_lo
	s_branch .LBB11_1906
.LBB11_1905:
	s_mov_b32 s2, -1
                                        ; implicit-def: $vgpr45_vgpr46
.LBB11_1906:
	s_mov_b32 s1, 0
.LBB11_1907:
	s_delay_alu instid0(SALU_CYCLE_1)
	s_and_b32 vcc_lo, exec_lo, s1
	s_cbranch_vccz .LBB11_1911
; %bb.1908:
	v_cmp_eq_u16_e32 vcc_lo, 29, v62
	s_cbranch_vccz .LBB11_1910
; %bb.1909:
	global_load_b64 v[2:3], v[0:1], off
	s_mov_b32 s2, 0
	s_mov_b32 s0, -1
	s_mov_b32 s1, 0
	s_waitcnt vmcnt(0)
	v_cvt_f64_u32_e32 v[3:4], v3
	v_cvt_f64_u32_e32 v[5:6], v2
	s_delay_alu instid0(VALU_DEP_2) | instskip(NEXT) | instid1(VALU_DEP_1)
	v_ldexp_f64 v[3:4], v[3:4], 32
	v_add_f64 v[45:46], v[3:4], v[5:6]
	s_branch .LBB11_1912
.LBB11_1910:
	s_mov_b32 s2, -1
                                        ; implicit-def: $vgpr45_vgpr46
.LBB11_1911:
	s_mov_b32 s1, 0
.LBB11_1912:
	s_delay_alu instid0(SALU_CYCLE_1)
	s_and_b32 vcc_lo, exec_lo, s1
	s_cbranch_vccz .LBB11_1932
; %bb.1913:
	v_cmp_gt_i16_e32 vcc_lo, 27, v62
	s_cbranch_vccnz .LBB11_1916
; %bb.1914:
	v_cmp_lt_i16_e32 vcc_lo, 27, v62
	s_cbranch_vccz .LBB11_1917
; %bb.1915:
	global_load_b32 v2, v[0:1], off
	s_mov_b32 s0, 0
	s_waitcnt vmcnt(0)
	v_cvt_f64_u32_e32 v[45:46], v2
	s_branch .LBB11_1918
.LBB11_1916:
	s_mov_b32 s0, -1
                                        ; implicit-def: $vgpr45_vgpr46
	s_branch .LBB11_1921
.LBB11_1917:
	s_mov_b32 s0, -1
                                        ; implicit-def: $vgpr45_vgpr46
.LBB11_1918:
	s_delay_alu instid0(SALU_CYCLE_1)
	s_and_not1_b32 vcc_lo, exec_lo, s0
	s_cbranch_vccnz .LBB11_1920
; %bb.1919:
	global_load_u16 v2, v[0:1], off
	s_waitcnt vmcnt(0)
	v_cvt_f64_u32_e32 v[45:46], v2
.LBB11_1920:
	s_mov_b32 s0, 0
.LBB11_1921:
	s_delay_alu instid0(SALU_CYCLE_1)
	s_and_not1_b32 vcc_lo, exec_lo, s0
	s_cbranch_vccnz .LBB11_1931
; %bb.1922:
	global_load_u8 v2, v[0:1], off
	s_mov_b32 s4, 0
	s_mov_b32 s5, exec_lo
                                        ; implicit-def: $sgpr0_sgpr1
	s_waitcnt vmcnt(0)
	v_cmpx_lt_i16_e32 0x7f, v2
	s_xor_b32 s5, exec_lo, s5
	s_cbranch_execz .LBB11_1926
; %bb.1923:
	s_mov_b32 s6, -1
	s_mov_b32 s4, exec_lo
                                        ; implicit-def: $sgpr0_sgpr1
	v_cmpx_eq_u16_e32 0x80, v2
; %bb.1924:
	s_mov_b32 s1, 0x7ff80000
	s_brev_b32 s0, 4
	s_xor_b32 s6, exec_lo, -1
; %bb.1925:
	s_or_b32 exec_lo, exec_lo, s4
	s_delay_alu instid0(SALU_CYCLE_1)
	s_and_b32 s4, s6, exec_lo
.LBB11_1926:
	s_or_saveexec_b32 s5, s5
	v_dual_mov_b32 v46, s1 :: v_dual_mov_b32 v45, s0
	s_xor_b32 exec_lo, exec_lo, s5
; %bb.1927:
	v_cmp_ne_u16_e32 vcc_lo, 0, v2
	v_mov_b32_e32 v45, 0
	v_mov_b32_e32 v46, 0
	s_and_not1_b32 s0, s4, exec_lo
	s_and_b32 s1, vcc_lo, exec_lo
	s_delay_alu instid0(SALU_CYCLE_1)
	s_or_b32 s4, s0, s1
; %bb.1928:
	s_or_b32 exec_lo, exec_lo, s5
	s_and_saveexec_b32 s0, s4
	s_cbranch_execz .LBB11_1930
; %bb.1929:
	v_and_b32_e32 v3, 0xffff, v2
	v_lshlrev_b32_e32 v2, 24, v2
	s_delay_alu instid0(VALU_DEP_2) | instskip(NEXT) | instid1(VALU_DEP_2)
	v_and_b32_e32 v4, 7, v3
	v_and_b32_e32 v2, 0x80000000, v2
	s_delay_alu instid0(VALU_DEP_2) | instskip(NEXT) | instid1(VALU_DEP_1)
	v_clz_i32_u32_e32 v5, v4
	v_min_u32_e32 v5, 32, v5
	s_delay_alu instid0(VALU_DEP_1) | instskip(SKIP_1) | instid1(VALU_DEP_2)
	v_subrev_nc_u32_e32 v6, 28, v5
	v_sub_nc_u32_e32 v5, 29, v5
	v_lshlrev_b32_e32 v6, v6, v3
	v_bfe_u32 v3, v3, 3, 4
	s_delay_alu instid0(VALU_DEP_2) | instskip(NEXT) | instid1(VALU_DEP_2)
	v_and_b32_e32 v6, 7, v6
	v_cmp_eq_u32_e32 vcc_lo, 0, v3
	s_delay_alu instid0(VALU_DEP_2) | instskip(NEXT) | instid1(VALU_DEP_1)
	v_dual_cndmask_b32 v3, v3, v5 :: v_dual_cndmask_b32 v4, v4, v6
	v_lshl_add_u32 v3, v3, 23, 0x3b800000
	s_delay_alu instid0(VALU_DEP_2) | instskip(NEXT) | instid1(VALU_DEP_1)
	v_lshlrev_b32_e32 v4, 20, v4
	v_or3_b32 v2, v2, v3, v4
	s_delay_alu instid0(VALU_DEP_1)
	v_cvt_f64_f32_e32 v[45:46], v2
.LBB11_1930:
	s_or_b32 exec_lo, exec_lo, s0
.LBB11_1931:
	s_mov_b32 s0, -1
.LBB11_1932:
	s_mov_b32 s1, 0
.LBB11_1933:
	s_delay_alu instid0(SALU_CYCLE_1)
	s_and_b32 vcc_lo, exec_lo, s1
	s_cbranch_vccz .LBB11_1964
; %bb.1934:
	v_cmp_lt_i16_e32 vcc_lo, 22, v62
	s_cbranch_vccz .LBB11_1946
; %bb.1935:
	v_cmp_gt_i16_e32 vcc_lo, 24, v62
	s_cbranch_vccnz .LBB11_1947
; %bb.1936:
	v_cmp_lt_i16_e32 vcc_lo, 24, v62
	s_cbranch_vccz .LBB11_1948
; %bb.1937:
	global_load_u8 v2, v[0:1], off
	s_mov_b32 s4, exec_lo
                                        ; implicit-def: $sgpr0_sgpr1
	s_waitcnt vmcnt(0)
	v_cmpx_lt_i16_e32 0x7f, v2
	s_xor_b32 s4, exec_lo, s4
	s_cbranch_execz .LBB11_1941
; %bb.1938:
	s_mov_b32 s5, -1
	s_mov_b32 s3, exec_lo
                                        ; implicit-def: $sgpr0_sgpr1
	v_cmpx_eq_u16_e32 0x80, v2
; %bb.1939:
	s_mov_b32 s1, 0x7ff80000
	s_brev_b32 s0, 4
	s_xor_b32 s5, exec_lo, -1
; %bb.1940:
	s_or_b32 exec_lo, exec_lo, s3
	s_delay_alu instid0(SALU_CYCLE_1)
	s_and_b32 s3, s5, exec_lo
.LBB11_1941:
	s_or_saveexec_b32 s4, s4
	v_dual_mov_b32 v46, s1 :: v_dual_mov_b32 v45, s0
	s_xor_b32 exec_lo, exec_lo, s4
; %bb.1942:
	v_cmp_ne_u16_e32 vcc_lo, 0, v2
	v_mov_b32_e32 v45, 0
	v_mov_b32_e32 v46, 0
	s_and_not1_b32 s0, s3, exec_lo
	s_and_b32 s1, vcc_lo, exec_lo
	s_delay_alu instid0(SALU_CYCLE_1)
	s_or_b32 s3, s0, s1
; %bb.1943:
	s_or_b32 exec_lo, exec_lo, s4
	s_and_saveexec_b32 s0, s3
	s_cbranch_execz .LBB11_1945
; %bb.1944:
	v_and_b32_e32 v3, 0xffff, v2
	v_lshlrev_b32_e32 v2, 24, v2
	s_delay_alu instid0(VALU_DEP_2) | instskip(NEXT) | instid1(VALU_DEP_2)
	v_and_b32_e32 v4, 3, v3
	v_and_b32_e32 v2, 0x80000000, v2
	s_delay_alu instid0(VALU_DEP_2) | instskip(NEXT) | instid1(VALU_DEP_1)
	v_clz_i32_u32_e32 v5, v4
	v_min_u32_e32 v5, 32, v5
	s_delay_alu instid0(VALU_DEP_1) | instskip(SKIP_1) | instid1(VALU_DEP_2)
	v_subrev_nc_u32_e32 v6, 29, v5
	v_sub_nc_u32_e32 v5, 30, v5
	v_lshlrev_b32_e32 v6, v6, v3
	v_bfe_u32 v3, v3, 2, 5
	s_delay_alu instid0(VALU_DEP_2) | instskip(NEXT) | instid1(VALU_DEP_2)
	v_and_b32_e32 v6, 3, v6
	v_cmp_eq_u32_e32 vcc_lo, 0, v3
	s_delay_alu instid0(VALU_DEP_2) | instskip(NEXT) | instid1(VALU_DEP_1)
	v_dual_cndmask_b32 v3, v3, v5 :: v_dual_cndmask_b32 v4, v4, v6
	v_lshl_add_u32 v3, v3, 23, 0x37800000
	s_delay_alu instid0(VALU_DEP_2) | instskip(NEXT) | instid1(VALU_DEP_1)
	v_lshlrev_b32_e32 v4, 21, v4
	v_or3_b32 v2, v2, v3, v4
	s_delay_alu instid0(VALU_DEP_1)
	v_cvt_f64_f32_e32 v[45:46], v2
.LBB11_1945:
	s_or_b32 exec_lo, exec_lo, s0
	s_mov_b32 s0, 0
	s_branch .LBB11_1949
.LBB11_1946:
	s_mov_b32 s1, -1
                                        ; implicit-def: $vgpr45_vgpr46
	s_branch .LBB11_1955
.LBB11_1947:
	s_mov_b32 s0, -1
                                        ; implicit-def: $vgpr45_vgpr46
	s_branch .LBB11_1952
.LBB11_1948:
	s_mov_b32 s0, -1
                                        ; implicit-def: $vgpr45_vgpr46
.LBB11_1949:
	s_delay_alu instid0(SALU_CYCLE_1)
	s_and_b32 vcc_lo, exec_lo, s0
	s_cbranch_vccz .LBB11_1951
; %bb.1950:
	global_load_u8 v2, v[0:1], off
	s_waitcnt vmcnt(0)
	v_lshlrev_b32_e32 v2, 24, v2
	s_delay_alu instid0(VALU_DEP_1) | instskip(NEXT) | instid1(VALU_DEP_1)
	v_and_b32_e32 v3, 0x7f000000, v2
	v_clz_i32_u32_e32 v4, v3
	v_add_nc_u32_e32 v6, 0x1000000, v3
	v_cmp_ne_u32_e32 vcc_lo, 0, v3
	s_delay_alu instid0(VALU_DEP_3) | instskip(NEXT) | instid1(VALU_DEP_1)
	v_min_u32_e32 v4, 32, v4
	v_sub_nc_u32_e64 v4, v4, 4 clamp
	s_delay_alu instid0(VALU_DEP_1) | instskip(SKIP_1) | instid1(VALU_DEP_2)
	v_lshlrev_b32_e32 v5, v4, v3
	v_lshlrev_b32_e32 v4, 23, v4
	v_lshrrev_b32_e32 v5, 4, v5
	s_delay_alu instid0(VALU_DEP_1) | instskip(SKIP_1) | instid1(VALU_DEP_2)
	v_sub_nc_u32_e32 v4, v5, v4
	v_ashrrev_i32_e32 v5, 8, v6
	v_add_nc_u32_e32 v4, 0x3c000000, v4
	s_delay_alu instid0(VALU_DEP_1) | instskip(NEXT) | instid1(VALU_DEP_1)
	v_and_or_b32 v4, 0x7f800000, v5, v4
	v_cndmask_b32_e32 v3, 0, v4, vcc_lo
	s_delay_alu instid0(VALU_DEP_1) | instskip(NEXT) | instid1(VALU_DEP_1)
	v_and_or_b32 v2, 0x80000000, v2, v3
	v_cvt_f64_f32_e32 v[45:46], v2
.LBB11_1951:
	s_mov_b32 s0, 0
.LBB11_1952:
	s_delay_alu instid0(SALU_CYCLE_1)
	s_and_not1_b32 vcc_lo, exec_lo, s0
	s_cbranch_vccnz .LBB11_1954
; %bb.1953:
	global_load_u8 v2, v[0:1], off
	s_waitcnt vmcnt(0)
	v_lshlrev_b32_e32 v3, 25, v2
	v_lshlrev_b16 v2, 8, v2
	s_delay_alu instid0(VALU_DEP_2) | instskip(NEXT) | instid1(VALU_DEP_2)
	v_lshrrev_b32_e32 v4, 4, v3
	v_and_or_b32 v5, 0x7f00, v2, 0.5
	v_bfe_i32 v2, v2, 0, 16
	s_delay_alu instid0(VALU_DEP_3) | instskip(NEXT) | instid1(VALU_DEP_1)
	v_or_b32_e32 v4, 0x70000000, v4
	v_dual_add_f32 v5, -0.5, v5 :: v_dual_mul_f32 v4, 0x7800000, v4
	v_cmp_gt_u32_e32 vcc_lo, 0x8000000, v3
	s_delay_alu instid0(VALU_DEP_2) | instskip(NEXT) | instid1(VALU_DEP_1)
	v_cndmask_b32_e32 v3, v4, v5, vcc_lo
	v_and_or_b32 v2, 0x80000000, v2, v3
	s_delay_alu instid0(VALU_DEP_1)
	v_cvt_f64_f32_e32 v[45:46], v2
.LBB11_1954:
	s_mov_b32 s1, 0
	s_mov_b32 s0, -1
.LBB11_1955:
	s_and_not1_b32 vcc_lo, exec_lo, s1
	s_mov_b32 s3, 0
	s_cbranch_vccnz .LBB11_1964
; %bb.1956:
	v_cmp_lt_i16_e32 vcc_lo, 14, v62
	s_cbranch_vccz .LBB11_1959
; %bb.1957:
	v_cmp_eq_u16_e32 vcc_lo, 15, v62
	s_cbranch_vccz .LBB11_1960
; %bb.1958:
	global_load_u16 v2, v[0:1], off
	s_mov_b32 s2, 0
	s_mov_b32 s0, -1
	s_waitcnt vmcnt(0)
	v_lshlrev_b32_e32 v2, 16, v2
	s_delay_alu instid0(VALU_DEP_1)
	v_cvt_f64_f32_e32 v[45:46], v2
	s_branch .LBB11_1961
.LBB11_1959:
	s_mov_b32 s1, -1
                                        ; implicit-def: $vgpr45_vgpr46
	s_branch .LBB11_1962
.LBB11_1960:
	s_mov_b32 s2, -1
                                        ; implicit-def: $vgpr45_vgpr46
.LBB11_1961:
	s_mov_b32 s1, 0
.LBB11_1962:
	s_delay_alu instid0(SALU_CYCLE_1)
	s_and_b32 vcc_lo, exec_lo, s1
	s_cbranch_vccz .LBB11_1964
; %bb.1963:
	v_cmp_ne_u16_e64 s2, 11, v62
	s_mov_b32 s3, -1
                                        ; implicit-def: $vgpr45_vgpr46
.LBB11_1964:
	s_delay_alu instid0(VALU_DEP_1)
	s_and_b32 vcc_lo, exec_lo, s2
	s_cbranch_vccnz .LBB11_1980
; %bb.1965:
	s_and_not1_b32 vcc_lo, exec_lo, s3
	s_cbranch_vccnz .LBB11_1967
.LBB11_1966:
	global_load_u8 v2, v[0:1], off
	s_waitcnt vmcnt(1)
	v_mov_b32_e32 v45, 0
	s_mov_b32 s0, -1
	s_waitcnt vmcnt(0)
	v_cmp_ne_u16_e32 vcc_lo, 0, v2
	v_cndmask_b32_e64 v46, 0, 0x3ff00000, vcc_lo
.LBB11_1967:
.LBB11_1968:
	s_and_not1_b32 vcc_lo, exec_lo, s0
	s_cbranch_vccnz .LBB11_2653
.LBB11_1969:
	s_lshl_b32 s50, s50, 7
	v_cmp_lt_i16_e64 s0, s51, 11
	v_add_nc_u32_e32 v61, s50, v59
	s_delay_alu instid0(VALU_DEP_1) | instskip(SKIP_1) | instid1(VALU_DEP_2)
	v_ashrrev_i32_e32 v1, 31, v61
	v_add_co_u32 v0, vcc_lo, s52, v61
	v_add_co_ci_u32_e32 v1, vcc_lo, s53, v1, vcc_lo
	s_and_b32 vcc_lo, exec_lo, s0
	s_cbranch_vccnz .LBB11_1976
; %bb.1970:
	v_cmp_gt_i16_e64 s0, s51, 25
	s_mov_b32 s3, 0
	s_delay_alu instid0(VALU_DEP_1)
	s_and_b32 vcc_lo, exec_lo, s0
	s_cbranch_vccz .LBB11_1977
; %bb.1971:
	v_cmp_gt_i16_e64 s0, s51, 28
	s_delay_alu instid0(VALU_DEP_1)
	s_and_b32 vcc_lo, exec_lo, s0
	s_cbranch_vccz .LBB11_1978
; %bb.1972:
	v_cmp_gt_i16_e64 s0, s51, 43
	;; [unrolled: 5-line block ×3, first 2 shown]
	s_delay_alu instid0(VALU_DEP_1)
	s_and_b32 vcc_lo, exec_lo, s0
	s_cbranch_vccz .LBB11_1982
; %bb.1974:
	v_cmp_eq_u16_e64 s0, s51, 46
	s_mov_b32 s1, 0
	s_delay_alu instid0(VALU_DEP_1)
	s_and_b32 vcc_lo, exec_lo, s0
	s_cbranch_vccz .LBB11_1985
; %bb.1975:
	global_load_b32 v2, v[0:1], off
	s_mov_b32 s2, 0
	s_mov_b32 s0, -1
	s_waitcnt vmcnt(0)
	v_lshlrev_b32_e32 v2, 16, v2
	s_delay_alu instid0(VALU_DEP_1)
	v_cvt_f64_f32_e32 v[58:59], v2
	s_branch .LBB11_1987
.LBB11_1976:
	s_mov_b32 s1, -1
	s_mov_b32 s0, 0
                                        ; implicit-def: $vgpr58_vgpr59
	s_branch .LBB11_2053
.LBB11_1977:
	s_mov_b32 s1, -1
	s_mov_b32 s0, 0
	s_mov_b32 s2, 0
                                        ; implicit-def: $vgpr58_vgpr59
	s_branch .LBB11_2018
.LBB11_1978:
	s_mov_b32 s1, -1
	s_mov_b32 s0, 0
	s_mov_b32 s2, 0
                                        ; implicit-def: $vgpr58_vgpr59
	s_branch .LBB11_1997
.LBB11_1979:
	s_mov_b32 s1, -1
	s_mov_b32 s0, 0
	s_mov_b32 s2, 0
                                        ; implicit-def: $vgpr58_vgpr59
	s_branch .LBB11_1992
.LBB11_1980:
	s_cbranch_execnz .LBB11_1983
; %bb.1981:
	s_or_b32 s55, s55, exec_lo
                                        ; implicit-def: $vgpr45_vgpr46
	s_cbranch_execz .LBB11_1966
	s_branch .LBB11_1967
.LBB11_1982:
	s_mov_b32 s1, -1
	s_mov_b32 s0, 0
	s_mov_b32 s2, 0
	s_branch .LBB11_1986
.LBB11_1983:
	s_trap 2
	s_sendmsg_rtn_b32 s0, sendmsg(MSG_RTN_GET_DOORBELL)
	s_mov_b32 ttmp2, m0
	s_waitcnt lgkmcnt(0)
	s_and_b32 s0, s0, 0x3ff
	s_delay_alu instid0(SALU_CYCLE_1) | instskip(NEXT) | instid1(SALU_CYCLE_1)
	s_bitset1_b32 s0, 10
	s_mov_b32 m0, s0
	s_sendmsg sendmsg(MSG_INTERRUPT)
	s_mov_b32 m0, ttmp2
.LBB11_1984:                            ; =>This Inner Loop Header: Depth=1
	s_sethalt 5
	s_branch .LBB11_1984
.LBB11_1985:
	s_mov_b32 s2, -1
	s_mov_b32 s0, 0
.LBB11_1986:
                                        ; implicit-def: $vgpr58_vgpr59
.LBB11_1987:
	s_and_b32 vcc_lo, exec_lo, s1
	s_cbranch_vccz .LBB11_1991
; %bb.1988:
	v_cmp_eq_u16_e64 s1, s51, 44
	s_delay_alu instid0(VALU_DEP_1)
	s_and_b32 vcc_lo, exec_lo, s1
	s_cbranch_vccz .LBB11_1990
; %bb.1989:
	global_load_u8 v4, v[0:1], off
	s_mov_b32 s2, 0
	s_mov_b32 s0, -1
	s_waitcnt vmcnt(0)
	v_cmp_ne_u32_e32 vcc_lo, 0xff, v4
	v_lshlrev_b32_e32 v2, 23, v4
	s_delay_alu instid0(VALU_DEP_1) | instskip(NEXT) | instid1(VALU_DEP_1)
	v_cvt_f64_f32_e32 v[2:3], v2
	v_cndmask_b32_e32 v3, 0x7ff80000, v3, vcc_lo
	s_delay_alu instid0(VALU_DEP_2) | instskip(SKIP_1) | instid1(VALU_DEP_3)
	v_cndmask_b32_e32 v2, 0x20000000, v2, vcc_lo
	v_cmp_ne_u32_e32 vcc_lo, 0, v4
	v_cndmask_b32_e32 v59, 0x38000000, v3, vcc_lo
	s_delay_alu instid0(VALU_DEP_3)
	v_cndmask_b32_e32 v58, 0, v2, vcc_lo
	s_branch .LBB11_1991
.LBB11_1990:
	s_mov_b32 s2, -1
                                        ; implicit-def: $vgpr58_vgpr59
.LBB11_1991:
	s_mov_b32 s1, 0
.LBB11_1992:
	s_delay_alu instid0(SALU_CYCLE_1)
	s_and_b32 vcc_lo, exec_lo, s1
	s_cbranch_vccz .LBB11_1996
; %bb.1993:
	v_cmp_eq_u16_e64 s1, s51, 29
	s_delay_alu instid0(VALU_DEP_1)
	s_and_b32 vcc_lo, exec_lo, s1
	s_cbranch_vccz .LBB11_1995
; %bb.1994:
	global_load_b64 v[2:3], v[0:1], off
	s_mov_b32 s2, 0
	s_mov_b32 s0, -1
	s_mov_b32 s1, 0
	s_waitcnt vmcnt(0)
	v_cvt_f64_u32_e32 v[3:4], v3
	v_cvt_f64_u32_e32 v[5:6], v2
	s_delay_alu instid0(VALU_DEP_2) | instskip(NEXT) | instid1(VALU_DEP_1)
	v_ldexp_f64 v[3:4], v[3:4], 32
	v_add_f64 v[58:59], v[3:4], v[5:6]
	s_branch .LBB11_1997
.LBB11_1995:
	s_mov_b32 s2, -1
                                        ; implicit-def: $vgpr58_vgpr59
.LBB11_1996:
	s_mov_b32 s1, 0
.LBB11_1997:
	s_delay_alu instid0(SALU_CYCLE_1)
	s_and_b32 vcc_lo, exec_lo, s1
	s_cbranch_vccz .LBB11_2017
; %bb.1998:
	v_cmp_lt_i16_e64 s0, s51, 27
	s_delay_alu instid0(VALU_DEP_1)
	s_and_b32 vcc_lo, exec_lo, s0
	s_cbranch_vccnz .LBB11_2001
; %bb.1999:
	v_cmp_gt_i16_e64 s0, s51, 27
	s_delay_alu instid0(VALU_DEP_1)
	s_and_b32 vcc_lo, exec_lo, s0
	s_cbranch_vccz .LBB11_2002
; %bb.2000:
	global_load_b32 v2, v[0:1], off
	s_mov_b32 s0, 0
	s_waitcnt vmcnt(0)
	v_cvt_f64_u32_e32 v[58:59], v2
	s_branch .LBB11_2003
.LBB11_2001:
	s_mov_b32 s0, -1
                                        ; implicit-def: $vgpr58_vgpr59
	s_branch .LBB11_2006
.LBB11_2002:
	s_mov_b32 s0, -1
                                        ; implicit-def: $vgpr58_vgpr59
.LBB11_2003:
	s_delay_alu instid0(SALU_CYCLE_1)
	s_and_not1_b32 vcc_lo, exec_lo, s0
	s_cbranch_vccnz .LBB11_2005
; %bb.2004:
	global_load_u16 v2, v[0:1], off
	s_waitcnt vmcnt(0)
	v_cvt_f64_u32_e32 v[58:59], v2
.LBB11_2005:
	s_mov_b32 s0, 0
.LBB11_2006:
	s_delay_alu instid0(SALU_CYCLE_1)
	s_and_not1_b32 vcc_lo, exec_lo, s0
	s_cbranch_vccnz .LBB11_2016
; %bb.2007:
	global_load_u8 v2, v[0:1], off
	s_mov_b32 s4, 0
	s_mov_b32 s5, exec_lo
                                        ; implicit-def: $sgpr0_sgpr1
	s_waitcnt vmcnt(0)
	v_cmpx_lt_i16_e32 0x7f, v2
	s_xor_b32 s5, exec_lo, s5
	s_cbranch_execz .LBB11_2011
; %bb.2008:
	s_mov_b32 s6, -1
	s_mov_b32 s4, exec_lo
                                        ; implicit-def: $sgpr0_sgpr1
	v_cmpx_eq_u16_e32 0x80, v2
; %bb.2009:
	s_mov_b32 s1, 0x7ff80000
	s_brev_b32 s0, 4
	s_xor_b32 s6, exec_lo, -1
; %bb.2010:
	s_or_b32 exec_lo, exec_lo, s4
	s_delay_alu instid0(SALU_CYCLE_1)
	s_and_b32 s4, s6, exec_lo
.LBB11_2011:
	s_or_saveexec_b32 s5, s5
	v_dual_mov_b32 v59, s1 :: v_dual_mov_b32 v58, s0
	s_xor_b32 exec_lo, exec_lo, s5
; %bb.2012:
	v_cmp_ne_u16_e32 vcc_lo, 0, v2
	v_mov_b32_e32 v58, 0
	v_mov_b32_e32 v59, 0
	s_and_not1_b32 s0, s4, exec_lo
	s_and_b32 s1, vcc_lo, exec_lo
	s_delay_alu instid0(SALU_CYCLE_1)
	s_or_b32 s4, s0, s1
; %bb.2013:
	s_or_b32 exec_lo, exec_lo, s5
	s_and_saveexec_b32 s0, s4
	s_cbranch_execz .LBB11_2015
; %bb.2014:
	v_and_b32_e32 v3, 0xffff, v2
	v_lshlrev_b32_e32 v2, 24, v2
	s_delay_alu instid0(VALU_DEP_2) | instskip(NEXT) | instid1(VALU_DEP_2)
	v_and_b32_e32 v4, 7, v3
	v_and_b32_e32 v2, 0x80000000, v2
	s_delay_alu instid0(VALU_DEP_2) | instskip(NEXT) | instid1(VALU_DEP_1)
	v_clz_i32_u32_e32 v5, v4
	v_min_u32_e32 v5, 32, v5
	s_delay_alu instid0(VALU_DEP_1) | instskip(SKIP_1) | instid1(VALU_DEP_2)
	v_subrev_nc_u32_e32 v6, 28, v5
	v_sub_nc_u32_e32 v5, 29, v5
	v_lshlrev_b32_e32 v6, v6, v3
	v_bfe_u32 v3, v3, 3, 4
	s_delay_alu instid0(VALU_DEP_2) | instskip(NEXT) | instid1(VALU_DEP_2)
	v_and_b32_e32 v6, 7, v6
	v_cmp_eq_u32_e32 vcc_lo, 0, v3
	s_delay_alu instid0(VALU_DEP_2) | instskip(NEXT) | instid1(VALU_DEP_1)
	v_dual_cndmask_b32 v3, v3, v5 :: v_dual_cndmask_b32 v4, v4, v6
	v_lshl_add_u32 v3, v3, 23, 0x3b800000
	s_delay_alu instid0(VALU_DEP_2) | instskip(NEXT) | instid1(VALU_DEP_1)
	v_lshlrev_b32_e32 v4, 20, v4
	v_or3_b32 v2, v2, v3, v4
	s_delay_alu instid0(VALU_DEP_1)
	v_cvt_f64_f32_e32 v[58:59], v2
.LBB11_2015:
	s_or_b32 exec_lo, exec_lo, s0
.LBB11_2016:
	s_mov_b32 s0, -1
.LBB11_2017:
	s_mov_b32 s1, 0
.LBB11_2018:
	s_delay_alu instid0(SALU_CYCLE_1)
	s_and_b32 vcc_lo, exec_lo, s1
	s_cbranch_vccz .LBB11_2049
; %bb.2019:
	v_cmp_gt_i16_e64 s1, s51, 22
	s_delay_alu instid0(VALU_DEP_1)
	s_and_b32 vcc_lo, exec_lo, s1
	s_cbranch_vccz .LBB11_2031
; %bb.2020:
	v_cmp_lt_i16_e64 s0, s51, 24
	s_delay_alu instid0(VALU_DEP_1)
	s_and_b32 vcc_lo, exec_lo, s0
	s_cbranch_vccnz .LBB11_2032
; %bb.2021:
	v_cmp_gt_i16_e64 s0, s51, 24
	s_delay_alu instid0(VALU_DEP_1)
	s_and_b32 vcc_lo, exec_lo, s0
	s_cbranch_vccz .LBB11_2033
; %bb.2022:
	global_load_u8 v2, v[0:1], off
	s_mov_b32 s4, exec_lo
                                        ; implicit-def: $sgpr0_sgpr1
	s_waitcnt vmcnt(0)
	v_cmpx_lt_i16_e32 0x7f, v2
	s_xor_b32 s4, exec_lo, s4
	s_cbranch_execz .LBB11_2026
; %bb.2023:
	s_mov_b32 s5, -1
	s_mov_b32 s3, exec_lo
                                        ; implicit-def: $sgpr0_sgpr1
	v_cmpx_eq_u16_e32 0x80, v2
; %bb.2024:
	s_mov_b32 s1, 0x7ff80000
	s_brev_b32 s0, 4
	s_xor_b32 s5, exec_lo, -1
; %bb.2025:
	s_or_b32 exec_lo, exec_lo, s3
	s_delay_alu instid0(SALU_CYCLE_1)
	s_and_b32 s3, s5, exec_lo
.LBB11_2026:
	s_or_saveexec_b32 s4, s4
	v_dual_mov_b32 v59, s1 :: v_dual_mov_b32 v58, s0
	s_xor_b32 exec_lo, exec_lo, s4
; %bb.2027:
	v_cmp_ne_u16_e32 vcc_lo, 0, v2
	v_mov_b32_e32 v58, 0
	v_mov_b32_e32 v59, 0
	s_and_not1_b32 s0, s3, exec_lo
	s_and_b32 s1, vcc_lo, exec_lo
	s_delay_alu instid0(SALU_CYCLE_1)
	s_or_b32 s3, s0, s1
; %bb.2028:
	s_or_b32 exec_lo, exec_lo, s4
	s_and_saveexec_b32 s0, s3
	s_cbranch_execz .LBB11_2030
; %bb.2029:
	v_and_b32_e32 v3, 0xffff, v2
	v_lshlrev_b32_e32 v2, 24, v2
	s_delay_alu instid0(VALU_DEP_2) | instskip(NEXT) | instid1(VALU_DEP_2)
	v_and_b32_e32 v4, 3, v3
	v_and_b32_e32 v2, 0x80000000, v2
	s_delay_alu instid0(VALU_DEP_2) | instskip(NEXT) | instid1(VALU_DEP_1)
	v_clz_i32_u32_e32 v5, v4
	v_min_u32_e32 v5, 32, v5
	s_delay_alu instid0(VALU_DEP_1) | instskip(SKIP_1) | instid1(VALU_DEP_2)
	v_subrev_nc_u32_e32 v6, 29, v5
	v_sub_nc_u32_e32 v5, 30, v5
	v_lshlrev_b32_e32 v6, v6, v3
	v_bfe_u32 v3, v3, 2, 5
	s_delay_alu instid0(VALU_DEP_2) | instskip(NEXT) | instid1(VALU_DEP_2)
	v_and_b32_e32 v6, 3, v6
	v_cmp_eq_u32_e32 vcc_lo, 0, v3
	s_delay_alu instid0(VALU_DEP_2) | instskip(NEXT) | instid1(VALU_DEP_1)
	v_dual_cndmask_b32 v3, v3, v5 :: v_dual_cndmask_b32 v4, v4, v6
	v_lshl_add_u32 v3, v3, 23, 0x37800000
	s_delay_alu instid0(VALU_DEP_2) | instskip(NEXT) | instid1(VALU_DEP_1)
	v_lshlrev_b32_e32 v4, 21, v4
	v_or3_b32 v2, v2, v3, v4
	s_delay_alu instid0(VALU_DEP_1)
	v_cvt_f64_f32_e32 v[58:59], v2
.LBB11_2030:
	s_or_b32 exec_lo, exec_lo, s0
	s_mov_b32 s0, 0
	s_branch .LBB11_2034
.LBB11_2031:
	s_mov_b32 s1, -1
                                        ; implicit-def: $vgpr58_vgpr59
	s_branch .LBB11_2040
.LBB11_2032:
	s_mov_b32 s0, -1
                                        ; implicit-def: $vgpr58_vgpr59
	s_branch .LBB11_2037
.LBB11_2033:
	s_mov_b32 s0, -1
                                        ; implicit-def: $vgpr58_vgpr59
.LBB11_2034:
	s_delay_alu instid0(SALU_CYCLE_1)
	s_and_b32 vcc_lo, exec_lo, s0
	s_cbranch_vccz .LBB11_2036
; %bb.2035:
	global_load_u8 v2, v[0:1], off
	s_waitcnt vmcnt(0)
	v_lshlrev_b32_e32 v2, 24, v2
	s_delay_alu instid0(VALU_DEP_1) | instskip(NEXT) | instid1(VALU_DEP_1)
	v_and_b32_e32 v3, 0x7f000000, v2
	v_clz_i32_u32_e32 v4, v3
	v_add_nc_u32_e32 v6, 0x1000000, v3
	v_cmp_ne_u32_e32 vcc_lo, 0, v3
	s_delay_alu instid0(VALU_DEP_3) | instskip(NEXT) | instid1(VALU_DEP_1)
	v_min_u32_e32 v4, 32, v4
	v_sub_nc_u32_e64 v4, v4, 4 clamp
	s_delay_alu instid0(VALU_DEP_1) | instskip(SKIP_1) | instid1(VALU_DEP_2)
	v_lshlrev_b32_e32 v5, v4, v3
	v_lshlrev_b32_e32 v4, 23, v4
	v_lshrrev_b32_e32 v5, 4, v5
	s_delay_alu instid0(VALU_DEP_1) | instskip(SKIP_1) | instid1(VALU_DEP_2)
	v_sub_nc_u32_e32 v4, v5, v4
	v_ashrrev_i32_e32 v5, 8, v6
	v_add_nc_u32_e32 v4, 0x3c000000, v4
	s_delay_alu instid0(VALU_DEP_1) | instskip(NEXT) | instid1(VALU_DEP_1)
	v_and_or_b32 v4, 0x7f800000, v5, v4
	v_cndmask_b32_e32 v3, 0, v4, vcc_lo
	s_delay_alu instid0(VALU_DEP_1) | instskip(NEXT) | instid1(VALU_DEP_1)
	v_and_or_b32 v2, 0x80000000, v2, v3
	v_cvt_f64_f32_e32 v[58:59], v2
.LBB11_2036:
	s_mov_b32 s0, 0
.LBB11_2037:
	s_delay_alu instid0(SALU_CYCLE_1)
	s_and_not1_b32 vcc_lo, exec_lo, s0
	s_cbranch_vccnz .LBB11_2039
; %bb.2038:
	global_load_u8 v2, v[0:1], off
	s_waitcnt vmcnt(0)
	v_lshlrev_b32_e32 v3, 25, v2
	v_lshlrev_b16 v2, 8, v2
	s_delay_alu instid0(VALU_DEP_2) | instskip(NEXT) | instid1(VALU_DEP_2)
	v_lshrrev_b32_e32 v4, 4, v3
	v_and_or_b32 v5, 0x7f00, v2, 0.5
	v_bfe_i32 v2, v2, 0, 16
	s_delay_alu instid0(VALU_DEP_3) | instskip(NEXT) | instid1(VALU_DEP_1)
	v_or_b32_e32 v4, 0x70000000, v4
	v_dual_add_f32 v5, -0.5, v5 :: v_dual_mul_f32 v4, 0x7800000, v4
	v_cmp_gt_u32_e32 vcc_lo, 0x8000000, v3
	s_delay_alu instid0(VALU_DEP_2) | instskip(NEXT) | instid1(VALU_DEP_1)
	v_cndmask_b32_e32 v3, v4, v5, vcc_lo
	v_and_or_b32 v2, 0x80000000, v2, v3
	s_delay_alu instid0(VALU_DEP_1)
	v_cvt_f64_f32_e32 v[58:59], v2
.LBB11_2039:
	s_mov_b32 s1, 0
	s_mov_b32 s0, -1
.LBB11_2040:
	s_and_not1_b32 vcc_lo, exec_lo, s1
	s_mov_b32 s3, 0
	s_cbranch_vccnz .LBB11_2049
; %bb.2041:
	v_cmp_gt_i16_e64 s1, s51, 14
	s_delay_alu instid0(VALU_DEP_1)
	s_and_b32 vcc_lo, exec_lo, s1
	s_cbranch_vccz .LBB11_2044
; %bb.2042:
	v_cmp_eq_u16_e64 s1, s51, 15
	s_delay_alu instid0(VALU_DEP_1)
	s_and_b32 vcc_lo, exec_lo, s1
	s_cbranch_vccz .LBB11_2045
; %bb.2043:
	global_load_u16 v2, v[0:1], off
	s_mov_b32 s2, 0
	s_mov_b32 s0, -1
	s_waitcnt vmcnt(0)
	v_lshlrev_b32_e32 v2, 16, v2
	s_delay_alu instid0(VALU_DEP_1)
	v_cvt_f64_f32_e32 v[58:59], v2
	s_branch .LBB11_2046
.LBB11_2044:
	s_mov_b32 s1, -1
                                        ; implicit-def: $vgpr58_vgpr59
	s_branch .LBB11_2047
.LBB11_2045:
	s_mov_b32 s2, -1
                                        ; implicit-def: $vgpr58_vgpr59
.LBB11_2046:
	s_mov_b32 s1, 0
.LBB11_2047:
	s_delay_alu instid0(SALU_CYCLE_1)
	s_and_b32 vcc_lo, exec_lo, s1
	s_cbranch_vccz .LBB11_2049
; %bb.2048:
	v_cmp_ne_u16_e64 s2, s51, 11
	s_mov_b32 s3, -1
                                        ; implicit-def: $vgpr58_vgpr59
.LBB11_2049:
	s_delay_alu instid0(VALU_DEP_1)
	s_and_b32 vcc_lo, exec_lo, s2
	s_cbranch_vccnz .LBB11_2119
; %bb.2050:
	s_and_not1_b32 vcc_lo, exec_lo, s3
	s_cbranch_vccnz .LBB11_2052
.LBB11_2051:
	global_load_u8 v2, v[0:1], off
	v_mov_b32_e32 v58, 0
	s_mov_b32 s0, -1
	s_waitcnt vmcnt(0)
	v_cmp_ne_u16_e32 vcc_lo, 0, v2
	v_cndmask_b32_e64 v59, 0, 0x3ff00000, vcc_lo
.LBB11_2052:
	s_mov_b32 s1, 0
.LBB11_2053:
	s_delay_alu instid0(SALU_CYCLE_1)
	s_and_b32 vcc_lo, exec_lo, s1
	s_cbranch_vccz .LBB11_2102
; %bb.2054:
	v_cmp_lt_i16_e64 s0, s51, 5
	s_delay_alu instid0(VALU_DEP_1)
	s_and_b32 vcc_lo, exec_lo, s0
	s_cbranch_vccnz .LBB11_2059
; %bb.2055:
	v_cmp_lt_i16_e64 s0, s51, 8
	s_delay_alu instid0(VALU_DEP_1)
	s_and_b32 vcc_lo, exec_lo, s0
	s_cbranch_vccnz .LBB11_2060
	;; [unrolled: 5-line block ×3, first 2 shown]
; %bb.2057:
	v_cmp_gt_i16_e64 s0, s51, 9
	s_delay_alu instid0(VALU_DEP_1)
	s_and_b32 vcc_lo, exec_lo, s0
	s_cbranch_vccz .LBB11_2062
; %bb.2058:
	global_load_b64 v[58:59], v[0:1], off
	s_mov_b32 s0, 0
	s_branch .LBB11_2063
.LBB11_2059:
	s_mov_b32 s0, -1
                                        ; implicit-def: $vgpr58_vgpr59
	s_branch .LBB11_2081
.LBB11_2060:
	s_mov_b32 s0, -1
                                        ; implicit-def: $vgpr58_vgpr59
	s_branch .LBB11_2069
.LBB11_2061:
	s_mov_b32 s0, -1
                                        ; implicit-def: $vgpr58_vgpr59
	s_branch .LBB11_2066
.LBB11_2062:
	s_mov_b32 s0, -1
                                        ; implicit-def: $vgpr58_vgpr59
.LBB11_2063:
	s_delay_alu instid0(SALU_CYCLE_1)
	s_and_not1_b32 vcc_lo, exec_lo, s0
	s_cbranch_vccnz .LBB11_2065
; %bb.2064:
	global_load_b32 v2, v[0:1], off
	s_waitcnt vmcnt(0)
	v_cvt_f64_f32_e32 v[58:59], v2
.LBB11_2065:
	s_mov_b32 s0, 0
.LBB11_2066:
	s_delay_alu instid0(SALU_CYCLE_1)
	s_and_not1_b32 vcc_lo, exec_lo, s0
	s_cbranch_vccnz .LBB11_2068
; %bb.2067:
	global_load_b32 v2, v[0:1], off
	s_waitcnt vmcnt(0)
	v_cvt_f32_f16_e32 v2, v2
	s_delay_alu instid0(VALU_DEP_1)
	v_cvt_f64_f32_e32 v[58:59], v2
.LBB11_2068:
	s_mov_b32 s0, 0
.LBB11_2069:
	s_delay_alu instid0(SALU_CYCLE_1)
	s_and_not1_b32 vcc_lo, exec_lo, s0
	s_cbranch_vccnz .LBB11_2080
; %bb.2070:
	v_cmp_lt_i16_e64 s0, s51, 6
	s_delay_alu instid0(VALU_DEP_1)
	s_and_b32 vcc_lo, exec_lo, s0
	s_cbranch_vccnz .LBB11_2073
; %bb.2071:
	v_cmp_gt_i16_e64 s0, s51, 6
	s_delay_alu instid0(VALU_DEP_1)
	s_and_b32 vcc_lo, exec_lo, s0
	s_cbranch_vccz .LBB11_2074
; %bb.2072:
	global_load_b64 v[58:59], v[0:1], off
	s_mov_b32 s0, 0
	s_branch .LBB11_2075
.LBB11_2073:
	s_mov_b32 s0, -1
                                        ; implicit-def: $vgpr58_vgpr59
	s_branch .LBB11_2078
.LBB11_2074:
	s_mov_b32 s0, -1
                                        ; implicit-def: $vgpr58_vgpr59
.LBB11_2075:
	s_delay_alu instid0(SALU_CYCLE_1)
	s_and_not1_b32 vcc_lo, exec_lo, s0
	s_cbranch_vccnz .LBB11_2077
; %bb.2076:
	global_load_b32 v2, v[0:1], off
	s_waitcnt vmcnt(0)
	v_cvt_f64_f32_e32 v[58:59], v2
.LBB11_2077:
	s_mov_b32 s0, 0
.LBB11_2078:
	s_delay_alu instid0(SALU_CYCLE_1)
	s_and_not1_b32 vcc_lo, exec_lo, s0
	s_cbranch_vccnz .LBB11_2080
; %bb.2079:
	global_load_u16 v2, v[0:1], off
	s_waitcnt vmcnt(0)
	v_cvt_f32_f16_e32 v2, v2
	s_delay_alu instid0(VALU_DEP_1)
	v_cvt_f64_f32_e32 v[58:59], v2
.LBB11_2080:
	s_mov_b32 s0, 0
.LBB11_2081:
	s_delay_alu instid0(SALU_CYCLE_1)
	s_and_not1_b32 vcc_lo, exec_lo, s0
	s_cbranch_vccnz .LBB11_2101
; %bb.2082:
	v_cmp_lt_i16_e64 s0, s51, 2
	s_delay_alu instid0(VALU_DEP_1)
	s_and_b32 vcc_lo, exec_lo, s0
	s_cbranch_vccnz .LBB11_2086
; %bb.2083:
	v_cmp_lt_i16_e64 s0, s51, 3
	s_delay_alu instid0(VALU_DEP_1)
	s_and_b32 vcc_lo, exec_lo, s0
	s_cbranch_vccnz .LBB11_2087
; %bb.2084:
	v_cmp_gt_i16_e64 s0, s51, 3
	s_delay_alu instid0(VALU_DEP_1)
	s_and_b32 vcc_lo, exec_lo, s0
	s_cbranch_vccz .LBB11_2088
; %bb.2085:
	global_load_b64 v[2:3], v[0:1], off
	s_mov_b32 s0, 0
	s_waitcnt vmcnt(0)
	v_cvt_f64_i32_e32 v[3:4], v3
	v_cvt_f64_u32_e32 v[5:6], v2
	s_delay_alu instid0(VALU_DEP_2) | instskip(NEXT) | instid1(VALU_DEP_1)
	v_ldexp_f64 v[3:4], v[3:4], 32
	v_add_f64 v[58:59], v[3:4], v[5:6]
	s_branch .LBB11_2089
.LBB11_2086:
	s_mov_b32 s0, -1
                                        ; implicit-def: $vgpr58_vgpr59
	s_branch .LBB11_2095
.LBB11_2087:
	s_mov_b32 s0, -1
                                        ; implicit-def: $vgpr58_vgpr59
	s_branch .LBB11_2092
.LBB11_2088:
	s_mov_b32 s0, -1
                                        ; implicit-def: $vgpr58_vgpr59
.LBB11_2089:
	s_delay_alu instid0(SALU_CYCLE_1)
	s_and_not1_b32 vcc_lo, exec_lo, s0
	s_cbranch_vccnz .LBB11_2091
; %bb.2090:
	global_load_b32 v2, v[0:1], off
	s_waitcnt vmcnt(0)
	v_cvt_f64_i32_e32 v[58:59], v2
.LBB11_2091:
	s_mov_b32 s0, 0
.LBB11_2092:
	s_delay_alu instid0(SALU_CYCLE_1)
	s_and_not1_b32 vcc_lo, exec_lo, s0
	s_cbranch_vccnz .LBB11_2094
; %bb.2093:
	global_load_i16 v2, v[0:1], off
	s_waitcnt vmcnt(0)
	v_cvt_f64_i32_e32 v[58:59], v2
.LBB11_2094:
	s_mov_b32 s0, 0
.LBB11_2095:
	s_delay_alu instid0(SALU_CYCLE_1)
	s_and_not1_b32 vcc_lo, exec_lo, s0
	s_cbranch_vccnz .LBB11_2101
; %bb.2096:
	v_cmp_gt_i16_e64 s0, s51, 0
	s_delay_alu instid0(VALU_DEP_1)
	s_and_b32 vcc_lo, exec_lo, s0
	s_mov_b32 s0, 0
	s_cbranch_vccz .LBB11_2098
; %bb.2097:
	global_load_i8 v2, v[0:1], off
	s_waitcnt vmcnt(0)
	v_cvt_f64_i32_e32 v[58:59], v2
	s_branch .LBB11_2099
.LBB11_2098:
	s_mov_b32 s0, -1
                                        ; implicit-def: $vgpr58_vgpr59
.LBB11_2099:
	s_delay_alu instid0(SALU_CYCLE_1)
	s_and_not1_b32 vcc_lo, exec_lo, s0
	s_cbranch_vccnz .LBB11_2101
; %bb.2100:
	global_load_u8 v0, v[0:1], off
	s_waitcnt vmcnt(0)
	v_cvt_f64_u32_e32 v[58:59], v0
.LBB11_2101:
	s_mov_b32 s0, -1
.LBB11_2102:
	s_delay_alu instid0(SALU_CYCLE_1)
	s_and_not1_b32 vcc_lo, exec_lo, s0
	s_cbranch_vccnz .LBB11_2653
; %bb.2103:
	s_and_b32 vcc_lo, exec_lo, s54
	s_cbranch_vccz .LBB11_2105
; %bb.2104:
	s_waitcnt vmcnt(0)
	v_dual_mov_b32 v0, v45 :: v_dual_mov_b32 v1, v46
	s_delay_alu instid0(VALU_DEP_2) | instskip(SKIP_3) | instid1(SALU_CYCLE_1)
	v_dual_mov_b32 v2, v58 :: v_dual_mov_b32 v3, v59
	s_getpc_b64 s[0:1]
	s_add_u32 s0, s0, _ZN12_GLOBAL__N_111calc_igammaIdEET_S1_S1_@rel32@lo+4
	s_addc_u32 s1, s1, _ZN12_GLOBAL__N_111calc_igammaIdEET_S1_S1_@rel32@hi+12
	s_swappc_b64 s[30:31], s[0:1]
	v_dual_mov_b32 v56, v0 :: v_dual_mov_b32 v57, v1
	s_mov_b32 s0, 0
	s_branch .LBB11_2106
.LBB11_2105:
	s_mov_b32 s0, -1
                                        ; implicit-def: $vgpr56_vgpr57
.LBB11_2106:
	s_delay_alu instid0(SALU_CYCLE_1)
	s_and_not1_b32 vcc_lo, exec_lo, s0
	s_cbranch_vccnz .LBB11_2108
; %bb.2107:
	s_waitcnt vmcnt(0)
	v_dual_mov_b32 v0, v45 :: v_dual_mov_b32 v1, v46
	s_delay_alu instid0(VALU_DEP_2) | instskip(SKIP_3) | instid1(SALU_CYCLE_1)
	v_dual_mov_b32 v2, v58 :: v_dual_mov_b32 v3, v59
	s_getpc_b64 s[0:1]
	s_add_u32 s0, s0, _ZN12_GLOBAL__N_112calc_igammacIdEET_S1_S1_@rel32@lo+4
	s_addc_u32 s1, s1, _ZN12_GLOBAL__N_112calc_igammacIdEET_S1_S1_@rel32@hi+12
	s_swappc_b64 s[30:31], s[0:1]
	v_dual_mov_b32 v56, v0 :: v_dual_mov_b32 v57, v1
.LBB11_2108:
	v_add_nc_u32_e32 v63, s49, v60
	v_cmp_gt_i16_e32 vcc_lo, 11, v62
	s_delay_alu instid0(VALU_DEP_2) | instskip(SKIP_1) | instid1(VALU_DEP_1)
	v_ashrrev_i32_e32 v1, 31, v63
	v_add_co_u32 v0, s0, s46, v63
	v_add_co_ci_u32_e64 v1, s0, s47, v1, s0
	s_cbranch_vccnz .LBB11_2115
; %bb.2109:
	v_cmp_lt_i16_e32 vcc_lo, 25, v62
	s_mov_b32 s3, 0
	s_cbranch_vccz .LBB11_2116
; %bb.2110:
	v_cmp_lt_i16_e32 vcc_lo, 28, v62
	s_cbranch_vccz .LBB11_2117
; %bb.2111:
	v_cmp_lt_i16_e32 vcc_lo, 43, v62
	;; [unrolled: 3-line block ×3, first 2 shown]
	s_cbranch_vccz .LBB11_2121
; %bb.2113:
	v_cmp_eq_u16_e32 vcc_lo, 46, v62
	s_mov_b32 s1, 0
	s_cbranch_vccz .LBB11_2124
; %bb.2114:
	global_load_b32 v2, v[0:1], off
	s_mov_b32 s2, 0
	s_mov_b32 s0, -1
	s_waitcnt vmcnt(0)
	v_lshlrev_b32_e32 v2, 16, v2
	s_delay_alu instid0(VALU_DEP_1)
	v_cvt_f64_f32_e32 v[45:46], v2
	s_branch .LBB11_2126
.LBB11_2115:
	s_mov_b32 s1, -1
	s_mov_b32 s0, 0
                                        ; implicit-def: $vgpr45_vgpr46
	s_branch .LBB11_2192
.LBB11_2116:
	s_mov_b32 s1, -1
	s_mov_b32 s0, 0
	s_mov_b32 s2, 0
                                        ; implicit-def: $vgpr45_vgpr46
	s_branch .LBB11_2157
.LBB11_2117:
	s_mov_b32 s1, -1
	s_mov_b32 s0, 0
	s_mov_b32 s2, 0
                                        ; implicit-def: $vgpr45_vgpr46
	s_branch .LBB11_2136
.LBB11_2118:
	s_mov_b32 s1, -1
	s_mov_b32 s0, 0
	s_mov_b32 s2, 0
                                        ; implicit-def: $vgpr45_vgpr46
	s_branch .LBB11_2131
.LBB11_2119:
	s_cbranch_execnz .LBB11_2122
; %bb.2120:
	s_or_b32 s55, s55, exec_lo
                                        ; implicit-def: $vgpr58_vgpr59
	s_cbranch_execz .LBB11_2051
	s_branch .LBB11_2052
.LBB11_2121:
	s_mov_b32 s1, -1
	s_mov_b32 s0, 0
	s_mov_b32 s2, 0
	s_branch .LBB11_2125
.LBB11_2122:
	s_trap 2
	s_sendmsg_rtn_b32 s0, sendmsg(MSG_RTN_GET_DOORBELL)
	s_mov_b32 ttmp2, m0
	s_waitcnt lgkmcnt(0)
	s_and_b32 s0, s0, 0x3ff
	s_delay_alu instid0(SALU_CYCLE_1) | instskip(NEXT) | instid1(SALU_CYCLE_1)
	s_bitset1_b32 s0, 10
	s_mov_b32 m0, s0
	s_sendmsg sendmsg(MSG_INTERRUPT)
	s_mov_b32 m0, ttmp2
.LBB11_2123:                            ; =>This Inner Loop Header: Depth=1
	s_sethalt 5
	s_branch .LBB11_2123
.LBB11_2124:
	s_mov_b32 s2, -1
	s_mov_b32 s0, 0
.LBB11_2125:
                                        ; implicit-def: $vgpr45_vgpr46
.LBB11_2126:
	s_and_b32 vcc_lo, exec_lo, s1
	s_cbranch_vccz .LBB11_2130
; %bb.2127:
	v_cmp_eq_u16_e32 vcc_lo, 44, v62
	s_cbranch_vccz .LBB11_2129
; %bb.2128:
	global_load_u8 v4, v[0:1], off
	s_mov_b32 s2, 0
	s_mov_b32 s0, -1
	s_waitcnt vmcnt(0)
	v_cmp_ne_u32_e32 vcc_lo, 0xff, v4
	v_lshlrev_b32_e32 v2, 23, v4
	s_delay_alu instid0(VALU_DEP_1) | instskip(NEXT) | instid1(VALU_DEP_1)
	v_cvt_f64_f32_e32 v[2:3], v2
	v_cndmask_b32_e32 v3, 0x7ff80000, v3, vcc_lo
	s_delay_alu instid0(VALU_DEP_2) | instskip(SKIP_1) | instid1(VALU_DEP_3)
	v_cndmask_b32_e32 v2, 0x20000000, v2, vcc_lo
	v_cmp_ne_u32_e32 vcc_lo, 0, v4
	v_cndmask_b32_e32 v46, 0x38000000, v3, vcc_lo
	s_delay_alu instid0(VALU_DEP_3)
	v_cndmask_b32_e32 v45, 0, v2, vcc_lo
	s_branch .LBB11_2130
.LBB11_2129:
	s_mov_b32 s2, -1
                                        ; implicit-def: $vgpr45_vgpr46
.LBB11_2130:
	s_mov_b32 s1, 0
.LBB11_2131:
	s_delay_alu instid0(SALU_CYCLE_1)
	s_and_b32 vcc_lo, exec_lo, s1
	s_cbranch_vccz .LBB11_2135
; %bb.2132:
	v_cmp_eq_u16_e32 vcc_lo, 29, v62
	s_cbranch_vccz .LBB11_2134
; %bb.2133:
	global_load_b64 v[2:3], v[0:1], off
	s_mov_b32 s2, 0
	s_mov_b32 s0, -1
	s_mov_b32 s1, 0
	s_waitcnt vmcnt(0)
	v_cvt_f64_u32_e32 v[3:4], v3
	v_cvt_f64_u32_e32 v[5:6], v2
	s_delay_alu instid0(VALU_DEP_2) | instskip(NEXT) | instid1(VALU_DEP_1)
	v_ldexp_f64 v[3:4], v[3:4], 32
	v_add_f64 v[45:46], v[3:4], v[5:6]
	s_branch .LBB11_2136
.LBB11_2134:
	s_mov_b32 s2, -1
                                        ; implicit-def: $vgpr45_vgpr46
.LBB11_2135:
	s_mov_b32 s1, 0
.LBB11_2136:
	s_delay_alu instid0(SALU_CYCLE_1)
	s_and_b32 vcc_lo, exec_lo, s1
	s_cbranch_vccz .LBB11_2156
; %bb.2137:
	v_cmp_gt_i16_e32 vcc_lo, 27, v62
	s_cbranch_vccnz .LBB11_2140
; %bb.2138:
	v_cmp_lt_i16_e32 vcc_lo, 27, v62
	s_cbranch_vccz .LBB11_2141
; %bb.2139:
	global_load_b32 v2, v[0:1], off
	s_mov_b32 s0, 0
	s_waitcnt vmcnt(0)
	v_cvt_f64_u32_e32 v[45:46], v2
	s_branch .LBB11_2142
.LBB11_2140:
	s_mov_b32 s0, -1
                                        ; implicit-def: $vgpr45_vgpr46
	s_branch .LBB11_2145
.LBB11_2141:
	s_mov_b32 s0, -1
                                        ; implicit-def: $vgpr45_vgpr46
.LBB11_2142:
	s_delay_alu instid0(SALU_CYCLE_1)
	s_and_not1_b32 vcc_lo, exec_lo, s0
	s_cbranch_vccnz .LBB11_2144
; %bb.2143:
	global_load_u16 v2, v[0:1], off
	s_waitcnt vmcnt(0)
	v_cvt_f64_u32_e32 v[45:46], v2
.LBB11_2144:
	s_mov_b32 s0, 0
.LBB11_2145:
	s_delay_alu instid0(SALU_CYCLE_1)
	s_and_not1_b32 vcc_lo, exec_lo, s0
	s_cbranch_vccnz .LBB11_2155
; %bb.2146:
	global_load_u8 v2, v[0:1], off
	s_mov_b32 s4, 0
	s_mov_b32 s5, exec_lo
                                        ; implicit-def: $sgpr0_sgpr1
	s_waitcnt vmcnt(0)
	v_cmpx_lt_i16_e32 0x7f, v2
	s_xor_b32 s5, exec_lo, s5
	s_cbranch_execz .LBB11_2150
; %bb.2147:
	s_mov_b32 s6, -1
	s_mov_b32 s4, exec_lo
                                        ; implicit-def: $sgpr0_sgpr1
	v_cmpx_eq_u16_e32 0x80, v2
; %bb.2148:
	s_mov_b32 s1, 0x7ff80000
	s_brev_b32 s0, 4
	s_xor_b32 s6, exec_lo, -1
; %bb.2149:
	s_or_b32 exec_lo, exec_lo, s4
	s_delay_alu instid0(SALU_CYCLE_1)
	s_and_b32 s4, s6, exec_lo
.LBB11_2150:
	s_or_saveexec_b32 s5, s5
	v_dual_mov_b32 v46, s1 :: v_dual_mov_b32 v45, s0
	s_xor_b32 exec_lo, exec_lo, s5
; %bb.2151:
	v_cmp_ne_u16_e32 vcc_lo, 0, v2
	v_mov_b32_e32 v45, 0
	v_mov_b32_e32 v46, 0
	s_and_not1_b32 s0, s4, exec_lo
	s_and_b32 s1, vcc_lo, exec_lo
	s_delay_alu instid0(SALU_CYCLE_1)
	s_or_b32 s4, s0, s1
; %bb.2152:
	s_or_b32 exec_lo, exec_lo, s5
	s_and_saveexec_b32 s0, s4
	s_cbranch_execz .LBB11_2154
; %bb.2153:
	v_and_b32_e32 v3, 0xffff, v2
	v_lshlrev_b32_e32 v2, 24, v2
	s_delay_alu instid0(VALU_DEP_2) | instskip(NEXT) | instid1(VALU_DEP_2)
	v_and_b32_e32 v4, 7, v3
	v_and_b32_e32 v2, 0x80000000, v2
	s_delay_alu instid0(VALU_DEP_2) | instskip(NEXT) | instid1(VALU_DEP_1)
	v_clz_i32_u32_e32 v5, v4
	v_min_u32_e32 v5, 32, v5
	s_delay_alu instid0(VALU_DEP_1) | instskip(SKIP_1) | instid1(VALU_DEP_2)
	v_subrev_nc_u32_e32 v6, 28, v5
	v_sub_nc_u32_e32 v5, 29, v5
	v_lshlrev_b32_e32 v6, v6, v3
	v_bfe_u32 v3, v3, 3, 4
	s_delay_alu instid0(VALU_DEP_2) | instskip(NEXT) | instid1(VALU_DEP_2)
	v_and_b32_e32 v6, 7, v6
	v_cmp_eq_u32_e32 vcc_lo, 0, v3
	s_delay_alu instid0(VALU_DEP_2) | instskip(NEXT) | instid1(VALU_DEP_1)
	v_dual_cndmask_b32 v3, v3, v5 :: v_dual_cndmask_b32 v4, v4, v6
	v_lshl_add_u32 v3, v3, 23, 0x3b800000
	s_delay_alu instid0(VALU_DEP_2) | instskip(NEXT) | instid1(VALU_DEP_1)
	v_lshlrev_b32_e32 v4, 20, v4
	v_or3_b32 v2, v2, v3, v4
	s_delay_alu instid0(VALU_DEP_1)
	v_cvt_f64_f32_e32 v[45:46], v2
.LBB11_2154:
	s_or_b32 exec_lo, exec_lo, s0
.LBB11_2155:
	s_mov_b32 s0, -1
.LBB11_2156:
	s_mov_b32 s1, 0
.LBB11_2157:
	s_delay_alu instid0(SALU_CYCLE_1)
	s_and_b32 vcc_lo, exec_lo, s1
	s_cbranch_vccz .LBB11_2188
; %bb.2158:
	v_cmp_lt_i16_e32 vcc_lo, 22, v62
	s_cbranch_vccz .LBB11_2170
; %bb.2159:
	v_cmp_gt_i16_e32 vcc_lo, 24, v62
	s_cbranch_vccnz .LBB11_2171
; %bb.2160:
	v_cmp_lt_i16_e32 vcc_lo, 24, v62
	s_cbranch_vccz .LBB11_2172
; %bb.2161:
	global_load_u8 v2, v[0:1], off
	s_mov_b32 s4, exec_lo
                                        ; implicit-def: $sgpr0_sgpr1
	s_waitcnt vmcnt(0)
	v_cmpx_lt_i16_e32 0x7f, v2
	s_xor_b32 s4, exec_lo, s4
	s_cbranch_execz .LBB11_2165
; %bb.2162:
	s_mov_b32 s5, -1
	s_mov_b32 s3, exec_lo
                                        ; implicit-def: $sgpr0_sgpr1
	v_cmpx_eq_u16_e32 0x80, v2
; %bb.2163:
	s_mov_b32 s1, 0x7ff80000
	s_brev_b32 s0, 4
	s_xor_b32 s5, exec_lo, -1
; %bb.2164:
	s_or_b32 exec_lo, exec_lo, s3
	s_delay_alu instid0(SALU_CYCLE_1)
	s_and_b32 s3, s5, exec_lo
.LBB11_2165:
	s_or_saveexec_b32 s4, s4
	v_dual_mov_b32 v46, s1 :: v_dual_mov_b32 v45, s0
	s_xor_b32 exec_lo, exec_lo, s4
; %bb.2166:
	v_cmp_ne_u16_e32 vcc_lo, 0, v2
	v_mov_b32_e32 v45, 0
	v_mov_b32_e32 v46, 0
	s_and_not1_b32 s0, s3, exec_lo
	s_and_b32 s1, vcc_lo, exec_lo
	s_delay_alu instid0(SALU_CYCLE_1)
	s_or_b32 s3, s0, s1
; %bb.2167:
	s_or_b32 exec_lo, exec_lo, s4
	s_and_saveexec_b32 s0, s3
	s_cbranch_execz .LBB11_2169
; %bb.2168:
	v_and_b32_e32 v3, 0xffff, v2
	v_lshlrev_b32_e32 v2, 24, v2
	s_delay_alu instid0(VALU_DEP_2) | instskip(NEXT) | instid1(VALU_DEP_2)
	v_and_b32_e32 v4, 3, v3
	v_and_b32_e32 v2, 0x80000000, v2
	s_delay_alu instid0(VALU_DEP_2) | instskip(NEXT) | instid1(VALU_DEP_1)
	v_clz_i32_u32_e32 v5, v4
	v_min_u32_e32 v5, 32, v5
	s_delay_alu instid0(VALU_DEP_1) | instskip(SKIP_1) | instid1(VALU_DEP_2)
	v_subrev_nc_u32_e32 v6, 29, v5
	v_sub_nc_u32_e32 v5, 30, v5
	v_lshlrev_b32_e32 v6, v6, v3
	v_bfe_u32 v3, v3, 2, 5
	s_delay_alu instid0(VALU_DEP_2) | instskip(NEXT) | instid1(VALU_DEP_2)
	v_and_b32_e32 v6, 3, v6
	v_cmp_eq_u32_e32 vcc_lo, 0, v3
	s_delay_alu instid0(VALU_DEP_2) | instskip(NEXT) | instid1(VALU_DEP_1)
	v_dual_cndmask_b32 v3, v3, v5 :: v_dual_cndmask_b32 v4, v4, v6
	v_lshl_add_u32 v3, v3, 23, 0x37800000
	s_delay_alu instid0(VALU_DEP_2) | instskip(NEXT) | instid1(VALU_DEP_1)
	v_lshlrev_b32_e32 v4, 21, v4
	v_or3_b32 v2, v2, v3, v4
	s_delay_alu instid0(VALU_DEP_1)
	v_cvt_f64_f32_e32 v[45:46], v2
.LBB11_2169:
	s_or_b32 exec_lo, exec_lo, s0
	s_mov_b32 s0, 0
	s_branch .LBB11_2173
.LBB11_2170:
	s_mov_b32 s1, -1
                                        ; implicit-def: $vgpr45_vgpr46
	s_branch .LBB11_2179
.LBB11_2171:
	s_mov_b32 s0, -1
                                        ; implicit-def: $vgpr45_vgpr46
	s_branch .LBB11_2176
.LBB11_2172:
	s_mov_b32 s0, -1
                                        ; implicit-def: $vgpr45_vgpr46
.LBB11_2173:
	s_delay_alu instid0(SALU_CYCLE_1)
	s_and_b32 vcc_lo, exec_lo, s0
	s_cbranch_vccz .LBB11_2175
; %bb.2174:
	global_load_u8 v2, v[0:1], off
	s_waitcnt vmcnt(0)
	v_lshlrev_b32_e32 v2, 24, v2
	s_delay_alu instid0(VALU_DEP_1) | instskip(NEXT) | instid1(VALU_DEP_1)
	v_and_b32_e32 v3, 0x7f000000, v2
	v_clz_i32_u32_e32 v4, v3
	v_add_nc_u32_e32 v6, 0x1000000, v3
	v_cmp_ne_u32_e32 vcc_lo, 0, v3
	s_delay_alu instid0(VALU_DEP_3) | instskip(NEXT) | instid1(VALU_DEP_1)
	v_min_u32_e32 v4, 32, v4
	v_sub_nc_u32_e64 v4, v4, 4 clamp
	s_delay_alu instid0(VALU_DEP_1) | instskip(SKIP_1) | instid1(VALU_DEP_2)
	v_lshlrev_b32_e32 v5, v4, v3
	v_lshlrev_b32_e32 v4, 23, v4
	v_lshrrev_b32_e32 v5, 4, v5
	s_delay_alu instid0(VALU_DEP_1) | instskip(SKIP_1) | instid1(VALU_DEP_2)
	v_sub_nc_u32_e32 v4, v5, v4
	v_ashrrev_i32_e32 v5, 8, v6
	v_add_nc_u32_e32 v4, 0x3c000000, v4
	s_delay_alu instid0(VALU_DEP_1) | instskip(NEXT) | instid1(VALU_DEP_1)
	v_and_or_b32 v4, 0x7f800000, v5, v4
	v_cndmask_b32_e32 v3, 0, v4, vcc_lo
	s_delay_alu instid0(VALU_DEP_1) | instskip(NEXT) | instid1(VALU_DEP_1)
	v_and_or_b32 v2, 0x80000000, v2, v3
	v_cvt_f64_f32_e32 v[45:46], v2
.LBB11_2175:
	s_mov_b32 s0, 0
.LBB11_2176:
	s_delay_alu instid0(SALU_CYCLE_1)
	s_and_not1_b32 vcc_lo, exec_lo, s0
	s_cbranch_vccnz .LBB11_2178
; %bb.2177:
	global_load_u8 v2, v[0:1], off
	s_waitcnt vmcnt(0)
	v_lshlrev_b32_e32 v3, 25, v2
	v_lshlrev_b16 v2, 8, v2
	s_delay_alu instid0(VALU_DEP_2) | instskip(NEXT) | instid1(VALU_DEP_2)
	v_lshrrev_b32_e32 v4, 4, v3
	v_and_or_b32 v5, 0x7f00, v2, 0.5
	v_bfe_i32 v2, v2, 0, 16
	s_delay_alu instid0(VALU_DEP_3) | instskip(NEXT) | instid1(VALU_DEP_1)
	v_or_b32_e32 v4, 0x70000000, v4
	v_dual_add_f32 v5, -0.5, v5 :: v_dual_mul_f32 v4, 0x7800000, v4
	v_cmp_gt_u32_e32 vcc_lo, 0x8000000, v3
	s_delay_alu instid0(VALU_DEP_2) | instskip(NEXT) | instid1(VALU_DEP_1)
	v_cndmask_b32_e32 v3, v4, v5, vcc_lo
	v_and_or_b32 v2, 0x80000000, v2, v3
	s_delay_alu instid0(VALU_DEP_1)
	v_cvt_f64_f32_e32 v[45:46], v2
.LBB11_2178:
	s_mov_b32 s1, 0
	s_mov_b32 s0, -1
.LBB11_2179:
	s_and_not1_b32 vcc_lo, exec_lo, s1
	s_mov_b32 s3, 0
	s_cbranch_vccnz .LBB11_2188
; %bb.2180:
	v_cmp_lt_i16_e32 vcc_lo, 14, v62
	s_cbranch_vccz .LBB11_2183
; %bb.2181:
	v_cmp_eq_u16_e32 vcc_lo, 15, v62
	s_cbranch_vccz .LBB11_2184
; %bb.2182:
	global_load_u16 v2, v[0:1], off
	s_mov_b32 s2, 0
	s_mov_b32 s0, -1
	s_waitcnt vmcnt(0)
	v_lshlrev_b32_e32 v2, 16, v2
	s_delay_alu instid0(VALU_DEP_1)
	v_cvt_f64_f32_e32 v[45:46], v2
	s_branch .LBB11_2185
.LBB11_2183:
	s_mov_b32 s1, -1
                                        ; implicit-def: $vgpr45_vgpr46
	s_branch .LBB11_2186
.LBB11_2184:
	s_mov_b32 s2, -1
                                        ; implicit-def: $vgpr45_vgpr46
.LBB11_2185:
	s_mov_b32 s1, 0
.LBB11_2186:
	s_delay_alu instid0(SALU_CYCLE_1)
	s_and_b32 vcc_lo, exec_lo, s1
	s_cbranch_vccz .LBB11_2188
; %bb.2187:
	v_cmp_ne_u16_e64 s2, 11, v62
	s_mov_b32 s3, -1
                                        ; implicit-def: $vgpr45_vgpr46
.LBB11_2188:
	s_delay_alu instid0(VALU_DEP_1)
	s_and_b32 vcc_lo, exec_lo, s2
	s_cbranch_vccnz .LBB11_2253
; %bb.2189:
	s_and_not1_b32 vcc_lo, exec_lo, s3
	s_cbranch_vccnz .LBB11_2191
.LBB11_2190:
	global_load_u8 v2, v[0:1], off
	s_waitcnt vmcnt(1)
	v_mov_b32_e32 v45, 0
	s_mov_b32 s0, -1
	s_waitcnt vmcnt(0)
	v_cmp_ne_u16_e32 vcc_lo, 0, v2
	v_cndmask_b32_e64 v46, 0, 0x3ff00000, vcc_lo
.LBB11_2191:
	s_mov_b32 s1, 0
.LBB11_2192:
	s_delay_alu instid0(SALU_CYCLE_1)
	s_and_b32 vcc_lo, exec_lo, s1
	s_cbranch_vccz .LBB11_2241
; %bb.2193:
	v_cmp_gt_i16_e32 vcc_lo, 5, v62
	s_cbranch_vccnz .LBB11_2198
; %bb.2194:
	v_cmp_gt_i16_e32 vcc_lo, 8, v62
	s_cbranch_vccnz .LBB11_2199
	;; [unrolled: 3-line block ×3, first 2 shown]
; %bb.2196:
	v_cmp_lt_i16_e32 vcc_lo, 9, v62
	s_cbranch_vccz .LBB11_2201
; %bb.2197:
	global_load_b64 v[45:46], v[0:1], off
	s_mov_b32 s0, 0
	s_branch .LBB11_2202
.LBB11_2198:
	s_mov_b32 s0, -1
                                        ; implicit-def: $vgpr45_vgpr46
	s_branch .LBB11_2220
.LBB11_2199:
	s_mov_b32 s0, -1
                                        ; implicit-def: $vgpr45_vgpr46
	s_branch .LBB11_2208
.LBB11_2200:
	s_mov_b32 s0, -1
                                        ; implicit-def: $vgpr45_vgpr46
	s_branch .LBB11_2205
.LBB11_2201:
	s_mov_b32 s0, -1
                                        ; implicit-def: $vgpr45_vgpr46
.LBB11_2202:
	s_delay_alu instid0(SALU_CYCLE_1)
	s_and_not1_b32 vcc_lo, exec_lo, s0
	s_cbranch_vccnz .LBB11_2204
; %bb.2203:
	global_load_b32 v2, v[0:1], off
	s_waitcnt vmcnt(0)
	v_cvt_f64_f32_e32 v[45:46], v2
.LBB11_2204:
	s_mov_b32 s0, 0
.LBB11_2205:
	s_delay_alu instid0(SALU_CYCLE_1)
	s_and_not1_b32 vcc_lo, exec_lo, s0
	s_cbranch_vccnz .LBB11_2207
; %bb.2206:
	global_load_b32 v2, v[0:1], off
	s_waitcnt vmcnt(0)
	v_cvt_f32_f16_e32 v2, v2
	s_delay_alu instid0(VALU_DEP_1)
	v_cvt_f64_f32_e32 v[45:46], v2
.LBB11_2207:
	s_mov_b32 s0, 0
.LBB11_2208:
	s_delay_alu instid0(SALU_CYCLE_1)
	s_and_not1_b32 vcc_lo, exec_lo, s0
	s_cbranch_vccnz .LBB11_2219
; %bb.2209:
	v_cmp_gt_i16_e32 vcc_lo, 6, v62
	s_cbranch_vccnz .LBB11_2212
; %bb.2210:
	v_cmp_lt_i16_e32 vcc_lo, 6, v62
	s_cbranch_vccz .LBB11_2213
; %bb.2211:
	global_load_b64 v[45:46], v[0:1], off
	s_mov_b32 s0, 0
	s_branch .LBB11_2214
.LBB11_2212:
	s_mov_b32 s0, -1
                                        ; implicit-def: $vgpr45_vgpr46
	s_branch .LBB11_2217
.LBB11_2213:
	s_mov_b32 s0, -1
                                        ; implicit-def: $vgpr45_vgpr46
.LBB11_2214:
	s_delay_alu instid0(SALU_CYCLE_1)
	s_and_not1_b32 vcc_lo, exec_lo, s0
	s_cbranch_vccnz .LBB11_2216
; %bb.2215:
	global_load_b32 v2, v[0:1], off
	s_waitcnt vmcnt(0)
	v_cvt_f64_f32_e32 v[45:46], v2
.LBB11_2216:
	s_mov_b32 s0, 0
.LBB11_2217:
	s_delay_alu instid0(SALU_CYCLE_1)
	s_and_not1_b32 vcc_lo, exec_lo, s0
	s_cbranch_vccnz .LBB11_2219
; %bb.2218:
	global_load_u16 v2, v[0:1], off
	s_waitcnt vmcnt(0)
	v_cvt_f32_f16_e32 v2, v2
	s_delay_alu instid0(VALU_DEP_1)
	v_cvt_f64_f32_e32 v[45:46], v2
.LBB11_2219:
	s_mov_b32 s0, 0
.LBB11_2220:
	s_delay_alu instid0(SALU_CYCLE_1)
	s_and_not1_b32 vcc_lo, exec_lo, s0
	s_cbranch_vccnz .LBB11_2240
; %bb.2221:
	v_cmp_gt_i16_e32 vcc_lo, 2, v62
	s_cbranch_vccnz .LBB11_2225
; %bb.2222:
	v_cmp_gt_i16_e32 vcc_lo, 3, v62
	s_cbranch_vccnz .LBB11_2226
; %bb.2223:
	v_cmp_lt_i16_e32 vcc_lo, 3, v62
	s_cbranch_vccz .LBB11_2227
; %bb.2224:
	global_load_b64 v[2:3], v[0:1], off
	s_mov_b32 s0, 0
	s_waitcnt vmcnt(0)
	v_cvt_f64_i32_e32 v[3:4], v3
	v_cvt_f64_u32_e32 v[5:6], v2
	s_delay_alu instid0(VALU_DEP_2) | instskip(NEXT) | instid1(VALU_DEP_1)
	v_ldexp_f64 v[3:4], v[3:4], 32
	v_add_f64 v[45:46], v[3:4], v[5:6]
	s_branch .LBB11_2228
.LBB11_2225:
	s_mov_b32 s0, -1
                                        ; implicit-def: $vgpr45_vgpr46
	s_branch .LBB11_2234
.LBB11_2226:
	s_mov_b32 s0, -1
                                        ; implicit-def: $vgpr45_vgpr46
	s_branch .LBB11_2231
.LBB11_2227:
	s_mov_b32 s0, -1
                                        ; implicit-def: $vgpr45_vgpr46
.LBB11_2228:
	s_delay_alu instid0(SALU_CYCLE_1)
	s_and_not1_b32 vcc_lo, exec_lo, s0
	s_cbranch_vccnz .LBB11_2230
; %bb.2229:
	global_load_b32 v2, v[0:1], off
	s_waitcnt vmcnt(0)
	v_cvt_f64_i32_e32 v[45:46], v2
.LBB11_2230:
	s_mov_b32 s0, 0
.LBB11_2231:
	s_delay_alu instid0(SALU_CYCLE_1)
	s_and_not1_b32 vcc_lo, exec_lo, s0
	s_cbranch_vccnz .LBB11_2233
; %bb.2232:
	global_load_i16 v2, v[0:1], off
	s_waitcnt vmcnt(0)
	v_cvt_f64_i32_e32 v[45:46], v2
.LBB11_2233:
	s_mov_b32 s0, 0
.LBB11_2234:
	s_delay_alu instid0(SALU_CYCLE_1)
	s_and_not1_b32 vcc_lo, exec_lo, s0
	s_cbranch_vccnz .LBB11_2240
; %bb.2235:
	v_cmp_lt_i16_e32 vcc_lo, 0, v62
	s_mov_b32 s0, 0
	s_cbranch_vccz .LBB11_2237
; %bb.2236:
	global_load_i8 v2, v[0:1], off
	s_waitcnt vmcnt(0)
	v_cvt_f64_i32_e32 v[45:46], v2
	s_branch .LBB11_2238
.LBB11_2237:
	s_mov_b32 s0, -1
                                        ; implicit-def: $vgpr45_vgpr46
.LBB11_2238:
	s_delay_alu instid0(SALU_CYCLE_1)
	s_and_not1_b32 vcc_lo, exec_lo, s0
	s_cbranch_vccnz .LBB11_2240
; %bb.2239:
	global_load_u8 v0, v[0:1], off
	s_waitcnt vmcnt(0)
	v_cvt_f64_u32_e32 v[45:46], v0
.LBB11_2240:
	s_mov_b32 s0, -1
.LBB11_2241:
	s_delay_alu instid0(SALU_CYCLE_1)
	s_and_not1_b32 vcc_lo, exec_lo, s0
	s_cbranch_vccnz .LBB11_2653
; %bb.2242:
	v_add_nc_u32_e32 v72, s50, v61
	v_cmp_lt_i16_e64 s0, s51, 11
	s_delay_alu instid0(VALU_DEP_2) | instskip(SKIP_1) | instid1(VALU_DEP_2)
	v_ashrrev_i32_e32 v1, 31, v72
	v_add_co_u32 v0, vcc_lo, s52, v72
	v_add_co_ci_u32_e32 v1, vcc_lo, s53, v1, vcc_lo
	s_delay_alu instid0(VALU_DEP_4)
	s_and_b32 vcc_lo, exec_lo, s0
	s_cbranch_vccnz .LBB11_2249
; %bb.2243:
	v_cmp_gt_i16_e64 s0, s51, 25
	s_mov_b32 s3, 0
	s_delay_alu instid0(VALU_DEP_1)
	s_and_b32 vcc_lo, exec_lo, s0
	s_cbranch_vccz .LBB11_2250
; %bb.2244:
	v_cmp_gt_i16_e64 s0, s51, 28
	s_delay_alu instid0(VALU_DEP_1)
	s_and_b32 vcc_lo, exec_lo, s0
	s_cbranch_vccz .LBB11_2251
; %bb.2245:
	v_cmp_gt_i16_e64 s0, s51, 43
	;; [unrolled: 5-line block ×3, first 2 shown]
	s_delay_alu instid0(VALU_DEP_1)
	s_and_b32 vcc_lo, exec_lo, s0
	s_cbranch_vccz .LBB11_2255
; %bb.2247:
	v_cmp_eq_u16_e64 s0, s51, 46
	s_mov_b32 s1, 0
	s_delay_alu instid0(VALU_DEP_1)
	s_and_b32 vcc_lo, exec_lo, s0
	s_cbranch_vccz .LBB11_2260
; %bb.2248:
	global_load_b32 v2, v[0:1], off
	s_mov_b32 s2, 0
	s_mov_b32 s0, -1
	s_waitcnt vmcnt(0)
	v_lshlrev_b32_e32 v2, 16, v2
	s_delay_alu instid0(VALU_DEP_1)
	v_cvt_f64_f32_e32 v[58:59], v2
	s_branch .LBB11_2262
.LBB11_2249:
	s_mov_b32 s1, -1
	s_mov_b32 s0, 0
                                        ; implicit-def: $vgpr58_vgpr59
	s_branch .LBB11_2328
.LBB11_2250:
	s_mov_b32 s1, -1
	s_mov_b32 s0, 0
	s_mov_b32 s2, 0
                                        ; implicit-def: $vgpr58_vgpr59
	s_branch .LBB11_2293
.LBB11_2251:
	s_mov_b32 s1, -1
	s_mov_b32 s0, 0
	s_mov_b32 s2, 0
                                        ; implicit-def: $vgpr58_vgpr59
	s_branch .LBB11_2272
.LBB11_2252:
	s_mov_b32 s1, -1
	s_mov_b32 s0, 0
	s_mov_b32 s2, 0
                                        ; implicit-def: $vgpr58_vgpr59
	s_branch .LBB11_2267
.LBB11_2253:
	s_cbranch_execnz .LBB11_2256
; %bb.2254:
	s_or_b32 s55, s55, exec_lo
                                        ; implicit-def: $vgpr45_vgpr46
	s_cbranch_execz .LBB11_2190
	s_branch .LBB11_2191
.LBB11_2255:
	s_mov_b32 s1, -1
	s_mov_b32 s0, 0
	s_mov_b32 s2, 0
	s_branch .LBB11_2261
.LBB11_2256:
	s_trap 2
	s_sendmsg_rtn_b32 s0, sendmsg(MSG_RTN_GET_DOORBELL)
	s_mov_b32 ttmp2, m0
	s_waitcnt lgkmcnt(0)
	s_and_b32 s0, s0, 0x3ff
	s_delay_alu instid0(SALU_CYCLE_1) | instskip(NEXT) | instid1(SALU_CYCLE_1)
	s_bitset1_b32 s0, 10
	s_mov_b32 m0, s0
	s_sendmsg sendmsg(MSG_INTERRUPT)
	s_mov_b32 m0, ttmp2
.LBB11_2257:                            ; =>This Inner Loop Header: Depth=1
	s_sethalt 5
	s_branch .LBB11_2257
.LBB11_2258:
	s_or_saveexec_b32 s3, s3
                                        ; implicit-def: $sgpr4
	s_delay_alu instid0(SALU_CYCLE_1)
	s_xor_b32 exec_lo, exec_lo, s3
	s_cbranch_execz .LBB11_1097
.LBB11_2259:
	v_add_f32_e64 v3, 0x42800000, |v2|
	s_and_not1_b32 s2, s2, exec_lo
	s_mov_b32 s4, 0
	s_delay_alu instid0(VALU_DEP_1) | instskip(NEXT) | instid1(VALU_DEP_1)
	v_and_b32_e32 v3, 0xff, v3
	v_cmp_ne_u32_e32 vcc_lo, 0, v3
	s_and_b32 s5, vcc_lo, exec_lo
	s_delay_alu instid0(SALU_CYCLE_1)
	s_or_b32 s2, s2, s5
	s_or_b32 exec_lo, exec_lo, s3
	v_mov_b32_e32 v7, s4
	s_and_saveexec_b32 s3, s2
	s_cbranch_execnz .LBB11_1098
	s_branch .LBB11_1099
.LBB11_2260:
	s_mov_b32 s2, -1
	s_mov_b32 s0, 0
.LBB11_2261:
                                        ; implicit-def: $vgpr58_vgpr59
.LBB11_2262:
	s_and_b32 vcc_lo, exec_lo, s1
	s_cbranch_vccz .LBB11_2266
; %bb.2263:
	v_cmp_eq_u16_e64 s1, s51, 44
	s_delay_alu instid0(VALU_DEP_1)
	s_and_b32 vcc_lo, exec_lo, s1
	s_cbranch_vccz .LBB11_2265
; %bb.2264:
	global_load_u8 v4, v[0:1], off
	s_mov_b32 s2, 0
	s_mov_b32 s0, -1
	s_waitcnt vmcnt(0)
	v_cmp_ne_u32_e32 vcc_lo, 0xff, v4
	v_lshlrev_b32_e32 v2, 23, v4
	s_delay_alu instid0(VALU_DEP_1) | instskip(NEXT) | instid1(VALU_DEP_1)
	v_cvt_f64_f32_e32 v[2:3], v2
	v_cndmask_b32_e32 v3, 0x7ff80000, v3, vcc_lo
	s_delay_alu instid0(VALU_DEP_2) | instskip(SKIP_1) | instid1(VALU_DEP_3)
	v_cndmask_b32_e32 v2, 0x20000000, v2, vcc_lo
	v_cmp_ne_u32_e32 vcc_lo, 0, v4
	v_cndmask_b32_e32 v59, 0x38000000, v3, vcc_lo
	s_delay_alu instid0(VALU_DEP_3)
	v_cndmask_b32_e32 v58, 0, v2, vcc_lo
	s_branch .LBB11_2266
.LBB11_2265:
	s_mov_b32 s2, -1
                                        ; implicit-def: $vgpr58_vgpr59
.LBB11_2266:
	s_mov_b32 s1, 0
.LBB11_2267:
	s_delay_alu instid0(SALU_CYCLE_1)
	s_and_b32 vcc_lo, exec_lo, s1
	s_cbranch_vccz .LBB11_2271
; %bb.2268:
	v_cmp_eq_u16_e64 s1, s51, 29
	s_delay_alu instid0(VALU_DEP_1)
	s_and_b32 vcc_lo, exec_lo, s1
	s_cbranch_vccz .LBB11_2270
; %bb.2269:
	global_load_b64 v[2:3], v[0:1], off
	s_mov_b32 s2, 0
	s_mov_b32 s0, -1
	s_mov_b32 s1, 0
	s_waitcnt vmcnt(0)
	v_cvt_f64_u32_e32 v[3:4], v3
	v_cvt_f64_u32_e32 v[5:6], v2
	s_delay_alu instid0(VALU_DEP_2) | instskip(NEXT) | instid1(VALU_DEP_1)
	v_ldexp_f64 v[3:4], v[3:4], 32
	v_add_f64 v[58:59], v[3:4], v[5:6]
	s_branch .LBB11_2272
.LBB11_2270:
	s_mov_b32 s2, -1
                                        ; implicit-def: $vgpr58_vgpr59
.LBB11_2271:
	s_mov_b32 s1, 0
.LBB11_2272:
	s_delay_alu instid0(SALU_CYCLE_1)
	s_and_b32 vcc_lo, exec_lo, s1
	s_cbranch_vccz .LBB11_2292
; %bb.2273:
	v_cmp_lt_i16_e64 s0, s51, 27
	s_delay_alu instid0(VALU_DEP_1)
	s_and_b32 vcc_lo, exec_lo, s0
	s_cbranch_vccnz .LBB11_2276
; %bb.2274:
	v_cmp_gt_i16_e64 s0, s51, 27
	s_delay_alu instid0(VALU_DEP_1)
	s_and_b32 vcc_lo, exec_lo, s0
	s_cbranch_vccz .LBB11_2277
; %bb.2275:
	global_load_b32 v2, v[0:1], off
	s_mov_b32 s0, 0
	s_waitcnt vmcnt(0)
	v_cvt_f64_u32_e32 v[58:59], v2
	s_branch .LBB11_2278
.LBB11_2276:
	s_mov_b32 s0, -1
                                        ; implicit-def: $vgpr58_vgpr59
	s_branch .LBB11_2281
.LBB11_2277:
	s_mov_b32 s0, -1
                                        ; implicit-def: $vgpr58_vgpr59
.LBB11_2278:
	s_delay_alu instid0(SALU_CYCLE_1)
	s_and_not1_b32 vcc_lo, exec_lo, s0
	s_cbranch_vccnz .LBB11_2280
; %bb.2279:
	global_load_u16 v2, v[0:1], off
	s_waitcnt vmcnt(0)
	v_cvt_f64_u32_e32 v[58:59], v2
.LBB11_2280:
	s_mov_b32 s0, 0
.LBB11_2281:
	s_delay_alu instid0(SALU_CYCLE_1)
	s_and_not1_b32 vcc_lo, exec_lo, s0
	s_cbranch_vccnz .LBB11_2291
; %bb.2282:
	global_load_u8 v2, v[0:1], off
	s_mov_b32 s4, 0
	s_mov_b32 s5, exec_lo
                                        ; implicit-def: $sgpr0_sgpr1
	s_waitcnt vmcnt(0)
	v_cmpx_lt_i16_e32 0x7f, v2
	s_xor_b32 s5, exec_lo, s5
	s_cbranch_execz .LBB11_2286
; %bb.2283:
	s_mov_b32 s6, -1
	s_mov_b32 s4, exec_lo
                                        ; implicit-def: $sgpr0_sgpr1
	v_cmpx_eq_u16_e32 0x80, v2
; %bb.2284:
	s_mov_b32 s1, 0x7ff80000
	s_brev_b32 s0, 4
	s_xor_b32 s6, exec_lo, -1
; %bb.2285:
	s_or_b32 exec_lo, exec_lo, s4
	s_delay_alu instid0(SALU_CYCLE_1)
	s_and_b32 s4, s6, exec_lo
.LBB11_2286:
	s_or_saveexec_b32 s5, s5
	v_dual_mov_b32 v59, s1 :: v_dual_mov_b32 v58, s0
	s_xor_b32 exec_lo, exec_lo, s5
; %bb.2287:
	v_cmp_ne_u16_e32 vcc_lo, 0, v2
	v_mov_b32_e32 v58, 0
	v_mov_b32_e32 v59, 0
	s_and_not1_b32 s0, s4, exec_lo
	s_and_b32 s1, vcc_lo, exec_lo
	s_delay_alu instid0(SALU_CYCLE_1)
	s_or_b32 s4, s0, s1
; %bb.2288:
	s_or_b32 exec_lo, exec_lo, s5
	s_and_saveexec_b32 s0, s4
	s_cbranch_execz .LBB11_2290
; %bb.2289:
	v_and_b32_e32 v3, 0xffff, v2
	v_lshlrev_b32_e32 v2, 24, v2
	s_delay_alu instid0(VALU_DEP_2) | instskip(NEXT) | instid1(VALU_DEP_2)
	v_and_b32_e32 v4, 7, v3
	v_and_b32_e32 v2, 0x80000000, v2
	s_delay_alu instid0(VALU_DEP_2) | instskip(NEXT) | instid1(VALU_DEP_1)
	v_clz_i32_u32_e32 v5, v4
	v_min_u32_e32 v5, 32, v5
	s_delay_alu instid0(VALU_DEP_1) | instskip(SKIP_1) | instid1(VALU_DEP_2)
	v_subrev_nc_u32_e32 v6, 28, v5
	v_sub_nc_u32_e32 v5, 29, v5
	v_lshlrev_b32_e32 v6, v6, v3
	v_bfe_u32 v3, v3, 3, 4
	s_delay_alu instid0(VALU_DEP_2) | instskip(NEXT) | instid1(VALU_DEP_2)
	v_and_b32_e32 v6, 7, v6
	v_cmp_eq_u32_e32 vcc_lo, 0, v3
	s_delay_alu instid0(VALU_DEP_2) | instskip(NEXT) | instid1(VALU_DEP_1)
	v_dual_cndmask_b32 v3, v3, v5 :: v_dual_cndmask_b32 v4, v4, v6
	v_lshl_add_u32 v3, v3, 23, 0x3b800000
	s_delay_alu instid0(VALU_DEP_2) | instskip(NEXT) | instid1(VALU_DEP_1)
	v_lshlrev_b32_e32 v4, 20, v4
	v_or3_b32 v2, v2, v3, v4
	s_delay_alu instid0(VALU_DEP_1)
	v_cvt_f64_f32_e32 v[58:59], v2
.LBB11_2290:
	s_or_b32 exec_lo, exec_lo, s0
.LBB11_2291:
	s_mov_b32 s0, -1
.LBB11_2292:
	s_mov_b32 s1, 0
.LBB11_2293:
	s_delay_alu instid0(SALU_CYCLE_1)
	s_and_b32 vcc_lo, exec_lo, s1
	s_cbranch_vccz .LBB11_2324
; %bb.2294:
	v_cmp_gt_i16_e64 s1, s51, 22
	s_delay_alu instid0(VALU_DEP_1)
	s_and_b32 vcc_lo, exec_lo, s1
	s_cbranch_vccz .LBB11_2306
; %bb.2295:
	v_cmp_lt_i16_e64 s0, s51, 24
	s_delay_alu instid0(VALU_DEP_1)
	s_and_b32 vcc_lo, exec_lo, s0
	s_cbranch_vccnz .LBB11_2307
; %bb.2296:
	v_cmp_gt_i16_e64 s0, s51, 24
	s_delay_alu instid0(VALU_DEP_1)
	s_and_b32 vcc_lo, exec_lo, s0
	s_cbranch_vccz .LBB11_2308
; %bb.2297:
	global_load_u8 v2, v[0:1], off
	s_mov_b32 s4, exec_lo
                                        ; implicit-def: $sgpr0_sgpr1
	s_waitcnt vmcnt(0)
	v_cmpx_lt_i16_e32 0x7f, v2
	s_xor_b32 s4, exec_lo, s4
	s_cbranch_execz .LBB11_2301
; %bb.2298:
	s_mov_b32 s5, -1
	s_mov_b32 s3, exec_lo
                                        ; implicit-def: $sgpr0_sgpr1
	v_cmpx_eq_u16_e32 0x80, v2
; %bb.2299:
	s_mov_b32 s1, 0x7ff80000
	s_brev_b32 s0, 4
	s_xor_b32 s5, exec_lo, -1
; %bb.2300:
	s_or_b32 exec_lo, exec_lo, s3
	s_delay_alu instid0(SALU_CYCLE_1)
	s_and_b32 s3, s5, exec_lo
.LBB11_2301:
	s_or_saveexec_b32 s4, s4
	v_dual_mov_b32 v59, s1 :: v_dual_mov_b32 v58, s0
	s_xor_b32 exec_lo, exec_lo, s4
; %bb.2302:
	v_cmp_ne_u16_e32 vcc_lo, 0, v2
	v_mov_b32_e32 v58, 0
	v_mov_b32_e32 v59, 0
	s_and_not1_b32 s0, s3, exec_lo
	s_and_b32 s1, vcc_lo, exec_lo
	s_delay_alu instid0(SALU_CYCLE_1)
	s_or_b32 s3, s0, s1
; %bb.2303:
	s_or_b32 exec_lo, exec_lo, s4
	s_and_saveexec_b32 s0, s3
	s_cbranch_execz .LBB11_2305
; %bb.2304:
	v_and_b32_e32 v3, 0xffff, v2
	v_lshlrev_b32_e32 v2, 24, v2
	s_delay_alu instid0(VALU_DEP_2) | instskip(NEXT) | instid1(VALU_DEP_2)
	v_and_b32_e32 v4, 3, v3
	v_and_b32_e32 v2, 0x80000000, v2
	s_delay_alu instid0(VALU_DEP_2) | instskip(NEXT) | instid1(VALU_DEP_1)
	v_clz_i32_u32_e32 v5, v4
	v_min_u32_e32 v5, 32, v5
	s_delay_alu instid0(VALU_DEP_1) | instskip(SKIP_1) | instid1(VALU_DEP_2)
	v_subrev_nc_u32_e32 v6, 29, v5
	v_sub_nc_u32_e32 v5, 30, v5
	v_lshlrev_b32_e32 v6, v6, v3
	v_bfe_u32 v3, v3, 2, 5
	s_delay_alu instid0(VALU_DEP_2) | instskip(NEXT) | instid1(VALU_DEP_2)
	v_and_b32_e32 v6, 3, v6
	v_cmp_eq_u32_e32 vcc_lo, 0, v3
	s_delay_alu instid0(VALU_DEP_2) | instskip(NEXT) | instid1(VALU_DEP_1)
	v_dual_cndmask_b32 v3, v3, v5 :: v_dual_cndmask_b32 v4, v4, v6
	v_lshl_add_u32 v3, v3, 23, 0x37800000
	s_delay_alu instid0(VALU_DEP_2) | instskip(NEXT) | instid1(VALU_DEP_1)
	v_lshlrev_b32_e32 v4, 21, v4
	v_or3_b32 v2, v2, v3, v4
	s_delay_alu instid0(VALU_DEP_1)
	v_cvt_f64_f32_e32 v[58:59], v2
.LBB11_2305:
	s_or_b32 exec_lo, exec_lo, s0
	s_mov_b32 s0, 0
	s_branch .LBB11_2309
.LBB11_2306:
	s_mov_b32 s1, -1
                                        ; implicit-def: $vgpr58_vgpr59
	s_branch .LBB11_2315
.LBB11_2307:
	s_mov_b32 s0, -1
                                        ; implicit-def: $vgpr58_vgpr59
	s_branch .LBB11_2312
.LBB11_2308:
	s_mov_b32 s0, -1
                                        ; implicit-def: $vgpr58_vgpr59
.LBB11_2309:
	s_delay_alu instid0(SALU_CYCLE_1)
	s_and_b32 vcc_lo, exec_lo, s0
	s_cbranch_vccz .LBB11_2311
; %bb.2310:
	global_load_u8 v2, v[0:1], off
	s_waitcnt vmcnt(0)
	v_lshlrev_b32_e32 v2, 24, v2
	s_delay_alu instid0(VALU_DEP_1) | instskip(NEXT) | instid1(VALU_DEP_1)
	v_and_b32_e32 v3, 0x7f000000, v2
	v_clz_i32_u32_e32 v4, v3
	v_add_nc_u32_e32 v6, 0x1000000, v3
	v_cmp_ne_u32_e32 vcc_lo, 0, v3
	s_delay_alu instid0(VALU_DEP_3) | instskip(NEXT) | instid1(VALU_DEP_1)
	v_min_u32_e32 v4, 32, v4
	v_sub_nc_u32_e64 v4, v4, 4 clamp
	s_delay_alu instid0(VALU_DEP_1) | instskip(SKIP_1) | instid1(VALU_DEP_2)
	v_lshlrev_b32_e32 v5, v4, v3
	v_lshlrev_b32_e32 v4, 23, v4
	v_lshrrev_b32_e32 v5, 4, v5
	s_delay_alu instid0(VALU_DEP_1) | instskip(SKIP_1) | instid1(VALU_DEP_2)
	v_sub_nc_u32_e32 v4, v5, v4
	v_ashrrev_i32_e32 v5, 8, v6
	v_add_nc_u32_e32 v4, 0x3c000000, v4
	s_delay_alu instid0(VALU_DEP_1) | instskip(NEXT) | instid1(VALU_DEP_1)
	v_and_or_b32 v4, 0x7f800000, v5, v4
	v_cndmask_b32_e32 v3, 0, v4, vcc_lo
	s_delay_alu instid0(VALU_DEP_1) | instskip(NEXT) | instid1(VALU_DEP_1)
	v_and_or_b32 v2, 0x80000000, v2, v3
	v_cvt_f64_f32_e32 v[58:59], v2
.LBB11_2311:
	s_mov_b32 s0, 0
.LBB11_2312:
	s_delay_alu instid0(SALU_CYCLE_1)
	s_and_not1_b32 vcc_lo, exec_lo, s0
	s_cbranch_vccnz .LBB11_2314
; %bb.2313:
	global_load_u8 v2, v[0:1], off
	s_waitcnt vmcnt(0)
	v_lshlrev_b32_e32 v3, 25, v2
	v_lshlrev_b16 v2, 8, v2
	s_delay_alu instid0(VALU_DEP_2) | instskip(NEXT) | instid1(VALU_DEP_2)
	v_lshrrev_b32_e32 v4, 4, v3
	v_and_or_b32 v5, 0x7f00, v2, 0.5
	v_bfe_i32 v2, v2, 0, 16
	s_delay_alu instid0(VALU_DEP_3) | instskip(NEXT) | instid1(VALU_DEP_1)
	v_or_b32_e32 v4, 0x70000000, v4
	v_dual_add_f32 v5, -0.5, v5 :: v_dual_mul_f32 v4, 0x7800000, v4
	v_cmp_gt_u32_e32 vcc_lo, 0x8000000, v3
	s_delay_alu instid0(VALU_DEP_2) | instskip(NEXT) | instid1(VALU_DEP_1)
	v_cndmask_b32_e32 v3, v4, v5, vcc_lo
	v_and_or_b32 v2, 0x80000000, v2, v3
	s_delay_alu instid0(VALU_DEP_1)
	v_cvt_f64_f32_e32 v[58:59], v2
.LBB11_2314:
	s_mov_b32 s1, 0
	s_mov_b32 s0, -1
.LBB11_2315:
	s_and_not1_b32 vcc_lo, exec_lo, s1
	s_mov_b32 s3, 0
	s_cbranch_vccnz .LBB11_2324
; %bb.2316:
	v_cmp_gt_i16_e64 s1, s51, 14
	s_delay_alu instid0(VALU_DEP_1)
	s_and_b32 vcc_lo, exec_lo, s1
	s_cbranch_vccz .LBB11_2319
; %bb.2317:
	v_cmp_eq_u16_e64 s1, s51, 15
	s_delay_alu instid0(VALU_DEP_1)
	s_and_b32 vcc_lo, exec_lo, s1
	s_cbranch_vccz .LBB11_2320
; %bb.2318:
	global_load_u16 v2, v[0:1], off
	s_mov_b32 s2, 0
	s_mov_b32 s0, -1
	s_waitcnt vmcnt(0)
	v_lshlrev_b32_e32 v2, 16, v2
	s_delay_alu instid0(VALU_DEP_1)
	v_cvt_f64_f32_e32 v[58:59], v2
	s_branch .LBB11_2321
.LBB11_2319:
	s_mov_b32 s1, -1
                                        ; implicit-def: $vgpr58_vgpr59
	s_branch .LBB11_2322
.LBB11_2320:
	s_mov_b32 s2, -1
                                        ; implicit-def: $vgpr58_vgpr59
.LBB11_2321:
	s_mov_b32 s1, 0
.LBB11_2322:
	s_delay_alu instid0(SALU_CYCLE_1)
	s_and_b32 vcc_lo, exec_lo, s1
	s_cbranch_vccz .LBB11_2324
; %bb.2323:
	v_cmp_ne_u16_e64 s2, s51, 11
	s_mov_b32 s3, -1
                                        ; implicit-def: $vgpr58_vgpr59
.LBB11_2324:
	s_delay_alu instid0(VALU_DEP_1)
	s_and_b32 vcc_lo, exec_lo, s2
	s_cbranch_vccnz .LBB11_2394
; %bb.2325:
	s_and_not1_b32 vcc_lo, exec_lo, s3
	s_cbranch_vccnz .LBB11_2327
.LBB11_2326:
	global_load_u8 v2, v[0:1], off
	s_waitcnt vmcnt(1)
	v_mov_b32_e32 v58, 0
	s_mov_b32 s0, -1
	s_waitcnt vmcnt(0)
	v_cmp_ne_u16_e32 vcc_lo, 0, v2
	v_cndmask_b32_e64 v59, 0, 0x3ff00000, vcc_lo
.LBB11_2327:
	s_mov_b32 s1, 0
.LBB11_2328:
	s_delay_alu instid0(SALU_CYCLE_1)
	s_and_b32 vcc_lo, exec_lo, s1
	s_cbranch_vccz .LBB11_2377
; %bb.2329:
	v_cmp_lt_i16_e64 s0, s51, 5
	s_delay_alu instid0(VALU_DEP_1)
	s_and_b32 vcc_lo, exec_lo, s0
	s_cbranch_vccnz .LBB11_2334
; %bb.2330:
	v_cmp_lt_i16_e64 s0, s51, 8
	s_delay_alu instid0(VALU_DEP_1)
	s_and_b32 vcc_lo, exec_lo, s0
	s_cbranch_vccnz .LBB11_2335
	;; [unrolled: 5-line block ×3, first 2 shown]
; %bb.2332:
	v_cmp_gt_i16_e64 s0, s51, 9
	s_delay_alu instid0(VALU_DEP_1)
	s_and_b32 vcc_lo, exec_lo, s0
	s_cbranch_vccz .LBB11_2337
; %bb.2333:
	global_load_b64 v[58:59], v[0:1], off
	s_mov_b32 s0, 0
	s_branch .LBB11_2338
.LBB11_2334:
	s_mov_b32 s0, -1
                                        ; implicit-def: $vgpr58_vgpr59
	s_branch .LBB11_2356
.LBB11_2335:
	s_mov_b32 s0, -1
                                        ; implicit-def: $vgpr58_vgpr59
	s_branch .LBB11_2344
.LBB11_2336:
	s_mov_b32 s0, -1
                                        ; implicit-def: $vgpr58_vgpr59
	s_branch .LBB11_2341
.LBB11_2337:
	s_mov_b32 s0, -1
                                        ; implicit-def: $vgpr58_vgpr59
.LBB11_2338:
	s_delay_alu instid0(SALU_CYCLE_1)
	s_and_not1_b32 vcc_lo, exec_lo, s0
	s_cbranch_vccnz .LBB11_2340
; %bb.2339:
	global_load_b32 v2, v[0:1], off
	s_waitcnt vmcnt(0)
	v_cvt_f64_f32_e32 v[58:59], v2
.LBB11_2340:
	s_mov_b32 s0, 0
.LBB11_2341:
	s_delay_alu instid0(SALU_CYCLE_1)
	s_and_not1_b32 vcc_lo, exec_lo, s0
	s_cbranch_vccnz .LBB11_2343
; %bb.2342:
	global_load_b32 v2, v[0:1], off
	s_waitcnt vmcnt(0)
	v_cvt_f32_f16_e32 v2, v2
	s_delay_alu instid0(VALU_DEP_1)
	v_cvt_f64_f32_e32 v[58:59], v2
.LBB11_2343:
	s_mov_b32 s0, 0
.LBB11_2344:
	s_delay_alu instid0(SALU_CYCLE_1)
	s_and_not1_b32 vcc_lo, exec_lo, s0
	s_cbranch_vccnz .LBB11_2355
; %bb.2345:
	v_cmp_lt_i16_e64 s0, s51, 6
	s_delay_alu instid0(VALU_DEP_1)
	s_and_b32 vcc_lo, exec_lo, s0
	s_cbranch_vccnz .LBB11_2348
; %bb.2346:
	v_cmp_gt_i16_e64 s0, s51, 6
	s_delay_alu instid0(VALU_DEP_1)
	s_and_b32 vcc_lo, exec_lo, s0
	s_cbranch_vccz .LBB11_2349
; %bb.2347:
	global_load_b64 v[58:59], v[0:1], off
	s_mov_b32 s0, 0
	s_branch .LBB11_2350
.LBB11_2348:
	s_mov_b32 s0, -1
                                        ; implicit-def: $vgpr58_vgpr59
	s_branch .LBB11_2353
.LBB11_2349:
	s_mov_b32 s0, -1
                                        ; implicit-def: $vgpr58_vgpr59
.LBB11_2350:
	s_delay_alu instid0(SALU_CYCLE_1)
	s_and_not1_b32 vcc_lo, exec_lo, s0
	s_cbranch_vccnz .LBB11_2352
; %bb.2351:
	global_load_b32 v2, v[0:1], off
	s_waitcnt vmcnt(0)
	v_cvt_f64_f32_e32 v[58:59], v2
.LBB11_2352:
	s_mov_b32 s0, 0
.LBB11_2353:
	s_delay_alu instid0(SALU_CYCLE_1)
	s_and_not1_b32 vcc_lo, exec_lo, s0
	s_cbranch_vccnz .LBB11_2355
; %bb.2354:
	global_load_u16 v2, v[0:1], off
	s_waitcnt vmcnt(0)
	v_cvt_f32_f16_e32 v2, v2
	s_delay_alu instid0(VALU_DEP_1)
	v_cvt_f64_f32_e32 v[58:59], v2
.LBB11_2355:
	s_mov_b32 s0, 0
.LBB11_2356:
	s_delay_alu instid0(SALU_CYCLE_1)
	s_and_not1_b32 vcc_lo, exec_lo, s0
	s_cbranch_vccnz .LBB11_2376
; %bb.2357:
	v_cmp_lt_i16_e64 s0, s51, 2
	s_delay_alu instid0(VALU_DEP_1)
	s_and_b32 vcc_lo, exec_lo, s0
	s_cbranch_vccnz .LBB11_2361
; %bb.2358:
	v_cmp_lt_i16_e64 s0, s51, 3
	s_delay_alu instid0(VALU_DEP_1)
	s_and_b32 vcc_lo, exec_lo, s0
	s_cbranch_vccnz .LBB11_2362
; %bb.2359:
	v_cmp_gt_i16_e64 s0, s51, 3
	s_delay_alu instid0(VALU_DEP_1)
	s_and_b32 vcc_lo, exec_lo, s0
	s_cbranch_vccz .LBB11_2363
; %bb.2360:
	global_load_b64 v[2:3], v[0:1], off
	s_mov_b32 s0, 0
	s_waitcnt vmcnt(0)
	v_cvt_f64_i32_e32 v[3:4], v3
	v_cvt_f64_u32_e32 v[5:6], v2
	s_delay_alu instid0(VALU_DEP_2) | instskip(NEXT) | instid1(VALU_DEP_1)
	v_ldexp_f64 v[3:4], v[3:4], 32
	v_add_f64 v[58:59], v[3:4], v[5:6]
	s_branch .LBB11_2364
.LBB11_2361:
	s_mov_b32 s0, -1
                                        ; implicit-def: $vgpr58_vgpr59
	s_branch .LBB11_2370
.LBB11_2362:
	s_mov_b32 s0, -1
                                        ; implicit-def: $vgpr58_vgpr59
	s_branch .LBB11_2367
.LBB11_2363:
	s_mov_b32 s0, -1
                                        ; implicit-def: $vgpr58_vgpr59
.LBB11_2364:
	s_delay_alu instid0(SALU_CYCLE_1)
	s_and_not1_b32 vcc_lo, exec_lo, s0
	s_cbranch_vccnz .LBB11_2366
; %bb.2365:
	global_load_b32 v2, v[0:1], off
	s_waitcnt vmcnt(0)
	v_cvt_f64_i32_e32 v[58:59], v2
.LBB11_2366:
	s_mov_b32 s0, 0
.LBB11_2367:
	s_delay_alu instid0(SALU_CYCLE_1)
	s_and_not1_b32 vcc_lo, exec_lo, s0
	s_cbranch_vccnz .LBB11_2369
; %bb.2368:
	global_load_i16 v2, v[0:1], off
	s_waitcnt vmcnt(0)
	v_cvt_f64_i32_e32 v[58:59], v2
.LBB11_2369:
	s_mov_b32 s0, 0
.LBB11_2370:
	s_delay_alu instid0(SALU_CYCLE_1)
	s_and_not1_b32 vcc_lo, exec_lo, s0
	s_cbranch_vccnz .LBB11_2376
; %bb.2371:
	v_cmp_gt_i16_e64 s0, s51, 0
	s_delay_alu instid0(VALU_DEP_1)
	s_and_b32 vcc_lo, exec_lo, s0
	s_mov_b32 s0, 0
	s_cbranch_vccz .LBB11_2373
; %bb.2372:
	global_load_i8 v2, v[0:1], off
	s_waitcnt vmcnt(0)
	v_cvt_f64_i32_e32 v[58:59], v2
	s_branch .LBB11_2374
.LBB11_2373:
	s_mov_b32 s0, -1
                                        ; implicit-def: $vgpr58_vgpr59
.LBB11_2374:
	s_delay_alu instid0(SALU_CYCLE_1)
	s_and_not1_b32 vcc_lo, exec_lo, s0
	s_cbranch_vccnz .LBB11_2376
; %bb.2375:
	global_load_u8 v0, v[0:1], off
	s_waitcnt vmcnt(0)
	v_cvt_f64_u32_e32 v[58:59], v0
.LBB11_2376:
	s_mov_b32 s0, -1
.LBB11_2377:
	s_delay_alu instid0(SALU_CYCLE_1)
	s_and_not1_b32 vcc_lo, exec_lo, s0
	s_cbranch_vccnz .LBB11_2653
; %bb.2378:
	s_and_b32 vcc_lo, exec_lo, s54
	s_cbranch_vccz .LBB11_2380
; %bb.2379:
	s_waitcnt vmcnt(0)
	v_dual_mov_b32 v0, v45 :: v_dual_mov_b32 v1, v46
	s_delay_alu instid0(VALU_DEP_2) | instskip(SKIP_3) | instid1(SALU_CYCLE_1)
	v_dual_mov_b32 v2, v58 :: v_dual_mov_b32 v3, v59
	s_getpc_b64 s[0:1]
	s_add_u32 s0, s0, _ZN12_GLOBAL__N_111calc_igammaIdEET_S1_S1_@rel32@lo+4
	s_addc_u32 s1, s1, _ZN12_GLOBAL__N_111calc_igammaIdEET_S1_S1_@rel32@hi+12
	s_swappc_b64 s[30:31], s[0:1]
	v_dual_mov_b32 v60, v0 :: v_dual_mov_b32 v61, v1
	s_mov_b32 s0, 0
	s_branch .LBB11_2381
.LBB11_2380:
	s_mov_b32 s0, -1
                                        ; implicit-def: $vgpr60_vgpr61
.LBB11_2381:
	s_delay_alu instid0(SALU_CYCLE_1)
	s_and_not1_b32 vcc_lo, exec_lo, s0
	s_cbranch_vccnz .LBB11_2383
; %bb.2382:
	s_waitcnt vmcnt(0)
	v_dual_mov_b32 v0, v45 :: v_dual_mov_b32 v1, v46
	s_delay_alu instid0(VALU_DEP_2) | instskip(SKIP_3) | instid1(SALU_CYCLE_1)
	v_dual_mov_b32 v2, v58 :: v_dual_mov_b32 v3, v59
	s_getpc_b64 s[0:1]
	s_add_u32 s0, s0, _ZN12_GLOBAL__N_112calc_igammacIdEET_S1_S1_@rel32@lo+4
	s_addc_u32 s1, s1, _ZN12_GLOBAL__N_112calc_igammacIdEET_S1_S1_@rel32@hi+12
	s_swappc_b64 s[30:31], s[0:1]
	v_dual_mov_b32 v60, v0 :: v_dual_mov_b32 v61, v1
.LBB11_2383:
	v_add_nc_u32_e32 v0, s49, v63
	v_cmp_gt_i16_e32 vcc_lo, 11, v62
	s_delay_alu instid0(VALU_DEP_2) | instskip(SKIP_1) | instid1(VALU_DEP_1)
	v_ashrrev_i32_e32 v1, 31, v0
	v_add_co_u32 v0, s0, s46, v0
	v_add_co_ci_u32_e64 v1, s0, s47, v1, s0
	s_cbranch_vccnz .LBB11_2390
; %bb.2384:
	v_cmp_lt_i16_e32 vcc_lo, 25, v62
	s_mov_b32 s3, 0
	s_cbranch_vccz .LBB11_2391
; %bb.2385:
	v_cmp_lt_i16_e32 vcc_lo, 28, v62
	s_cbranch_vccz .LBB11_2392
; %bb.2386:
	v_cmp_lt_i16_e32 vcc_lo, 43, v62
	;; [unrolled: 3-line block ×3, first 2 shown]
	s_cbranch_vccz .LBB11_2396
; %bb.2388:
	v_cmp_eq_u16_e32 vcc_lo, 46, v62
	s_mov_b32 s1, 0
	s_cbranch_vccz .LBB11_2399
; %bb.2389:
	global_load_b32 v2, v[0:1], off
	s_mov_b32 s2, 0
	s_mov_b32 s0, -1
	s_waitcnt vmcnt(0)
	v_lshlrev_b32_e32 v2, 16, v2
	s_delay_alu instid0(VALU_DEP_1)
	v_cvt_f64_f32_e32 v[45:46], v2
	s_branch .LBB11_2401
.LBB11_2390:
	s_mov_b32 s1, -1
	s_mov_b32 s0, 0
                                        ; implicit-def: $vgpr45_vgpr46
	s_branch .LBB11_2467
.LBB11_2391:
	s_mov_b32 s1, -1
	s_mov_b32 s0, 0
	s_mov_b32 s2, 0
                                        ; implicit-def: $vgpr45_vgpr46
	s_branch .LBB11_2432
.LBB11_2392:
	s_mov_b32 s1, -1
	s_mov_b32 s0, 0
	s_mov_b32 s2, 0
                                        ; implicit-def: $vgpr45_vgpr46
	s_branch .LBB11_2411
.LBB11_2393:
	s_mov_b32 s1, -1
	s_mov_b32 s0, 0
	s_mov_b32 s2, 0
                                        ; implicit-def: $vgpr45_vgpr46
	s_branch .LBB11_2406
.LBB11_2394:
	s_cbranch_execnz .LBB11_2397
; %bb.2395:
	s_or_b32 s55, s55, exec_lo
                                        ; implicit-def: $vgpr58_vgpr59
	s_cbranch_execz .LBB11_2326
	s_branch .LBB11_2327
.LBB11_2396:
	s_mov_b32 s1, -1
	s_mov_b32 s0, 0
	s_mov_b32 s2, 0
	s_branch .LBB11_2400
.LBB11_2397:
	s_trap 2
	s_sendmsg_rtn_b32 s0, sendmsg(MSG_RTN_GET_DOORBELL)
	s_mov_b32 ttmp2, m0
	s_waitcnt lgkmcnt(0)
	s_and_b32 s0, s0, 0x3ff
	s_delay_alu instid0(SALU_CYCLE_1) | instskip(NEXT) | instid1(SALU_CYCLE_1)
	s_bitset1_b32 s0, 10
	s_mov_b32 m0, s0
	s_sendmsg sendmsg(MSG_INTERRUPT)
	s_mov_b32 m0, ttmp2
.LBB11_2398:                            ; =>This Inner Loop Header: Depth=1
	s_sethalt 5
	s_branch .LBB11_2398
.LBB11_2399:
	s_mov_b32 s2, -1
	s_mov_b32 s0, 0
.LBB11_2400:
                                        ; implicit-def: $vgpr45_vgpr46
.LBB11_2401:
	s_and_b32 vcc_lo, exec_lo, s1
	s_cbranch_vccz .LBB11_2405
; %bb.2402:
	v_cmp_eq_u16_e32 vcc_lo, 44, v62
	s_cbranch_vccz .LBB11_2404
; %bb.2403:
	global_load_u8 v4, v[0:1], off
	s_mov_b32 s2, 0
	s_mov_b32 s0, -1
	s_waitcnt vmcnt(0)
	v_cmp_ne_u32_e32 vcc_lo, 0xff, v4
	v_lshlrev_b32_e32 v2, 23, v4
	s_delay_alu instid0(VALU_DEP_1) | instskip(NEXT) | instid1(VALU_DEP_1)
	v_cvt_f64_f32_e32 v[2:3], v2
	v_cndmask_b32_e32 v3, 0x7ff80000, v3, vcc_lo
	s_delay_alu instid0(VALU_DEP_2) | instskip(SKIP_1) | instid1(VALU_DEP_3)
	v_cndmask_b32_e32 v2, 0x20000000, v2, vcc_lo
	v_cmp_ne_u32_e32 vcc_lo, 0, v4
	v_cndmask_b32_e32 v46, 0x38000000, v3, vcc_lo
	s_delay_alu instid0(VALU_DEP_3)
	v_cndmask_b32_e32 v45, 0, v2, vcc_lo
	s_branch .LBB11_2405
.LBB11_2404:
	s_mov_b32 s2, -1
                                        ; implicit-def: $vgpr45_vgpr46
.LBB11_2405:
	s_mov_b32 s1, 0
.LBB11_2406:
	s_delay_alu instid0(SALU_CYCLE_1)
	s_and_b32 vcc_lo, exec_lo, s1
	s_cbranch_vccz .LBB11_2410
; %bb.2407:
	v_cmp_eq_u16_e32 vcc_lo, 29, v62
	s_cbranch_vccz .LBB11_2409
; %bb.2408:
	global_load_b64 v[2:3], v[0:1], off
	s_mov_b32 s2, 0
	s_mov_b32 s0, -1
	s_mov_b32 s1, 0
	s_waitcnt vmcnt(0)
	v_cvt_f64_u32_e32 v[3:4], v3
	v_cvt_f64_u32_e32 v[5:6], v2
	s_delay_alu instid0(VALU_DEP_2) | instskip(NEXT) | instid1(VALU_DEP_1)
	v_ldexp_f64 v[3:4], v[3:4], 32
	v_add_f64 v[45:46], v[3:4], v[5:6]
	s_branch .LBB11_2411
.LBB11_2409:
	s_mov_b32 s2, -1
                                        ; implicit-def: $vgpr45_vgpr46
.LBB11_2410:
	s_mov_b32 s1, 0
.LBB11_2411:
	s_delay_alu instid0(SALU_CYCLE_1)
	s_and_b32 vcc_lo, exec_lo, s1
	s_cbranch_vccz .LBB11_2431
; %bb.2412:
	v_cmp_gt_i16_e32 vcc_lo, 27, v62
	s_cbranch_vccnz .LBB11_2415
; %bb.2413:
	v_cmp_lt_i16_e32 vcc_lo, 27, v62
	s_cbranch_vccz .LBB11_2416
; %bb.2414:
	global_load_b32 v2, v[0:1], off
	s_mov_b32 s0, 0
	s_waitcnt vmcnt(0)
	v_cvt_f64_u32_e32 v[45:46], v2
	s_branch .LBB11_2417
.LBB11_2415:
	s_mov_b32 s0, -1
                                        ; implicit-def: $vgpr45_vgpr46
	s_branch .LBB11_2420
.LBB11_2416:
	s_mov_b32 s0, -1
                                        ; implicit-def: $vgpr45_vgpr46
.LBB11_2417:
	s_delay_alu instid0(SALU_CYCLE_1)
	s_and_not1_b32 vcc_lo, exec_lo, s0
	s_cbranch_vccnz .LBB11_2419
; %bb.2418:
	global_load_u16 v2, v[0:1], off
	s_waitcnt vmcnt(0)
	v_cvt_f64_u32_e32 v[45:46], v2
.LBB11_2419:
	s_mov_b32 s0, 0
.LBB11_2420:
	s_delay_alu instid0(SALU_CYCLE_1)
	s_and_not1_b32 vcc_lo, exec_lo, s0
	s_cbranch_vccnz .LBB11_2430
; %bb.2421:
	global_load_u8 v2, v[0:1], off
	s_mov_b32 s4, 0
	s_mov_b32 s5, exec_lo
                                        ; implicit-def: $sgpr0_sgpr1
	s_waitcnt vmcnt(0)
	v_cmpx_lt_i16_e32 0x7f, v2
	s_xor_b32 s5, exec_lo, s5
	s_cbranch_execz .LBB11_2425
; %bb.2422:
	s_mov_b32 s6, -1
	s_mov_b32 s4, exec_lo
                                        ; implicit-def: $sgpr0_sgpr1
	v_cmpx_eq_u16_e32 0x80, v2
; %bb.2423:
	s_mov_b32 s1, 0x7ff80000
	s_brev_b32 s0, 4
	s_xor_b32 s6, exec_lo, -1
; %bb.2424:
	s_or_b32 exec_lo, exec_lo, s4
	s_delay_alu instid0(SALU_CYCLE_1)
	s_and_b32 s4, s6, exec_lo
.LBB11_2425:
	s_or_saveexec_b32 s5, s5
	v_dual_mov_b32 v46, s1 :: v_dual_mov_b32 v45, s0
	s_xor_b32 exec_lo, exec_lo, s5
; %bb.2426:
	v_cmp_ne_u16_e32 vcc_lo, 0, v2
	v_mov_b32_e32 v45, 0
	v_mov_b32_e32 v46, 0
	s_and_not1_b32 s0, s4, exec_lo
	s_and_b32 s1, vcc_lo, exec_lo
	s_delay_alu instid0(SALU_CYCLE_1)
	s_or_b32 s4, s0, s1
; %bb.2427:
	s_or_b32 exec_lo, exec_lo, s5
	s_and_saveexec_b32 s0, s4
	s_cbranch_execz .LBB11_2429
; %bb.2428:
	v_and_b32_e32 v3, 0xffff, v2
	v_lshlrev_b32_e32 v2, 24, v2
	s_delay_alu instid0(VALU_DEP_2) | instskip(NEXT) | instid1(VALU_DEP_2)
	v_and_b32_e32 v4, 7, v3
	v_and_b32_e32 v2, 0x80000000, v2
	s_delay_alu instid0(VALU_DEP_2) | instskip(NEXT) | instid1(VALU_DEP_1)
	v_clz_i32_u32_e32 v5, v4
	v_min_u32_e32 v5, 32, v5
	s_delay_alu instid0(VALU_DEP_1) | instskip(SKIP_1) | instid1(VALU_DEP_2)
	v_subrev_nc_u32_e32 v6, 28, v5
	v_sub_nc_u32_e32 v5, 29, v5
	v_lshlrev_b32_e32 v6, v6, v3
	v_bfe_u32 v3, v3, 3, 4
	s_delay_alu instid0(VALU_DEP_2) | instskip(NEXT) | instid1(VALU_DEP_2)
	v_and_b32_e32 v6, 7, v6
	v_cmp_eq_u32_e32 vcc_lo, 0, v3
	s_delay_alu instid0(VALU_DEP_2) | instskip(NEXT) | instid1(VALU_DEP_1)
	v_dual_cndmask_b32 v3, v3, v5 :: v_dual_cndmask_b32 v4, v4, v6
	v_lshl_add_u32 v3, v3, 23, 0x3b800000
	s_delay_alu instid0(VALU_DEP_2) | instskip(NEXT) | instid1(VALU_DEP_1)
	v_lshlrev_b32_e32 v4, 20, v4
	v_or3_b32 v2, v2, v3, v4
	s_delay_alu instid0(VALU_DEP_1)
	v_cvt_f64_f32_e32 v[45:46], v2
.LBB11_2429:
	s_or_b32 exec_lo, exec_lo, s0
.LBB11_2430:
	s_mov_b32 s0, -1
.LBB11_2431:
	s_mov_b32 s1, 0
.LBB11_2432:
	s_delay_alu instid0(SALU_CYCLE_1)
	s_and_b32 vcc_lo, exec_lo, s1
	s_cbranch_vccz .LBB11_2463
; %bb.2433:
	v_cmp_lt_i16_e32 vcc_lo, 22, v62
	s_cbranch_vccz .LBB11_2445
; %bb.2434:
	v_cmp_gt_i16_e32 vcc_lo, 24, v62
	s_cbranch_vccnz .LBB11_2446
; %bb.2435:
	v_cmp_lt_i16_e32 vcc_lo, 24, v62
	s_cbranch_vccz .LBB11_2447
; %bb.2436:
	global_load_u8 v2, v[0:1], off
	s_mov_b32 s4, exec_lo
                                        ; implicit-def: $sgpr0_sgpr1
	s_waitcnt vmcnt(0)
	v_cmpx_lt_i16_e32 0x7f, v2
	s_xor_b32 s4, exec_lo, s4
	s_cbranch_execz .LBB11_2440
; %bb.2437:
	s_mov_b32 s5, -1
	s_mov_b32 s3, exec_lo
                                        ; implicit-def: $sgpr0_sgpr1
	v_cmpx_eq_u16_e32 0x80, v2
; %bb.2438:
	s_mov_b32 s1, 0x7ff80000
	s_brev_b32 s0, 4
	s_xor_b32 s5, exec_lo, -1
; %bb.2439:
	s_or_b32 exec_lo, exec_lo, s3
	s_delay_alu instid0(SALU_CYCLE_1)
	s_and_b32 s3, s5, exec_lo
.LBB11_2440:
	s_or_saveexec_b32 s4, s4
	v_dual_mov_b32 v46, s1 :: v_dual_mov_b32 v45, s0
	s_xor_b32 exec_lo, exec_lo, s4
; %bb.2441:
	v_cmp_ne_u16_e32 vcc_lo, 0, v2
	v_mov_b32_e32 v45, 0
	v_mov_b32_e32 v46, 0
	s_and_not1_b32 s0, s3, exec_lo
	s_and_b32 s1, vcc_lo, exec_lo
	s_delay_alu instid0(SALU_CYCLE_1)
	s_or_b32 s3, s0, s1
; %bb.2442:
	s_or_b32 exec_lo, exec_lo, s4
	s_and_saveexec_b32 s0, s3
	s_cbranch_execz .LBB11_2444
; %bb.2443:
	v_and_b32_e32 v3, 0xffff, v2
	v_lshlrev_b32_e32 v2, 24, v2
	s_delay_alu instid0(VALU_DEP_2) | instskip(NEXT) | instid1(VALU_DEP_2)
	v_and_b32_e32 v4, 3, v3
	v_and_b32_e32 v2, 0x80000000, v2
	s_delay_alu instid0(VALU_DEP_2) | instskip(NEXT) | instid1(VALU_DEP_1)
	v_clz_i32_u32_e32 v5, v4
	v_min_u32_e32 v5, 32, v5
	s_delay_alu instid0(VALU_DEP_1) | instskip(SKIP_1) | instid1(VALU_DEP_2)
	v_subrev_nc_u32_e32 v6, 29, v5
	v_sub_nc_u32_e32 v5, 30, v5
	v_lshlrev_b32_e32 v6, v6, v3
	v_bfe_u32 v3, v3, 2, 5
	s_delay_alu instid0(VALU_DEP_2) | instskip(NEXT) | instid1(VALU_DEP_2)
	v_and_b32_e32 v6, 3, v6
	v_cmp_eq_u32_e32 vcc_lo, 0, v3
	s_delay_alu instid0(VALU_DEP_2) | instskip(NEXT) | instid1(VALU_DEP_1)
	v_dual_cndmask_b32 v3, v3, v5 :: v_dual_cndmask_b32 v4, v4, v6
	v_lshl_add_u32 v3, v3, 23, 0x37800000
	s_delay_alu instid0(VALU_DEP_2) | instskip(NEXT) | instid1(VALU_DEP_1)
	v_lshlrev_b32_e32 v4, 21, v4
	v_or3_b32 v2, v2, v3, v4
	s_delay_alu instid0(VALU_DEP_1)
	v_cvt_f64_f32_e32 v[45:46], v2
.LBB11_2444:
	s_or_b32 exec_lo, exec_lo, s0
	s_mov_b32 s0, 0
	s_branch .LBB11_2448
.LBB11_2445:
	s_mov_b32 s1, -1
                                        ; implicit-def: $vgpr45_vgpr46
	s_branch .LBB11_2454
.LBB11_2446:
	s_mov_b32 s0, -1
                                        ; implicit-def: $vgpr45_vgpr46
	s_branch .LBB11_2451
.LBB11_2447:
	s_mov_b32 s0, -1
                                        ; implicit-def: $vgpr45_vgpr46
.LBB11_2448:
	s_delay_alu instid0(SALU_CYCLE_1)
	s_and_b32 vcc_lo, exec_lo, s0
	s_cbranch_vccz .LBB11_2450
; %bb.2449:
	global_load_u8 v2, v[0:1], off
	s_waitcnt vmcnt(0)
	v_lshlrev_b32_e32 v2, 24, v2
	s_delay_alu instid0(VALU_DEP_1) | instskip(NEXT) | instid1(VALU_DEP_1)
	v_and_b32_e32 v3, 0x7f000000, v2
	v_clz_i32_u32_e32 v4, v3
	v_add_nc_u32_e32 v6, 0x1000000, v3
	v_cmp_ne_u32_e32 vcc_lo, 0, v3
	s_delay_alu instid0(VALU_DEP_3) | instskip(NEXT) | instid1(VALU_DEP_1)
	v_min_u32_e32 v4, 32, v4
	v_sub_nc_u32_e64 v4, v4, 4 clamp
	s_delay_alu instid0(VALU_DEP_1) | instskip(SKIP_1) | instid1(VALU_DEP_2)
	v_lshlrev_b32_e32 v5, v4, v3
	v_lshlrev_b32_e32 v4, 23, v4
	v_lshrrev_b32_e32 v5, 4, v5
	s_delay_alu instid0(VALU_DEP_1) | instskip(SKIP_1) | instid1(VALU_DEP_2)
	v_sub_nc_u32_e32 v4, v5, v4
	v_ashrrev_i32_e32 v5, 8, v6
	v_add_nc_u32_e32 v4, 0x3c000000, v4
	s_delay_alu instid0(VALU_DEP_1) | instskip(NEXT) | instid1(VALU_DEP_1)
	v_and_or_b32 v4, 0x7f800000, v5, v4
	v_cndmask_b32_e32 v3, 0, v4, vcc_lo
	s_delay_alu instid0(VALU_DEP_1) | instskip(NEXT) | instid1(VALU_DEP_1)
	v_and_or_b32 v2, 0x80000000, v2, v3
	v_cvt_f64_f32_e32 v[45:46], v2
.LBB11_2450:
	s_mov_b32 s0, 0
.LBB11_2451:
	s_delay_alu instid0(SALU_CYCLE_1)
	s_and_not1_b32 vcc_lo, exec_lo, s0
	s_cbranch_vccnz .LBB11_2453
; %bb.2452:
	global_load_u8 v2, v[0:1], off
	s_waitcnt vmcnt(0)
	v_lshlrev_b32_e32 v3, 25, v2
	v_lshlrev_b16 v2, 8, v2
	s_delay_alu instid0(VALU_DEP_2) | instskip(NEXT) | instid1(VALU_DEP_2)
	v_lshrrev_b32_e32 v4, 4, v3
	v_and_or_b32 v5, 0x7f00, v2, 0.5
	v_bfe_i32 v2, v2, 0, 16
	s_delay_alu instid0(VALU_DEP_3) | instskip(NEXT) | instid1(VALU_DEP_1)
	v_or_b32_e32 v4, 0x70000000, v4
	v_dual_add_f32 v5, -0.5, v5 :: v_dual_mul_f32 v4, 0x7800000, v4
	v_cmp_gt_u32_e32 vcc_lo, 0x8000000, v3
	s_delay_alu instid0(VALU_DEP_2) | instskip(NEXT) | instid1(VALU_DEP_1)
	v_cndmask_b32_e32 v3, v4, v5, vcc_lo
	v_and_or_b32 v2, 0x80000000, v2, v3
	s_delay_alu instid0(VALU_DEP_1)
	v_cvt_f64_f32_e32 v[45:46], v2
.LBB11_2453:
	s_mov_b32 s1, 0
	s_mov_b32 s0, -1
.LBB11_2454:
	s_and_not1_b32 vcc_lo, exec_lo, s1
	s_mov_b32 s3, 0
	s_cbranch_vccnz .LBB11_2463
; %bb.2455:
	v_cmp_lt_i16_e32 vcc_lo, 14, v62
	s_cbranch_vccz .LBB11_2458
; %bb.2456:
	v_cmp_eq_u16_e32 vcc_lo, 15, v62
	s_cbranch_vccz .LBB11_2459
; %bb.2457:
	global_load_u16 v2, v[0:1], off
	s_mov_b32 s2, 0
	s_mov_b32 s0, -1
	s_waitcnt vmcnt(0)
	v_lshlrev_b32_e32 v2, 16, v2
	s_delay_alu instid0(VALU_DEP_1)
	v_cvt_f64_f32_e32 v[45:46], v2
	s_branch .LBB11_2460
.LBB11_2458:
	s_mov_b32 s1, -1
                                        ; implicit-def: $vgpr45_vgpr46
	s_branch .LBB11_2461
.LBB11_2459:
	s_mov_b32 s2, -1
                                        ; implicit-def: $vgpr45_vgpr46
.LBB11_2460:
	s_mov_b32 s1, 0
.LBB11_2461:
	s_delay_alu instid0(SALU_CYCLE_1)
	s_and_b32 vcc_lo, exec_lo, s1
	s_cbranch_vccz .LBB11_2463
; %bb.2462:
	v_cmp_ne_u16_e64 s2, 11, v62
	s_mov_b32 s3, -1
                                        ; implicit-def: $vgpr45_vgpr46
.LBB11_2463:
	s_delay_alu instid0(VALU_DEP_1)
	s_and_b32 vcc_lo, exec_lo, s2
	s_cbranch_vccnz .LBB11_2528
; %bb.2464:
	s_and_not1_b32 vcc_lo, exec_lo, s3
	s_cbranch_vccnz .LBB11_2466
.LBB11_2465:
	global_load_u8 v2, v[0:1], off
	s_waitcnt vmcnt(1)
	v_mov_b32_e32 v45, 0
	s_mov_b32 s0, -1
	s_waitcnt vmcnt(0)
	v_cmp_ne_u16_e32 vcc_lo, 0, v2
	v_cndmask_b32_e64 v46, 0, 0x3ff00000, vcc_lo
.LBB11_2466:
	s_mov_b32 s1, 0
.LBB11_2467:
	s_delay_alu instid0(SALU_CYCLE_1)
	s_and_b32 vcc_lo, exec_lo, s1
	s_cbranch_vccz .LBB11_2516
; %bb.2468:
	v_cmp_gt_i16_e32 vcc_lo, 5, v62
	s_cbranch_vccnz .LBB11_2473
; %bb.2469:
	v_cmp_gt_i16_e32 vcc_lo, 8, v62
	s_cbranch_vccnz .LBB11_2474
	;; [unrolled: 3-line block ×3, first 2 shown]
; %bb.2471:
	v_cmp_lt_i16_e32 vcc_lo, 9, v62
	s_cbranch_vccz .LBB11_2476
; %bb.2472:
	global_load_b64 v[45:46], v[0:1], off
	s_mov_b32 s0, 0
	s_branch .LBB11_2477
.LBB11_2473:
	s_mov_b32 s0, -1
                                        ; implicit-def: $vgpr45_vgpr46
	s_branch .LBB11_2495
.LBB11_2474:
	s_mov_b32 s0, -1
                                        ; implicit-def: $vgpr45_vgpr46
	s_branch .LBB11_2483
.LBB11_2475:
	s_mov_b32 s0, -1
                                        ; implicit-def: $vgpr45_vgpr46
	s_branch .LBB11_2480
.LBB11_2476:
	s_mov_b32 s0, -1
                                        ; implicit-def: $vgpr45_vgpr46
.LBB11_2477:
	s_delay_alu instid0(SALU_CYCLE_1)
	s_and_not1_b32 vcc_lo, exec_lo, s0
	s_cbranch_vccnz .LBB11_2479
; %bb.2478:
	global_load_b32 v2, v[0:1], off
	s_waitcnt vmcnt(0)
	v_cvt_f64_f32_e32 v[45:46], v2
.LBB11_2479:
	s_mov_b32 s0, 0
.LBB11_2480:
	s_delay_alu instid0(SALU_CYCLE_1)
	s_and_not1_b32 vcc_lo, exec_lo, s0
	s_cbranch_vccnz .LBB11_2482
; %bb.2481:
	global_load_b32 v2, v[0:1], off
	s_waitcnt vmcnt(0)
	v_cvt_f32_f16_e32 v2, v2
	s_delay_alu instid0(VALU_DEP_1)
	v_cvt_f64_f32_e32 v[45:46], v2
.LBB11_2482:
	s_mov_b32 s0, 0
.LBB11_2483:
	s_delay_alu instid0(SALU_CYCLE_1)
	s_and_not1_b32 vcc_lo, exec_lo, s0
	s_cbranch_vccnz .LBB11_2494
; %bb.2484:
	v_cmp_gt_i16_e32 vcc_lo, 6, v62
	s_cbranch_vccnz .LBB11_2487
; %bb.2485:
	v_cmp_lt_i16_e32 vcc_lo, 6, v62
	s_cbranch_vccz .LBB11_2488
; %bb.2486:
	global_load_b64 v[45:46], v[0:1], off
	s_mov_b32 s0, 0
	s_branch .LBB11_2489
.LBB11_2487:
	s_mov_b32 s0, -1
                                        ; implicit-def: $vgpr45_vgpr46
	s_branch .LBB11_2492
.LBB11_2488:
	s_mov_b32 s0, -1
                                        ; implicit-def: $vgpr45_vgpr46
.LBB11_2489:
	s_delay_alu instid0(SALU_CYCLE_1)
	s_and_not1_b32 vcc_lo, exec_lo, s0
	s_cbranch_vccnz .LBB11_2491
; %bb.2490:
	global_load_b32 v2, v[0:1], off
	s_waitcnt vmcnt(0)
	v_cvt_f64_f32_e32 v[45:46], v2
.LBB11_2491:
	s_mov_b32 s0, 0
.LBB11_2492:
	s_delay_alu instid0(SALU_CYCLE_1)
	s_and_not1_b32 vcc_lo, exec_lo, s0
	s_cbranch_vccnz .LBB11_2494
; %bb.2493:
	global_load_u16 v2, v[0:1], off
	s_waitcnt vmcnt(0)
	v_cvt_f32_f16_e32 v2, v2
	s_delay_alu instid0(VALU_DEP_1)
	v_cvt_f64_f32_e32 v[45:46], v2
.LBB11_2494:
	s_mov_b32 s0, 0
.LBB11_2495:
	s_delay_alu instid0(SALU_CYCLE_1)
	s_and_not1_b32 vcc_lo, exec_lo, s0
	s_cbranch_vccnz .LBB11_2515
; %bb.2496:
	v_cmp_gt_i16_e32 vcc_lo, 2, v62
	s_cbranch_vccnz .LBB11_2500
; %bb.2497:
	v_cmp_gt_i16_e32 vcc_lo, 3, v62
	s_cbranch_vccnz .LBB11_2501
; %bb.2498:
	v_cmp_lt_i16_e32 vcc_lo, 3, v62
	s_cbranch_vccz .LBB11_2502
; %bb.2499:
	global_load_b64 v[2:3], v[0:1], off
	s_mov_b32 s0, 0
	s_waitcnt vmcnt(0)
	v_cvt_f64_i32_e32 v[3:4], v3
	v_cvt_f64_u32_e32 v[5:6], v2
	s_delay_alu instid0(VALU_DEP_2) | instskip(NEXT) | instid1(VALU_DEP_1)
	v_ldexp_f64 v[3:4], v[3:4], 32
	v_add_f64 v[45:46], v[3:4], v[5:6]
	s_branch .LBB11_2503
.LBB11_2500:
	s_mov_b32 s0, -1
                                        ; implicit-def: $vgpr45_vgpr46
	s_branch .LBB11_2509
.LBB11_2501:
	s_mov_b32 s0, -1
                                        ; implicit-def: $vgpr45_vgpr46
	s_branch .LBB11_2506
.LBB11_2502:
	s_mov_b32 s0, -1
                                        ; implicit-def: $vgpr45_vgpr46
.LBB11_2503:
	s_delay_alu instid0(SALU_CYCLE_1)
	s_and_not1_b32 vcc_lo, exec_lo, s0
	s_cbranch_vccnz .LBB11_2505
; %bb.2504:
	global_load_b32 v2, v[0:1], off
	s_waitcnt vmcnt(0)
	v_cvt_f64_i32_e32 v[45:46], v2
.LBB11_2505:
	s_mov_b32 s0, 0
.LBB11_2506:
	s_delay_alu instid0(SALU_CYCLE_1)
	s_and_not1_b32 vcc_lo, exec_lo, s0
	s_cbranch_vccnz .LBB11_2508
; %bb.2507:
	global_load_i16 v2, v[0:1], off
	s_waitcnt vmcnt(0)
	v_cvt_f64_i32_e32 v[45:46], v2
.LBB11_2508:
	s_mov_b32 s0, 0
.LBB11_2509:
	s_delay_alu instid0(SALU_CYCLE_1)
	s_and_not1_b32 vcc_lo, exec_lo, s0
	s_cbranch_vccnz .LBB11_2515
; %bb.2510:
	v_cmp_lt_i16_e32 vcc_lo, 0, v62
	s_mov_b32 s0, 0
	s_cbranch_vccz .LBB11_2512
; %bb.2511:
	global_load_i8 v2, v[0:1], off
	s_waitcnt vmcnt(0)
	v_cvt_f64_i32_e32 v[45:46], v2
	s_branch .LBB11_2513
.LBB11_2512:
	s_mov_b32 s0, -1
                                        ; implicit-def: $vgpr45_vgpr46
.LBB11_2513:
	s_delay_alu instid0(SALU_CYCLE_1)
	s_and_not1_b32 vcc_lo, exec_lo, s0
	s_cbranch_vccnz .LBB11_2515
; %bb.2514:
	global_load_u8 v0, v[0:1], off
	s_waitcnt vmcnt(0)
	v_cvt_f64_u32_e32 v[45:46], v0
.LBB11_2515:
	s_mov_b32 s0, -1
.LBB11_2516:
	s_delay_alu instid0(SALU_CYCLE_1)
	s_and_not1_b32 vcc_lo, exec_lo, s0
	s_cbranch_vccnz .LBB11_2653
; %bb.2517:
	v_add_nc_u32_e32 v0, s50, v72
	v_cmp_lt_i16_e64 s0, s51, 11
	s_delay_alu instid0(VALU_DEP_2) | instskip(SKIP_1) | instid1(VALU_DEP_2)
	v_ashrrev_i32_e32 v1, 31, v0
	v_add_co_u32 v0, vcc_lo, s52, v0
	v_add_co_ci_u32_e32 v1, vcc_lo, s53, v1, vcc_lo
	s_delay_alu instid0(VALU_DEP_4)
	s_and_b32 vcc_lo, exec_lo, s0
	s_cbranch_vccnz .LBB11_2524
; %bb.2518:
	v_cmp_gt_i16_e64 s0, s51, 25
	s_mov_b32 s3, 0
	s_delay_alu instid0(VALU_DEP_1)
	s_and_b32 vcc_lo, exec_lo, s0
	s_cbranch_vccz .LBB11_2525
; %bb.2519:
	v_cmp_gt_i16_e64 s0, s51, 28
	s_delay_alu instid0(VALU_DEP_1)
	s_and_b32 vcc_lo, exec_lo, s0
	s_cbranch_vccz .LBB11_2526
; %bb.2520:
	v_cmp_gt_i16_e64 s0, s51, 43
	;; [unrolled: 5-line block ×3, first 2 shown]
	s_delay_alu instid0(VALU_DEP_1)
	s_and_b32 vcc_lo, exec_lo, s0
	s_cbranch_vccz .LBB11_2530
; %bb.2522:
	v_cmp_eq_u16_e64 s0, s51, 46
	s_mov_b32 s1, 0
	s_delay_alu instid0(VALU_DEP_1)
	s_and_b32 vcc_lo, exec_lo, s0
	s_cbranch_vccz .LBB11_2533
; %bb.2523:
	global_load_b32 v2, v[0:1], off
	s_mov_b32 s2, 0
	s_mov_b32 s0, -1
	s_waitcnt vmcnt(0)
	v_lshlrev_b32_e32 v2, 16, v2
	s_delay_alu instid0(VALU_DEP_1)
	v_cvt_f64_f32_e32 v[58:59], v2
	s_branch .LBB11_2535
.LBB11_2524:
	s_mov_b32 s1, -1
	s_mov_b32 s0, 0
                                        ; implicit-def: $vgpr58_vgpr59
	s_branch .LBB11_2601
.LBB11_2525:
	s_mov_b32 s1, -1
	s_mov_b32 s0, 0
	s_mov_b32 s2, 0
                                        ; implicit-def: $vgpr58_vgpr59
	s_branch .LBB11_2566
.LBB11_2526:
	s_mov_b32 s1, -1
	s_mov_b32 s0, 0
	s_mov_b32 s2, 0
                                        ; implicit-def: $vgpr58_vgpr59
	s_branch .LBB11_2545
.LBB11_2527:
	s_mov_b32 s1, -1
	s_mov_b32 s0, 0
	s_mov_b32 s2, 0
                                        ; implicit-def: $vgpr58_vgpr59
	s_branch .LBB11_2540
.LBB11_2528:
	s_cbranch_execnz .LBB11_2531
; %bb.2529:
	s_or_b32 s55, s55, exec_lo
                                        ; implicit-def: $vgpr45_vgpr46
	s_cbranch_execz .LBB11_2465
	s_branch .LBB11_2466
.LBB11_2530:
	s_mov_b32 s1, -1
	s_mov_b32 s0, 0
	s_mov_b32 s2, 0
	s_branch .LBB11_2534
.LBB11_2531:
	s_trap 2
	s_sendmsg_rtn_b32 s0, sendmsg(MSG_RTN_GET_DOORBELL)
	s_mov_b32 ttmp2, m0
	s_waitcnt lgkmcnt(0)
	s_and_b32 s0, s0, 0x3ff
	s_delay_alu instid0(SALU_CYCLE_1) | instskip(NEXT) | instid1(SALU_CYCLE_1)
	s_bitset1_b32 s0, 10
	s_mov_b32 m0, s0
	s_sendmsg sendmsg(MSG_INTERRUPT)
	s_mov_b32 m0, ttmp2
.LBB11_2532:                            ; =>This Inner Loop Header: Depth=1
	s_sethalt 5
	s_branch .LBB11_2532
.LBB11_2533:
	s_mov_b32 s2, -1
	s_mov_b32 s0, 0
.LBB11_2534:
                                        ; implicit-def: $vgpr58_vgpr59
.LBB11_2535:
	s_and_b32 vcc_lo, exec_lo, s1
	s_cbranch_vccz .LBB11_2539
; %bb.2536:
	v_cmp_eq_u16_e64 s1, s51, 44
	s_delay_alu instid0(VALU_DEP_1)
	s_and_b32 vcc_lo, exec_lo, s1
	s_cbranch_vccz .LBB11_2538
; %bb.2537:
	global_load_u8 v4, v[0:1], off
	s_mov_b32 s2, 0
	s_mov_b32 s0, -1
	s_waitcnt vmcnt(0)
	v_cmp_ne_u32_e32 vcc_lo, 0xff, v4
	v_lshlrev_b32_e32 v2, 23, v4
	s_delay_alu instid0(VALU_DEP_1) | instskip(NEXT) | instid1(VALU_DEP_1)
	v_cvt_f64_f32_e32 v[2:3], v2
	v_cndmask_b32_e32 v3, 0x7ff80000, v3, vcc_lo
	s_delay_alu instid0(VALU_DEP_2) | instskip(SKIP_1) | instid1(VALU_DEP_3)
	v_cndmask_b32_e32 v2, 0x20000000, v2, vcc_lo
	v_cmp_ne_u32_e32 vcc_lo, 0, v4
	v_cndmask_b32_e32 v59, 0x38000000, v3, vcc_lo
	s_delay_alu instid0(VALU_DEP_3)
	v_cndmask_b32_e32 v58, 0, v2, vcc_lo
	s_branch .LBB11_2539
.LBB11_2538:
	s_mov_b32 s2, -1
                                        ; implicit-def: $vgpr58_vgpr59
.LBB11_2539:
	s_mov_b32 s1, 0
.LBB11_2540:
	s_delay_alu instid0(SALU_CYCLE_1)
	s_and_b32 vcc_lo, exec_lo, s1
	s_cbranch_vccz .LBB11_2544
; %bb.2541:
	v_cmp_eq_u16_e64 s1, s51, 29
	s_delay_alu instid0(VALU_DEP_1)
	s_and_b32 vcc_lo, exec_lo, s1
	s_cbranch_vccz .LBB11_2543
; %bb.2542:
	global_load_b64 v[2:3], v[0:1], off
	s_mov_b32 s2, 0
	s_mov_b32 s0, -1
	s_mov_b32 s1, 0
	s_waitcnt vmcnt(0)
	v_cvt_f64_u32_e32 v[3:4], v3
	v_cvt_f64_u32_e32 v[5:6], v2
	s_delay_alu instid0(VALU_DEP_2) | instskip(NEXT) | instid1(VALU_DEP_1)
	v_ldexp_f64 v[3:4], v[3:4], 32
	v_add_f64 v[58:59], v[3:4], v[5:6]
	s_branch .LBB11_2545
.LBB11_2543:
	s_mov_b32 s2, -1
                                        ; implicit-def: $vgpr58_vgpr59
.LBB11_2544:
	s_mov_b32 s1, 0
.LBB11_2545:
	s_delay_alu instid0(SALU_CYCLE_1)
	s_and_b32 vcc_lo, exec_lo, s1
	s_cbranch_vccz .LBB11_2565
; %bb.2546:
	v_cmp_lt_i16_e64 s0, s51, 27
	s_delay_alu instid0(VALU_DEP_1)
	s_and_b32 vcc_lo, exec_lo, s0
	s_cbranch_vccnz .LBB11_2549
; %bb.2547:
	v_cmp_gt_i16_e64 s0, s51, 27
	s_delay_alu instid0(VALU_DEP_1)
	s_and_b32 vcc_lo, exec_lo, s0
	s_cbranch_vccz .LBB11_2550
; %bb.2548:
	global_load_b32 v2, v[0:1], off
	s_mov_b32 s0, 0
	s_waitcnt vmcnt(0)
	v_cvt_f64_u32_e32 v[58:59], v2
	s_branch .LBB11_2551
.LBB11_2549:
	s_mov_b32 s0, -1
                                        ; implicit-def: $vgpr58_vgpr59
	s_branch .LBB11_2554
.LBB11_2550:
	s_mov_b32 s0, -1
                                        ; implicit-def: $vgpr58_vgpr59
.LBB11_2551:
	s_delay_alu instid0(SALU_CYCLE_1)
	s_and_not1_b32 vcc_lo, exec_lo, s0
	s_cbranch_vccnz .LBB11_2553
; %bb.2552:
	global_load_u16 v2, v[0:1], off
	s_waitcnt vmcnt(0)
	v_cvt_f64_u32_e32 v[58:59], v2
.LBB11_2553:
	s_mov_b32 s0, 0
.LBB11_2554:
	s_delay_alu instid0(SALU_CYCLE_1)
	s_and_not1_b32 vcc_lo, exec_lo, s0
	s_cbranch_vccnz .LBB11_2564
; %bb.2555:
	global_load_u8 v2, v[0:1], off
	s_mov_b32 s4, 0
	s_mov_b32 s5, exec_lo
                                        ; implicit-def: $sgpr0_sgpr1
	s_waitcnt vmcnt(0)
	v_cmpx_lt_i16_e32 0x7f, v2
	s_xor_b32 s5, exec_lo, s5
	s_cbranch_execz .LBB11_2559
; %bb.2556:
	s_mov_b32 s6, -1
	s_mov_b32 s4, exec_lo
                                        ; implicit-def: $sgpr0_sgpr1
	v_cmpx_eq_u16_e32 0x80, v2
; %bb.2557:
	s_mov_b32 s1, 0x7ff80000
	s_brev_b32 s0, 4
	s_xor_b32 s6, exec_lo, -1
; %bb.2558:
	s_or_b32 exec_lo, exec_lo, s4
	s_delay_alu instid0(SALU_CYCLE_1)
	s_and_b32 s4, s6, exec_lo
.LBB11_2559:
	s_or_saveexec_b32 s5, s5
	v_dual_mov_b32 v59, s1 :: v_dual_mov_b32 v58, s0
	s_xor_b32 exec_lo, exec_lo, s5
; %bb.2560:
	v_cmp_ne_u16_e32 vcc_lo, 0, v2
	v_mov_b32_e32 v58, 0
	v_mov_b32_e32 v59, 0
	s_and_not1_b32 s0, s4, exec_lo
	s_and_b32 s1, vcc_lo, exec_lo
	s_delay_alu instid0(SALU_CYCLE_1)
	s_or_b32 s4, s0, s1
; %bb.2561:
	s_or_b32 exec_lo, exec_lo, s5
	s_and_saveexec_b32 s0, s4
	s_cbranch_execz .LBB11_2563
; %bb.2562:
	v_and_b32_e32 v3, 0xffff, v2
	v_lshlrev_b32_e32 v2, 24, v2
	s_delay_alu instid0(VALU_DEP_2) | instskip(NEXT) | instid1(VALU_DEP_2)
	v_and_b32_e32 v4, 7, v3
	v_and_b32_e32 v2, 0x80000000, v2
	s_delay_alu instid0(VALU_DEP_2) | instskip(NEXT) | instid1(VALU_DEP_1)
	v_clz_i32_u32_e32 v5, v4
	v_min_u32_e32 v5, 32, v5
	s_delay_alu instid0(VALU_DEP_1) | instskip(SKIP_1) | instid1(VALU_DEP_2)
	v_subrev_nc_u32_e32 v6, 28, v5
	v_sub_nc_u32_e32 v5, 29, v5
	v_lshlrev_b32_e32 v6, v6, v3
	v_bfe_u32 v3, v3, 3, 4
	s_delay_alu instid0(VALU_DEP_2) | instskip(NEXT) | instid1(VALU_DEP_2)
	v_and_b32_e32 v6, 7, v6
	v_cmp_eq_u32_e32 vcc_lo, 0, v3
	s_delay_alu instid0(VALU_DEP_2) | instskip(NEXT) | instid1(VALU_DEP_1)
	v_dual_cndmask_b32 v3, v3, v5 :: v_dual_cndmask_b32 v4, v4, v6
	v_lshl_add_u32 v3, v3, 23, 0x3b800000
	s_delay_alu instid0(VALU_DEP_2) | instskip(NEXT) | instid1(VALU_DEP_1)
	v_lshlrev_b32_e32 v4, 20, v4
	v_or3_b32 v2, v2, v3, v4
	s_delay_alu instid0(VALU_DEP_1)
	v_cvt_f64_f32_e32 v[58:59], v2
.LBB11_2563:
	s_or_b32 exec_lo, exec_lo, s0
.LBB11_2564:
	s_mov_b32 s0, -1
.LBB11_2565:
	s_mov_b32 s1, 0
.LBB11_2566:
	s_delay_alu instid0(SALU_CYCLE_1)
	s_and_b32 vcc_lo, exec_lo, s1
	s_cbranch_vccz .LBB11_2597
; %bb.2567:
	v_cmp_gt_i16_e64 s1, s51, 22
	s_delay_alu instid0(VALU_DEP_1)
	s_and_b32 vcc_lo, exec_lo, s1
	s_cbranch_vccz .LBB11_2579
; %bb.2568:
	v_cmp_lt_i16_e64 s0, s51, 24
	s_delay_alu instid0(VALU_DEP_1)
	s_and_b32 vcc_lo, exec_lo, s0
	s_cbranch_vccnz .LBB11_2580
; %bb.2569:
	v_cmp_gt_i16_e64 s0, s51, 24
	s_delay_alu instid0(VALU_DEP_1)
	s_and_b32 vcc_lo, exec_lo, s0
	s_cbranch_vccz .LBB11_2581
; %bb.2570:
	global_load_u8 v2, v[0:1], off
	s_mov_b32 s4, exec_lo
                                        ; implicit-def: $sgpr0_sgpr1
	s_waitcnt vmcnt(0)
	v_cmpx_lt_i16_e32 0x7f, v2
	s_xor_b32 s4, exec_lo, s4
	s_cbranch_execz .LBB11_2574
; %bb.2571:
	s_mov_b32 s5, -1
	s_mov_b32 s3, exec_lo
                                        ; implicit-def: $sgpr0_sgpr1
	v_cmpx_eq_u16_e32 0x80, v2
; %bb.2572:
	s_mov_b32 s1, 0x7ff80000
	s_brev_b32 s0, 4
	s_xor_b32 s5, exec_lo, -1
; %bb.2573:
	s_or_b32 exec_lo, exec_lo, s3
	s_delay_alu instid0(SALU_CYCLE_1)
	s_and_b32 s3, s5, exec_lo
.LBB11_2574:
	s_or_saveexec_b32 s4, s4
	v_dual_mov_b32 v59, s1 :: v_dual_mov_b32 v58, s0
	s_xor_b32 exec_lo, exec_lo, s4
; %bb.2575:
	v_cmp_ne_u16_e32 vcc_lo, 0, v2
	v_mov_b32_e32 v58, 0
	v_mov_b32_e32 v59, 0
	s_and_not1_b32 s0, s3, exec_lo
	s_and_b32 s1, vcc_lo, exec_lo
	s_delay_alu instid0(SALU_CYCLE_1)
	s_or_b32 s3, s0, s1
; %bb.2576:
	s_or_b32 exec_lo, exec_lo, s4
	s_and_saveexec_b32 s0, s3
	s_cbranch_execz .LBB11_2578
; %bb.2577:
	v_and_b32_e32 v3, 0xffff, v2
	v_lshlrev_b32_e32 v2, 24, v2
	s_delay_alu instid0(VALU_DEP_2) | instskip(NEXT) | instid1(VALU_DEP_2)
	v_and_b32_e32 v4, 3, v3
	v_and_b32_e32 v2, 0x80000000, v2
	s_delay_alu instid0(VALU_DEP_2) | instskip(NEXT) | instid1(VALU_DEP_1)
	v_clz_i32_u32_e32 v5, v4
	v_min_u32_e32 v5, 32, v5
	s_delay_alu instid0(VALU_DEP_1) | instskip(SKIP_1) | instid1(VALU_DEP_2)
	v_subrev_nc_u32_e32 v6, 29, v5
	v_sub_nc_u32_e32 v5, 30, v5
	v_lshlrev_b32_e32 v6, v6, v3
	v_bfe_u32 v3, v3, 2, 5
	s_delay_alu instid0(VALU_DEP_2) | instskip(NEXT) | instid1(VALU_DEP_2)
	v_and_b32_e32 v6, 3, v6
	v_cmp_eq_u32_e32 vcc_lo, 0, v3
	s_delay_alu instid0(VALU_DEP_2) | instskip(NEXT) | instid1(VALU_DEP_1)
	v_dual_cndmask_b32 v3, v3, v5 :: v_dual_cndmask_b32 v4, v4, v6
	v_lshl_add_u32 v3, v3, 23, 0x37800000
	s_delay_alu instid0(VALU_DEP_2) | instskip(NEXT) | instid1(VALU_DEP_1)
	v_lshlrev_b32_e32 v4, 21, v4
	v_or3_b32 v2, v2, v3, v4
	s_delay_alu instid0(VALU_DEP_1)
	v_cvt_f64_f32_e32 v[58:59], v2
.LBB11_2578:
	s_or_b32 exec_lo, exec_lo, s0
	s_mov_b32 s0, 0
	s_branch .LBB11_2582
.LBB11_2579:
	s_mov_b32 s1, -1
                                        ; implicit-def: $vgpr58_vgpr59
	s_branch .LBB11_2588
.LBB11_2580:
	s_mov_b32 s0, -1
                                        ; implicit-def: $vgpr58_vgpr59
	s_branch .LBB11_2585
.LBB11_2581:
	s_mov_b32 s0, -1
                                        ; implicit-def: $vgpr58_vgpr59
.LBB11_2582:
	s_delay_alu instid0(SALU_CYCLE_1)
	s_and_b32 vcc_lo, exec_lo, s0
	s_cbranch_vccz .LBB11_2584
; %bb.2583:
	global_load_u8 v2, v[0:1], off
	s_waitcnt vmcnt(0)
	v_lshlrev_b32_e32 v2, 24, v2
	s_delay_alu instid0(VALU_DEP_1) | instskip(NEXT) | instid1(VALU_DEP_1)
	v_and_b32_e32 v3, 0x7f000000, v2
	v_clz_i32_u32_e32 v4, v3
	v_add_nc_u32_e32 v6, 0x1000000, v3
	v_cmp_ne_u32_e32 vcc_lo, 0, v3
	s_delay_alu instid0(VALU_DEP_3) | instskip(NEXT) | instid1(VALU_DEP_1)
	v_min_u32_e32 v4, 32, v4
	v_sub_nc_u32_e64 v4, v4, 4 clamp
	s_delay_alu instid0(VALU_DEP_1) | instskip(SKIP_1) | instid1(VALU_DEP_2)
	v_lshlrev_b32_e32 v5, v4, v3
	v_lshlrev_b32_e32 v4, 23, v4
	v_lshrrev_b32_e32 v5, 4, v5
	s_delay_alu instid0(VALU_DEP_1) | instskip(SKIP_1) | instid1(VALU_DEP_2)
	v_sub_nc_u32_e32 v4, v5, v4
	v_ashrrev_i32_e32 v5, 8, v6
	v_add_nc_u32_e32 v4, 0x3c000000, v4
	s_delay_alu instid0(VALU_DEP_1) | instskip(NEXT) | instid1(VALU_DEP_1)
	v_and_or_b32 v4, 0x7f800000, v5, v4
	v_cndmask_b32_e32 v3, 0, v4, vcc_lo
	s_delay_alu instid0(VALU_DEP_1) | instskip(NEXT) | instid1(VALU_DEP_1)
	v_and_or_b32 v2, 0x80000000, v2, v3
	v_cvt_f64_f32_e32 v[58:59], v2
.LBB11_2584:
	s_mov_b32 s0, 0
.LBB11_2585:
	s_delay_alu instid0(SALU_CYCLE_1)
	s_and_not1_b32 vcc_lo, exec_lo, s0
	s_cbranch_vccnz .LBB11_2587
; %bb.2586:
	global_load_u8 v2, v[0:1], off
	s_waitcnt vmcnt(0)
	v_lshlrev_b32_e32 v3, 25, v2
	v_lshlrev_b16 v2, 8, v2
	s_delay_alu instid0(VALU_DEP_2) | instskip(NEXT) | instid1(VALU_DEP_2)
	v_lshrrev_b32_e32 v4, 4, v3
	v_and_or_b32 v5, 0x7f00, v2, 0.5
	v_bfe_i32 v2, v2, 0, 16
	s_delay_alu instid0(VALU_DEP_3) | instskip(NEXT) | instid1(VALU_DEP_1)
	v_or_b32_e32 v4, 0x70000000, v4
	v_dual_add_f32 v5, -0.5, v5 :: v_dual_mul_f32 v4, 0x7800000, v4
	v_cmp_gt_u32_e32 vcc_lo, 0x8000000, v3
	s_delay_alu instid0(VALU_DEP_2) | instskip(NEXT) | instid1(VALU_DEP_1)
	v_cndmask_b32_e32 v3, v4, v5, vcc_lo
	v_and_or_b32 v2, 0x80000000, v2, v3
	s_delay_alu instid0(VALU_DEP_1)
	v_cvt_f64_f32_e32 v[58:59], v2
.LBB11_2587:
	s_mov_b32 s1, 0
	s_mov_b32 s0, -1
.LBB11_2588:
	s_and_not1_b32 vcc_lo, exec_lo, s1
	s_mov_b32 s3, 0
	s_cbranch_vccnz .LBB11_2597
; %bb.2589:
	v_cmp_gt_i16_e64 s1, s51, 14
	s_delay_alu instid0(VALU_DEP_1)
	s_and_b32 vcc_lo, exec_lo, s1
	s_cbranch_vccz .LBB11_2592
; %bb.2590:
	v_cmp_eq_u16_e64 s1, s51, 15
	s_delay_alu instid0(VALU_DEP_1)
	s_and_b32 vcc_lo, exec_lo, s1
	s_cbranch_vccz .LBB11_2593
; %bb.2591:
	global_load_u16 v2, v[0:1], off
	s_mov_b32 s2, 0
	s_mov_b32 s0, -1
	s_waitcnt vmcnt(0)
	v_lshlrev_b32_e32 v2, 16, v2
	s_delay_alu instid0(VALU_DEP_1)
	v_cvt_f64_f32_e32 v[58:59], v2
	s_branch .LBB11_2594
.LBB11_2592:
	s_mov_b32 s1, -1
                                        ; implicit-def: $vgpr58_vgpr59
	s_branch .LBB11_2595
.LBB11_2593:
	s_mov_b32 s2, -1
                                        ; implicit-def: $vgpr58_vgpr59
.LBB11_2594:
	s_mov_b32 s1, 0
.LBB11_2595:
	s_delay_alu instid0(SALU_CYCLE_1)
	s_and_b32 vcc_lo, exec_lo, s1
	s_cbranch_vccz .LBB11_2597
; %bb.2596:
	v_cmp_ne_u16_e64 s2, s51, 11
	s_mov_b32 s3, -1
                                        ; implicit-def: $vgpr58_vgpr59
.LBB11_2597:
	s_delay_alu instid0(VALU_DEP_1)
	s_and_b32 vcc_lo, exec_lo, s2
	s_cbranch_vccnz .LBB11_3136
; %bb.2598:
	s_and_not1_b32 vcc_lo, exec_lo, s3
	s_cbranch_vccnz .LBB11_2600
.LBB11_2599:
	global_load_u8 v2, v[0:1], off
	s_waitcnt vmcnt(1)
	v_mov_b32_e32 v58, 0
	s_mov_b32 s0, -1
	s_waitcnt vmcnt(0)
	v_cmp_ne_u16_e32 vcc_lo, 0, v2
	v_cndmask_b32_e64 v59, 0, 0x3ff00000, vcc_lo
.LBB11_2600:
	s_mov_b32 s1, 0
.LBB11_2601:
	s_delay_alu instid0(SALU_CYCLE_1)
	s_and_b32 vcc_lo, exec_lo, s1
	s_cbranch_vccz .LBB11_2650
; %bb.2602:
	v_cmp_lt_i16_e64 s0, s51, 5
	s_delay_alu instid0(VALU_DEP_1)
	s_and_b32 vcc_lo, exec_lo, s0
	s_cbranch_vccnz .LBB11_2607
; %bb.2603:
	v_cmp_lt_i16_e64 s0, s51, 8
	s_delay_alu instid0(VALU_DEP_1)
	s_and_b32 vcc_lo, exec_lo, s0
	s_cbranch_vccnz .LBB11_2608
	;; [unrolled: 5-line block ×3, first 2 shown]
; %bb.2605:
	v_cmp_gt_i16_e64 s0, s51, 9
	s_delay_alu instid0(VALU_DEP_1)
	s_and_b32 vcc_lo, exec_lo, s0
	s_cbranch_vccz .LBB11_2610
; %bb.2606:
	global_load_b64 v[58:59], v[0:1], off
	s_mov_b32 s0, 0
	s_branch .LBB11_2611
.LBB11_2607:
	s_mov_b32 s0, -1
                                        ; implicit-def: $vgpr58_vgpr59
	s_branch .LBB11_2629
.LBB11_2608:
	s_mov_b32 s0, -1
                                        ; implicit-def: $vgpr58_vgpr59
	s_branch .LBB11_2617
.LBB11_2609:
	s_mov_b32 s0, -1
                                        ; implicit-def: $vgpr58_vgpr59
	s_branch .LBB11_2614
.LBB11_2610:
	s_mov_b32 s0, -1
                                        ; implicit-def: $vgpr58_vgpr59
.LBB11_2611:
	s_delay_alu instid0(SALU_CYCLE_1)
	s_and_not1_b32 vcc_lo, exec_lo, s0
	s_cbranch_vccnz .LBB11_2613
; %bb.2612:
	global_load_b32 v2, v[0:1], off
	s_waitcnt vmcnt(0)
	v_cvt_f64_f32_e32 v[58:59], v2
.LBB11_2613:
	s_mov_b32 s0, 0
.LBB11_2614:
	s_delay_alu instid0(SALU_CYCLE_1)
	s_and_not1_b32 vcc_lo, exec_lo, s0
	s_cbranch_vccnz .LBB11_2616
; %bb.2615:
	global_load_b32 v2, v[0:1], off
	s_waitcnt vmcnt(0)
	v_cvt_f32_f16_e32 v2, v2
	s_delay_alu instid0(VALU_DEP_1)
	v_cvt_f64_f32_e32 v[58:59], v2
.LBB11_2616:
	s_mov_b32 s0, 0
.LBB11_2617:
	s_delay_alu instid0(SALU_CYCLE_1)
	s_and_not1_b32 vcc_lo, exec_lo, s0
	s_cbranch_vccnz .LBB11_2628
; %bb.2618:
	v_cmp_lt_i16_e64 s0, s51, 6
	s_delay_alu instid0(VALU_DEP_1)
	s_and_b32 vcc_lo, exec_lo, s0
	s_cbranch_vccnz .LBB11_2621
; %bb.2619:
	v_cmp_gt_i16_e64 s0, s51, 6
	s_delay_alu instid0(VALU_DEP_1)
	s_and_b32 vcc_lo, exec_lo, s0
	s_cbranch_vccz .LBB11_2622
; %bb.2620:
	global_load_b64 v[58:59], v[0:1], off
	s_mov_b32 s0, 0
	s_branch .LBB11_2623
.LBB11_2621:
	s_mov_b32 s0, -1
                                        ; implicit-def: $vgpr58_vgpr59
	s_branch .LBB11_2626
.LBB11_2622:
	s_mov_b32 s0, -1
                                        ; implicit-def: $vgpr58_vgpr59
.LBB11_2623:
	s_delay_alu instid0(SALU_CYCLE_1)
	s_and_not1_b32 vcc_lo, exec_lo, s0
	s_cbranch_vccnz .LBB11_2625
; %bb.2624:
	global_load_b32 v2, v[0:1], off
	s_waitcnt vmcnt(0)
	v_cvt_f64_f32_e32 v[58:59], v2
.LBB11_2625:
	s_mov_b32 s0, 0
.LBB11_2626:
	s_delay_alu instid0(SALU_CYCLE_1)
	s_and_not1_b32 vcc_lo, exec_lo, s0
	s_cbranch_vccnz .LBB11_2628
; %bb.2627:
	global_load_u16 v2, v[0:1], off
	s_waitcnt vmcnt(0)
	v_cvt_f32_f16_e32 v2, v2
	s_delay_alu instid0(VALU_DEP_1)
	v_cvt_f64_f32_e32 v[58:59], v2
.LBB11_2628:
	s_mov_b32 s0, 0
.LBB11_2629:
	s_delay_alu instid0(SALU_CYCLE_1)
	s_and_not1_b32 vcc_lo, exec_lo, s0
	s_cbranch_vccnz .LBB11_2649
; %bb.2630:
	v_cmp_lt_i16_e64 s0, s51, 2
	s_delay_alu instid0(VALU_DEP_1)
	s_and_b32 vcc_lo, exec_lo, s0
	s_cbranch_vccnz .LBB11_2634
; %bb.2631:
	v_cmp_lt_i16_e64 s0, s51, 3
	s_delay_alu instid0(VALU_DEP_1)
	s_and_b32 vcc_lo, exec_lo, s0
	s_cbranch_vccnz .LBB11_2635
; %bb.2632:
	v_cmp_gt_i16_e64 s0, s51, 3
	s_delay_alu instid0(VALU_DEP_1)
	s_and_b32 vcc_lo, exec_lo, s0
	s_cbranch_vccz .LBB11_2636
; %bb.2633:
	global_load_b64 v[2:3], v[0:1], off
	s_mov_b32 s0, 0
	s_waitcnt vmcnt(0)
	v_cvt_f64_i32_e32 v[3:4], v3
	v_cvt_f64_u32_e32 v[5:6], v2
	s_delay_alu instid0(VALU_DEP_2) | instskip(NEXT) | instid1(VALU_DEP_1)
	v_ldexp_f64 v[3:4], v[3:4], 32
	v_add_f64 v[58:59], v[3:4], v[5:6]
	s_branch .LBB11_2637
.LBB11_2634:
	s_mov_b32 s0, -1
                                        ; implicit-def: $vgpr58_vgpr59
	s_branch .LBB11_2643
.LBB11_2635:
	s_mov_b32 s0, -1
                                        ; implicit-def: $vgpr58_vgpr59
	s_branch .LBB11_2640
.LBB11_2636:
	s_mov_b32 s0, -1
                                        ; implicit-def: $vgpr58_vgpr59
.LBB11_2637:
	s_delay_alu instid0(SALU_CYCLE_1)
	s_and_not1_b32 vcc_lo, exec_lo, s0
	s_cbranch_vccnz .LBB11_2639
; %bb.2638:
	global_load_b32 v2, v[0:1], off
	s_waitcnt vmcnt(0)
	v_cvt_f64_i32_e32 v[58:59], v2
.LBB11_2639:
	s_mov_b32 s0, 0
.LBB11_2640:
	s_delay_alu instid0(SALU_CYCLE_1)
	s_and_not1_b32 vcc_lo, exec_lo, s0
	s_cbranch_vccnz .LBB11_2642
; %bb.2641:
	global_load_i16 v2, v[0:1], off
	s_waitcnt vmcnt(0)
	v_cvt_f64_i32_e32 v[58:59], v2
.LBB11_2642:
	s_mov_b32 s0, 0
.LBB11_2643:
	s_delay_alu instid0(SALU_CYCLE_1)
	s_and_not1_b32 vcc_lo, exec_lo, s0
	s_cbranch_vccnz .LBB11_2649
; %bb.2644:
	v_cmp_gt_i16_e64 s0, s51, 0
	s_delay_alu instid0(VALU_DEP_1)
	s_and_b32 vcc_lo, exec_lo, s0
	s_mov_b32 s0, 0
	s_cbranch_vccz .LBB11_2646
; %bb.2645:
	global_load_i8 v2, v[0:1], off
	s_waitcnt vmcnt(0)
	v_cvt_f64_i32_e32 v[58:59], v2
	s_branch .LBB11_2647
.LBB11_2646:
	s_mov_b32 s0, -1
                                        ; implicit-def: $vgpr58_vgpr59
.LBB11_2647:
	s_delay_alu instid0(SALU_CYCLE_1)
	s_and_not1_b32 vcc_lo, exec_lo, s0
	s_cbranch_vccnz .LBB11_2649
; %bb.2648:
	global_load_u8 v0, v[0:1], off
	s_waitcnt vmcnt(0)
	v_cvt_f64_u32_e32 v[58:59], v0
.LBB11_2649:
	s_mov_b32 s0, -1
.LBB11_2650:
	s_delay_alu instid0(SALU_CYCLE_1)
	s_and_not1_b32 vcc_lo, exec_lo, s0
	s_cbranch_vccnz .LBB11_2653
; %bb.2651:
	s_and_b32 vcc_lo, exec_lo, s54
	s_cbranch_vccz .LBB11_2698
; %bb.2652:
	s_waitcnt vmcnt(0)
	v_dual_mov_b32 v0, v45 :: v_dual_mov_b32 v1, v46
	s_delay_alu instid0(VALU_DEP_2) | instskip(SKIP_3) | instid1(SALU_CYCLE_1)
	v_dual_mov_b32 v2, v58 :: v_dual_mov_b32 v3, v59
	s_getpc_b64 s[0:1]
	s_add_u32 s0, s0, _ZN12_GLOBAL__N_111calc_igammaIdEET_S1_S1_@rel32@lo+4
	s_addc_u32 s1, s1, _ZN12_GLOBAL__N_111calc_igammaIdEET_S1_S1_@rel32@hi+12
	s_swappc_b64 s[30:31], s[0:1]
	s_mov_b32 s0, 0
	s_branch .LBB11_2699
.LBB11_2653:
	s_mov_b32 s0, 0
	s_mov_b32 s1, 0
                                        ; implicit-def: $vgpr6
                                        ; implicit-def: $vgpr4_vgpr5
                                        ; implicit-def: $vgpr0_vgpr1
.LBB11_2654:
	s_and_not1_b32 s2, s58, exec_lo
	s_and_b32 s3, s55, exec_lo
	s_and_b32 s0, s0, exec_lo
	;; [unrolled: 1-line block ×3, first 2 shown]
	s_or_b32 s58, s2, s3
.LBB11_2655:
	s_or_b32 exec_lo, exec_lo, s57
	s_and_saveexec_b32 s1, s58
	s_cbranch_execz .LBB11_2658
; %bb.2656:
	; divergent unreachable
	s_or_b32 exec_lo, exec_lo, s1
	s_and_saveexec_b32 s1, s55
	s_delay_alu instid0(SALU_CYCLE_1)
	s_xor_b32 s1, exec_lo, s1
	s_cbranch_execnz .LBB11_2659
.LBB11_2657:
	s_or_b32 exec_lo, exec_lo, s1
	s_and_saveexec_b32 s1, s0
	s_cbranch_execnz .LBB11_2660
	s_branch .LBB11_2697
.LBB11_2658:
	s_or_b32 exec_lo, exec_lo, s1
	s_and_saveexec_b32 s1, s55
	s_delay_alu instid0(SALU_CYCLE_1)
	s_xor_b32 s1, exec_lo, s1
	s_cbranch_execz .LBB11_2657
.LBB11_2659:
	v_cmp_neq_f64_e32 vcc_lo, 0, v[0:1]
	v_cndmask_b32_e64 v2, 0, 1, vcc_lo
	global_store_b8 v[4:5], v2, off
	s_or_b32 exec_lo, exec_lo, s1
	s_and_saveexec_b32 s1, s0
	s_cbranch_execz .LBB11_2697
.LBB11_2660:
	v_cmp_gt_i16_e32 vcc_lo, 5, v6
	s_mov_b32 s0, -1
	s_cbranch_vccnz .LBB11_2681
; %bb.2661:
	v_cmp_gt_i16_e32 vcc_lo, 8, v6
	s_cbranch_vccnz .LBB11_2671
; %bb.2662:
	v_cmp_gt_i16_e32 vcc_lo, 9, v6
	s_cbranch_vccnz .LBB11_2668
; %bb.2663:
	v_cmp_lt_i16_e32 vcc_lo, 9, v6
	s_cbranch_vccz .LBB11_2665
; %bb.2664:
	v_mov_b32_e32 v2, 0
	s_mov_b32 s0, 0
	s_delay_alu instid0(VALU_DEP_1)
	v_mov_b32_e32 v3, v2
	global_store_b128 v[4:5], v[0:3], off
.LBB11_2665:
	s_and_not1_b32 vcc_lo, exec_lo, s0
	s_cbranch_vccnz .LBB11_2667
; %bb.2666:
	v_cvt_f32_f64_e32 v2, v[0:1]
	v_mov_b32_e32 v3, 0
	global_store_b64 v[4:5], v[2:3], off
.LBB11_2667:
	s_mov_b32 s0, 0
.LBB11_2668:
	s_delay_alu instid0(SALU_CYCLE_1)
	s_and_not1_b32 vcc_lo, exec_lo, s0
	s_cbranch_vccnz .LBB11_2670
; %bb.2669:
	v_cvt_f32_f64_e32 v2, v[0:1]
	s_delay_alu instid0(VALU_DEP_1) | instskip(NEXT) | instid1(VALU_DEP_1)
	v_cvt_f16_f32_e32 v2, v2
	v_and_b32_e32 v2, 0xffff, v2
	global_store_b32 v[4:5], v2, off
.LBB11_2670:
	s_mov_b32 s0, 0
.LBB11_2671:
	s_delay_alu instid0(SALU_CYCLE_1)
	s_and_not1_b32 vcc_lo, exec_lo, s0
	s_cbranch_vccnz .LBB11_2680
; %bb.2672:
	v_cmp_gt_i16_e32 vcc_lo, 6, v6
	s_mov_b32 s0, -1
	s_cbranch_vccnz .LBB11_2678
; %bb.2673:
	v_cmp_lt_i16_e32 vcc_lo, 6, v6
	s_cbranch_vccz .LBB11_2675
; %bb.2674:
	s_mov_b32 s0, 0
	global_store_b64 v[4:5], v[0:1], off
.LBB11_2675:
	s_and_not1_b32 vcc_lo, exec_lo, s0
	s_cbranch_vccnz .LBB11_2677
; %bb.2676:
	v_cvt_f32_f64_e32 v2, v[0:1]
	global_store_b32 v[4:5], v2, off
.LBB11_2677:
	s_mov_b32 s0, 0
.LBB11_2678:
	s_delay_alu instid0(SALU_CYCLE_1)
	s_and_not1_b32 vcc_lo, exec_lo, s0
	s_cbranch_vccnz .LBB11_2680
; %bb.2679:
	v_cvt_f32_f64_e32 v2, v[0:1]
	s_delay_alu instid0(VALU_DEP_1)
	v_cvt_f16_f32_e32 v2, v2
	global_store_b16 v[4:5], v2, off
.LBB11_2680:
	s_mov_b32 s0, 0
.LBB11_2681:
	s_delay_alu instid0(SALU_CYCLE_1)
	s_and_not1_b32 vcc_lo, exec_lo, s0
	s_cbranch_vccnz .LBB11_2697
; %bb.2682:
	v_cmp_gt_i16_e32 vcc_lo, 2, v6
	s_mov_b32 s0, -1
	s_cbranch_vccnz .LBB11_2692
; %bb.2683:
	v_cmp_gt_i16_e32 vcc_lo, 3, v6
	s_cbranch_vccnz .LBB11_2689
; %bb.2684:
	v_cmp_lt_i16_e32 vcc_lo, 3, v6
	s_cbranch_vccz .LBB11_2686
; %bb.2685:
	v_trunc_f64_e32 v[2:3], v[0:1]
	s_mov_b32 s0, 0
	s_delay_alu instid0(VALU_DEP_1) | instskip(NEXT) | instid1(VALU_DEP_1)
	v_ldexp_f64 v[7:8], v[2:3], 0xffffffe0
	v_floor_f64_e32 v[7:8], v[7:8]
	s_delay_alu instid0(VALU_DEP_1) | instskip(SKIP_1) | instid1(VALU_DEP_2)
	v_fma_f64 v[2:3], 0xc1f00000, v[7:8], v[2:3]
	v_cvt_i32_f64_e32 v8, v[7:8]
	v_cvt_u32_f64_e32 v7, v[2:3]
	global_store_b64 v[4:5], v[7:8], off
.LBB11_2686:
	s_and_not1_b32 vcc_lo, exec_lo, s0
	s_cbranch_vccnz .LBB11_2688
; %bb.2687:
	v_cvt_i32_f64_e32 v2, v[0:1]
	global_store_b32 v[4:5], v2, off
.LBB11_2688:
	s_mov_b32 s0, 0
.LBB11_2689:
	s_delay_alu instid0(SALU_CYCLE_1)
	s_and_not1_b32 vcc_lo, exec_lo, s0
	s_cbranch_vccnz .LBB11_2691
; %bb.2690:
	v_cvt_i32_f64_e32 v2, v[0:1]
	global_store_b16 v[4:5], v2, off
.LBB11_2691:
	s_mov_b32 s0, 0
.LBB11_2692:
	s_delay_alu instid0(SALU_CYCLE_1)
	s_and_not1_b32 vcc_lo, exec_lo, s0
	s_cbranch_vccnz .LBB11_2697
; %bb.2693:
	v_cmp_lt_i16_e32 vcc_lo, 0, v6
	s_mov_b32 s0, -1
	s_cbranch_vccz .LBB11_2695
; %bb.2694:
	v_cvt_i32_f64_e32 v2, v[0:1]
	s_mov_b32 s0, 0
	global_store_b8 v[4:5], v2, off
.LBB11_2695:
	s_and_not1_b32 vcc_lo, exec_lo, s0
	s_cbranch_vccnz .LBB11_2697
; %bb.2696:
	v_trunc_f64_e32 v[0:1], v[0:1]
	s_delay_alu instid0(VALU_DEP_1) | instskip(NEXT) | instid1(VALU_DEP_1)
	v_ldexp_f64 v[2:3], v[0:1], 0xffffffe0
	v_floor_f64_e32 v[2:3], v[2:3]
	s_delay_alu instid0(VALU_DEP_1) | instskip(NEXT) | instid1(VALU_DEP_1)
	v_fma_f64 v[0:1], 0xc1f00000, v[2:3], v[0:1]
	v_cvt_u32_f64_e32 v0, v[0:1]
	global_store_b8 v[4:5], v0, off
	s_endpgm
.LBB11_2697:
	s_endpgm
.LBB11_2698:
	s_mov_b32 s0, -1
                                        ; implicit-def: $vgpr0_vgpr1
.LBB11_2699:
	s_delay_alu instid0(SALU_CYCLE_1)
	s_and_not1_b32 vcc_lo, exec_lo, s0
	s_cbranch_vccnz .LBB11_2701
; %bb.2700:
	s_waitcnt vmcnt(0)
	v_dual_mov_b32 v0, v45 :: v_dual_mov_b32 v1, v46
	s_delay_alu instid0(VALU_DEP_2) | instskip(SKIP_3) | instid1(SALU_CYCLE_1)
	v_dual_mov_b32 v2, v58 :: v_dual_mov_b32 v3, v59
	s_getpc_b64 s[0:1]
	s_add_u32 s0, s0, _ZN12_GLOBAL__N_112calc_igammacIdEET_S1_S1_@rel32@lo+4
	s_addc_u32 s1, s1, _ZN12_GLOBAL__N_112calc_igammacIdEET_S1_S1_@rel32@hi+12
	s_swappc_b64 s[30:31], s[0:1]
.LBB11_2701:
	v_mul_lo_u32 v4, s48, v47
	v_and_b32_e64 v6, 0xff, s43
	s_delay_alu instid0(VALU_DEP_1) | instskip(NEXT) | instid1(VALU_DEP_3)
	v_cmp_gt_i16_e32 vcc_lo, 11, v6
	v_ashrrev_i32_e32 v3, 31, v4
	v_add_co_u32 v2, s0, s44, v4
	s_delay_alu instid0(VALU_DEP_1)
	v_add_co_ci_u32_e64 v3, s0, s45, v3, s0
	s_cbranch_vccnz .LBB11_2779
; %bb.2702:
	v_cmp_lt_i16_e32 vcc_lo, 25, v6
	s_mov_b32 s3, -1
	s_mov_b32 s1, 0
	s_mov_b32 s2, 0
	s_mov_b32 s0, 0
	s_cbranch_vccz .LBB11_2735
; %bb.2703:
	v_cmp_lt_i16_e32 vcc_lo, 28, v6
	s_cbranch_vccz .LBB11_2718
; %bb.2704:
	v_cmp_lt_i16_e32 vcc_lo, 43, v6
	s_cbranch_vccz .LBB11_2714
; %bb.2705:
	v_cmp_lt_i16_e32 vcc_lo, 45, v6
	s_cbranch_vccz .LBB11_2708
; %bb.2706:
	v_cmp_eq_u16_e32 vcc_lo, 46, v6
	s_mov_b32 s0, -1
	s_mov_b32 s3, 0
	s_cbranch_vccz .LBB11_2708
; %bb.2707:
	s_waitcnt vmcnt(0)
	v_cvt_f32_f64_e32 v5, v[43:44]
	s_mov_b32 s0, 0
	s_mov_b32 s2, -1
	s_delay_alu instid0(VALU_DEP_1) | instskip(SKIP_1) | instid1(VALU_DEP_2)
	v_bfe_u32 v7, v5, 16, 1
	v_cmp_o_f32_e32 vcc_lo, v5, v5
	v_add3_u32 v7, v5, v7, 0x7fff
	s_delay_alu instid0(VALU_DEP_1) | instskip(NEXT) | instid1(VALU_DEP_1)
	v_lshrrev_b32_e32 v7, 16, v7
	v_cndmask_b32_e32 v5, 0x7fc0, v7, vcc_lo
	global_store_b32 v[2:3], v5, off
.LBB11_2708:
	s_and_b32 vcc_lo, exec_lo, s3
	s_cbranch_vccz .LBB11_2713
; %bb.2709:
	v_cmp_eq_u16_e32 vcc_lo, 44, v6
	s_mov_b32 s0, -1
	s_cbranch_vccz .LBB11_2713
; %bb.2710:
	s_waitcnt vmcnt(0)
	v_cvt_f32_f64_e32 v5, v[43:44]
	v_mov_b32_e32 v7, 0xff
	s_mov_b32 s2, exec_lo
	s_delay_alu instid0(VALU_DEP_2) | instskip(NEXT) | instid1(VALU_DEP_1)
	v_bfe_u32 v8, v5, 23, 8
	v_cmpx_ne_u32_e32 0xff, v8
; %bb.2711:
	v_and_b32_e32 v7, 0x400000, v5
	v_and_or_b32 v8, 0x3fffff, v5, v8
	v_lshrrev_b32_e32 v5, 23, v5
	s_delay_alu instid0(VALU_DEP_3) | instskip(NEXT) | instid1(VALU_DEP_3)
	v_cmp_ne_u32_e32 vcc_lo, 0, v7
	v_cmp_ne_u32_e64 s0, 0, v8
	s_delay_alu instid0(VALU_DEP_1) | instskip(NEXT) | instid1(SALU_CYCLE_1)
	s_and_b32 s0, vcc_lo, s0
	v_cndmask_b32_e64 v7, 0, 1, s0
	s_delay_alu instid0(VALU_DEP_1)
	v_add_nc_u32_e32 v7, v5, v7
; %bb.2712:
	s_or_b32 exec_lo, exec_lo, s2
	s_mov_b32 s0, 0
	s_mov_b32 s2, -1
	global_store_b8 v[2:3], v7, off
.LBB11_2713:
	s_mov_b32 s3, 0
.LBB11_2714:
	s_delay_alu instid0(SALU_CYCLE_1)
	s_and_b32 vcc_lo, exec_lo, s3
	s_cbranch_vccz .LBB11_2717
; %bb.2715:
	v_cmp_eq_u16_e32 vcc_lo, 29, v6
	s_mov_b32 s0, -1
	s_cbranch_vccz .LBB11_2717
; %bb.2716:
	s_waitcnt vmcnt(0)
	v_trunc_f64_e32 v[7:8], v[43:44]
	s_mov_b32 s0, 0
	s_mov_b32 s2, -1
	s_delay_alu instid0(VALU_DEP_1) | instskip(NEXT) | instid1(VALU_DEP_1)
	v_ldexp_f64 v[9:10], v[7:8], 0xffffffe0
	v_floor_f64_e32 v[9:10], v[9:10]
	s_delay_alu instid0(VALU_DEP_1) | instskip(SKIP_1) | instid1(VALU_DEP_2)
	v_fma_f64 v[7:8], 0xc1f00000, v[9:10], v[7:8]
	v_cvt_u32_f64_e32 v9, v[9:10]
	v_cvt_u32_f64_e32 v8, v[7:8]
	global_store_b64 v[2:3], v[8:9], off
.LBB11_2717:
	s_mov_b32 s3, 0
.LBB11_2718:
	s_delay_alu instid0(SALU_CYCLE_1)
	s_and_b32 vcc_lo, exec_lo, s3
	s_cbranch_vccz .LBB11_2734
; %bb.2719:
	v_cmp_gt_i16_e32 vcc_lo, 27, v6
	s_mov_b32 s2, -1
	s_cbranch_vccnz .LBB11_2725
; %bb.2720:
	s_waitcnt vmcnt(0)
	v_cvt_u32_f64_e32 v5, v[43:44]
	v_cmp_lt_i16_e32 vcc_lo, 27, v6
	s_cbranch_vccz .LBB11_2722
; %bb.2721:
	s_mov_b32 s2, 0
	global_store_b32 v[2:3], v5, off
.LBB11_2722:
	s_and_not1_b32 vcc_lo, exec_lo, s2
	s_cbranch_vccnz .LBB11_2724
; %bb.2723:
	global_store_b16 v[2:3], v5, off
.LBB11_2724:
	s_mov_b32 s2, 0
.LBB11_2725:
	s_delay_alu instid0(SALU_CYCLE_1)
	s_and_not1_b32 vcc_lo, exec_lo, s2
	s_cbranch_vccnz .LBB11_2733
; %bb.2726:
	s_waitcnt vmcnt(0)
	v_cvt_f32_f64_e32 v5, v[43:44]
	v_mov_b32_e32 v8, 0x80
	s_mov_b32 s2, exec_lo
	s_delay_alu instid0(VALU_DEP_2) | instskip(NEXT) | instid1(VALU_DEP_1)
	v_and_b32_e32 v7, 0x7fffffff, v5
	v_cmpx_gt_u32_e32 0x43800000, v7
	s_cbranch_execz .LBB11_2732
; %bb.2727:
	v_cmp_lt_u32_e32 vcc_lo, 0x3bffffff, v7
	s_mov_b32 s3, 0
                                        ; implicit-def: $vgpr7
	s_and_saveexec_b32 s4, vcc_lo
	s_delay_alu instid0(SALU_CYCLE_1)
	s_xor_b32 s4, exec_lo, s4
	s_cbranch_execz .LBB11_3138
; %bb.2728:
	v_bfe_u32 v7, v5, 20, 1
	s_mov_b32 s3, exec_lo
	s_delay_alu instid0(VALU_DEP_1) | instskip(NEXT) | instid1(VALU_DEP_1)
	v_add3_u32 v7, v5, v7, 0x487ffff
	v_lshrrev_b32_e32 v7, 20, v7
	s_or_saveexec_b32 s4, s4
                                        ; implicit-def: $sgpr5
	s_delay_alu instid0(SALU_CYCLE_1)
	s_xor_b32 exec_lo, exec_lo, s4
	s_cbranch_execnz .LBB11_3139
.LBB11_2729:
	s_or_b32 exec_lo, exec_lo, s4
	v_mov_b32_e32 v8, s5
	s_and_saveexec_b32 s4, s3
.LBB11_2730:
	v_lshrrev_b32_e32 v5, 24, v5
	s_delay_alu instid0(VALU_DEP_1)
	v_and_or_b32 v8, 0x80, v5, v7
.LBB11_2731:
	s_or_b32 exec_lo, exec_lo, s4
.LBB11_2732:
	s_delay_alu instid0(SALU_CYCLE_1)
	s_or_b32 exec_lo, exec_lo, s2
	global_store_b8 v[2:3], v8, off
.LBB11_2733:
	s_mov_b32 s2, -1
.LBB11_2734:
	s_mov_b32 s3, 0
.LBB11_2735:
	s_delay_alu instid0(SALU_CYCLE_1)
	s_and_b32 vcc_lo, exec_lo, s3
	s_cbranch_vccz .LBB11_2775
; %bb.2736:
	v_cmp_lt_i16_e32 vcc_lo, 22, v6
	s_mov_b32 s1, -1
	s_cbranch_vccz .LBB11_2768
; %bb.2737:
	v_cmp_gt_i16_e32 vcc_lo, 24, v6
	s_cbranch_vccnz .LBB11_2757
; %bb.2738:
	v_cmp_lt_i16_e32 vcc_lo, 24, v6
	s_cbranch_vccz .LBB11_2746
; %bb.2739:
	s_waitcnt vmcnt(0)
	v_cvt_f32_f64_e32 v5, v[43:44]
	v_mov_b32_e32 v8, 0x80
	s_mov_b32 s1, exec_lo
	s_delay_alu instid0(VALU_DEP_2) | instskip(NEXT) | instid1(VALU_DEP_1)
	v_and_b32_e32 v7, 0x7fffffff, v5
	v_cmpx_gt_u32_e32 0x47800000, v7
	s_cbranch_execz .LBB11_2745
; %bb.2740:
	v_cmp_lt_u32_e32 vcc_lo, 0x37ffffff, v7
	s_mov_b32 s2, 0
                                        ; implicit-def: $vgpr7
	s_and_saveexec_b32 s3, vcc_lo
	s_delay_alu instid0(SALU_CYCLE_1)
	s_xor_b32 s3, exec_lo, s3
	s_cbranch_execz .LBB11_3144
; %bb.2741:
	v_bfe_u32 v7, v5, 21, 1
	s_mov_b32 s2, exec_lo
	s_delay_alu instid0(VALU_DEP_1) | instskip(NEXT) | instid1(VALU_DEP_1)
	v_add3_u32 v7, v5, v7, 0x88fffff
	v_lshrrev_b32_e32 v7, 21, v7
	s_or_saveexec_b32 s3, s3
                                        ; implicit-def: $sgpr4
	s_delay_alu instid0(SALU_CYCLE_1)
	s_xor_b32 exec_lo, exec_lo, s3
	s_cbranch_execnz .LBB11_3145
.LBB11_2742:
	s_or_b32 exec_lo, exec_lo, s3
	v_mov_b32_e32 v8, s4
	s_and_saveexec_b32 s3, s2
.LBB11_2743:
	v_lshrrev_b32_e32 v5, 24, v5
	s_delay_alu instid0(VALU_DEP_1)
	v_and_or_b32 v8, 0x80, v5, v7
.LBB11_2744:
	s_or_b32 exec_lo, exec_lo, s3
.LBB11_2745:
	s_delay_alu instid0(SALU_CYCLE_1)
	s_or_b32 exec_lo, exec_lo, s1
	s_mov_b32 s1, 0
	global_store_b8 v[2:3], v8, off
.LBB11_2746:
	s_and_b32 vcc_lo, exec_lo, s1
	s_cbranch_vccz .LBB11_2756
; %bb.2747:
	s_waitcnt vmcnt(0)
	v_cvt_f32_f64_e32 v5, v[43:44]
	s_mov_b32 s1, exec_lo
                                        ; implicit-def: $vgpr7
	s_delay_alu instid0(VALU_DEP_1) | instskip(NEXT) | instid1(VALU_DEP_1)
	v_and_b32_e32 v8, 0x7fffffff, v5
	v_cmpx_gt_u32_e32 0x43f00000, v8
	s_xor_b32 s1, exec_lo, s1
	s_cbranch_execz .LBB11_2753
; %bb.2748:
	s_mov_b32 s2, exec_lo
                                        ; implicit-def: $vgpr7
	v_cmpx_lt_u32_e32 0x3c7fffff, v8
	s_xor_b32 s2, exec_lo, s2
; %bb.2749:
	v_bfe_u32 v7, v5, 20, 1
	s_delay_alu instid0(VALU_DEP_1) | instskip(NEXT) | instid1(VALU_DEP_1)
	v_add3_u32 v7, v5, v7, 0x407ffff
	v_and_b32_e32 v8, 0xff00000, v7
	v_lshrrev_b32_e32 v7, 20, v7
	s_delay_alu instid0(VALU_DEP_2) | instskip(NEXT) | instid1(VALU_DEP_2)
	v_cmp_ne_u32_e32 vcc_lo, 0x7f00000, v8
	v_cndmask_b32_e32 v7, 0x7e, v7, vcc_lo
; %bb.2750:
	s_and_not1_saveexec_b32 s2, s2
; %bb.2751:
	v_add_f32_e64 v7, 0x46800000, |v5|
; %bb.2752:
	s_or_b32 exec_lo, exec_lo, s2
                                        ; implicit-def: $vgpr8
.LBB11_2753:
	s_and_not1_saveexec_b32 s1, s1
; %bb.2754:
	v_mov_b32_e32 v7, 0x7f
	v_cmp_lt_u32_e32 vcc_lo, 0x7f800000, v8
	s_delay_alu instid0(VALU_DEP_2)
	v_cndmask_b32_e32 v7, 0x7e, v7, vcc_lo
; %bb.2755:
	s_or_b32 exec_lo, exec_lo, s1
	v_lshrrev_b32_e32 v5, 24, v5
	s_delay_alu instid0(VALU_DEP_1)
	v_and_or_b32 v5, 0x80, v5, v7
	global_store_b8 v[2:3], v5, off
.LBB11_2756:
	s_mov_b32 s1, 0
.LBB11_2757:
	s_delay_alu instid0(SALU_CYCLE_1)
	s_and_not1_b32 vcc_lo, exec_lo, s1
	s_cbranch_vccnz .LBB11_2767
; %bb.2758:
	s_waitcnt vmcnt(0)
	v_cvt_f32_f64_e32 v5, v[43:44]
	s_mov_b32 s1, exec_lo
                                        ; implicit-def: $vgpr7
	s_delay_alu instid0(VALU_DEP_1) | instskip(NEXT) | instid1(VALU_DEP_1)
	v_and_b32_e32 v8, 0x7fffffff, v5
	v_cmpx_gt_u32_e32 0x47800000, v8
	s_xor_b32 s1, exec_lo, s1
	s_cbranch_execz .LBB11_2764
; %bb.2759:
	s_mov_b32 s2, exec_lo
                                        ; implicit-def: $vgpr7
	v_cmpx_lt_u32_e32 0x387fffff, v8
	s_xor_b32 s2, exec_lo, s2
; %bb.2760:
	v_bfe_u32 v7, v5, 21, 1
	s_delay_alu instid0(VALU_DEP_1) | instskip(NEXT) | instid1(VALU_DEP_1)
	v_add3_u32 v7, v5, v7, 0x80fffff
	v_lshrrev_b32_e32 v7, 21, v7
; %bb.2761:
	s_and_not1_saveexec_b32 s2, s2
; %bb.2762:
	v_add_f32_e64 v7, 0x43000000, |v5|
; %bb.2763:
	s_or_b32 exec_lo, exec_lo, s2
                                        ; implicit-def: $vgpr8
.LBB11_2764:
	s_and_not1_saveexec_b32 s1, s1
; %bb.2765:
	v_mov_b32_e32 v7, 0x7f
	v_cmp_lt_u32_e32 vcc_lo, 0x7f800000, v8
	s_delay_alu instid0(VALU_DEP_2)
	v_cndmask_b32_e32 v7, 0x7c, v7, vcc_lo
; %bb.2766:
	s_or_b32 exec_lo, exec_lo, s1
	v_lshrrev_b32_e32 v5, 24, v5
	s_delay_alu instid0(VALU_DEP_1)
	v_and_or_b32 v5, 0x80, v5, v7
	global_store_b8 v[2:3], v5, off
.LBB11_2767:
	s_mov_b32 s1, 0
	s_mov_b32 s2, -1
.LBB11_2768:
	s_and_not1_b32 vcc_lo, exec_lo, s1
	s_mov_b32 s1, 0
	s_cbranch_vccnz .LBB11_2775
; %bb.2769:
	v_cmp_lt_i16_e32 vcc_lo, 14, v6
	s_mov_b32 s1, -1
	s_cbranch_vccz .LBB11_2773
; %bb.2770:
	v_cmp_eq_u16_e32 vcc_lo, 15, v6
	s_mov_b32 s0, -1
	s_cbranch_vccz .LBB11_2772
; %bb.2771:
	s_waitcnt vmcnt(0)
	v_cvt_f32_f64_e32 v5, v[43:44]
	s_mov_b32 s0, 0
	s_mov_b32 s2, -1
	s_delay_alu instid0(VALU_DEP_1) | instskip(SKIP_1) | instid1(VALU_DEP_2)
	v_bfe_u32 v7, v5, 16, 1
	v_cmp_o_f32_e32 vcc_lo, v5, v5
	v_add3_u32 v7, v5, v7, 0x7fff
	s_delay_alu instid0(VALU_DEP_1) | instskip(NEXT) | instid1(VALU_DEP_1)
	v_lshrrev_b32_e32 v7, 16, v7
	v_cndmask_b32_e32 v5, 0x7fc0, v7, vcc_lo
	global_store_b16 v[2:3], v5, off
.LBB11_2772:
	s_mov_b32 s1, 0
.LBB11_2773:
	s_delay_alu instid0(SALU_CYCLE_1)
	s_and_b32 vcc_lo, exec_lo, s1
	s_mov_b32 s1, 0
	s_cbranch_vccz .LBB11_2775
; %bb.2774:
	v_cmp_ne_u16_e64 s0, 11, v6
	s_mov_b32 s1, -1
.LBB11_2775:
	s_delay_alu instid0(VALU_DEP_1)
	s_and_b32 vcc_lo, exec_lo, s0
	s_cbranch_vccnz .LBB11_3142
; %bb.2776:
	s_and_not1_b32 vcc_lo, exec_lo, s1
	s_cbranch_vccnz .LBB11_2778
.LBB11_2777:
	s_waitcnt vmcnt(0)
	v_cmp_neq_f64_e32 vcc_lo, 0, v[43:44]
	s_mov_b32 s2, -1
	v_cndmask_b32_e64 v5, 0, 1, vcc_lo
	global_store_b8 v[2:3], v5, off
.LBB11_2778:
	s_mov_b32 s0, 0
	s_branch .LBB11_2780
.LBB11_2779:
	s_mov_b32 s0, -1
	s_mov_b32 s2, 0
.LBB11_2780:
	s_and_b32 vcc_lo, exec_lo, s0
	s_cbranch_vccz .LBB11_2819
; %bb.2781:
	v_cmp_gt_i16_e32 vcc_lo, 5, v6
	s_mov_b32 s0, -1
	s_cbranch_vccnz .LBB11_2802
; %bb.2782:
	v_cmp_gt_i16_e32 vcc_lo, 8, v6
	s_cbranch_vccnz .LBB11_2792
; %bb.2783:
	v_cmp_gt_i16_e32 vcc_lo, 9, v6
	s_cbranch_vccnz .LBB11_2789
; %bb.2784:
	v_cmp_lt_i16_e32 vcc_lo, 9, v6
	s_cbranch_vccz .LBB11_2786
; %bb.2785:
	s_waitcnt vmcnt(0)
	v_mov_b32_e32 v45, 0
	s_mov_b32 s0, 0
	s_delay_alu instid0(VALU_DEP_1)
	v_mov_b32_e32 v46, v45
	global_store_b128 v[2:3], v[43:46], off
.LBB11_2786:
	s_and_not1_b32 vcc_lo, exec_lo, s0
	s_cbranch_vccnz .LBB11_2788
; %bb.2787:
	s_waitcnt vmcnt(0)
	v_cvt_f32_f64_e32 v7, v[43:44]
	v_mov_b32_e32 v8, 0
	global_store_b64 v[2:3], v[7:8], off
.LBB11_2788:
	s_mov_b32 s0, 0
.LBB11_2789:
	s_delay_alu instid0(SALU_CYCLE_1)
	s_and_not1_b32 vcc_lo, exec_lo, s0
	s_cbranch_vccnz .LBB11_2791
; %bb.2790:
	s_waitcnt vmcnt(0)
	v_cvt_f32_f64_e32 v5, v[43:44]
	s_delay_alu instid0(VALU_DEP_1) | instskip(NEXT) | instid1(VALU_DEP_1)
	v_cvt_f16_f32_e32 v5, v5
	v_and_b32_e32 v5, 0xffff, v5
	global_store_b32 v[2:3], v5, off
.LBB11_2791:
	s_mov_b32 s0, 0
.LBB11_2792:
	s_delay_alu instid0(SALU_CYCLE_1)
	s_and_not1_b32 vcc_lo, exec_lo, s0
	s_cbranch_vccnz .LBB11_2801
; %bb.2793:
	v_cmp_gt_i16_e32 vcc_lo, 6, v6
	s_mov_b32 s0, -1
	s_cbranch_vccnz .LBB11_2799
; %bb.2794:
	v_cmp_lt_i16_e32 vcc_lo, 6, v6
	s_cbranch_vccz .LBB11_2796
; %bb.2795:
	s_mov_b32 s0, 0
	s_waitcnt vmcnt(0)
	global_store_b64 v[2:3], v[43:44], off
.LBB11_2796:
	s_and_not1_b32 vcc_lo, exec_lo, s0
	s_cbranch_vccnz .LBB11_2798
; %bb.2797:
	s_waitcnt vmcnt(0)
	v_cvt_f32_f64_e32 v5, v[43:44]
	global_store_b32 v[2:3], v5, off
.LBB11_2798:
	s_mov_b32 s0, 0
.LBB11_2799:
	s_delay_alu instid0(SALU_CYCLE_1)
	s_and_not1_b32 vcc_lo, exec_lo, s0
	s_cbranch_vccnz .LBB11_2801
; %bb.2800:
	s_waitcnt vmcnt(0)
	v_cvt_f32_f64_e32 v5, v[43:44]
	s_delay_alu instid0(VALU_DEP_1)
	v_cvt_f16_f32_e32 v5, v5
	global_store_b16 v[2:3], v5, off
.LBB11_2801:
	s_mov_b32 s0, 0
.LBB11_2802:
	s_delay_alu instid0(SALU_CYCLE_1)
	s_and_not1_b32 vcc_lo, exec_lo, s0
	s_cbranch_vccnz .LBB11_2818
; %bb.2803:
	v_cmp_gt_i16_e32 vcc_lo, 2, v6
	s_mov_b32 s0, -1
	s_cbranch_vccnz .LBB11_2813
; %bb.2804:
	v_cmp_gt_i16_e32 vcc_lo, 3, v6
	s_cbranch_vccnz .LBB11_2810
; %bb.2805:
	v_cmp_lt_i16_e32 vcc_lo, 3, v6
	s_cbranch_vccz .LBB11_2807
; %bb.2806:
	s_waitcnt vmcnt(0)
	v_trunc_f64_e32 v[7:8], v[43:44]
	s_mov_b32 s0, 0
	s_delay_alu instid0(VALU_DEP_1) | instskip(NEXT) | instid1(VALU_DEP_1)
	v_ldexp_f64 v[9:10], v[7:8], 0xffffffe0
	v_floor_f64_e32 v[9:10], v[9:10]
	s_delay_alu instid0(VALU_DEP_1) | instskip(SKIP_1) | instid1(VALU_DEP_2)
	v_fma_f64 v[7:8], 0xc1f00000, v[9:10], v[7:8]
	v_cvt_i32_f64_e32 v9, v[9:10]
	v_cvt_u32_f64_e32 v8, v[7:8]
	global_store_b64 v[2:3], v[8:9], off
.LBB11_2807:
	s_and_not1_b32 vcc_lo, exec_lo, s0
	s_cbranch_vccnz .LBB11_2809
; %bb.2808:
	s_waitcnt vmcnt(0)
	v_cvt_i32_f64_e32 v5, v[43:44]
	global_store_b32 v[2:3], v5, off
.LBB11_2809:
	s_mov_b32 s0, 0
.LBB11_2810:
	s_delay_alu instid0(SALU_CYCLE_1)
	s_and_not1_b32 vcc_lo, exec_lo, s0
	s_cbranch_vccnz .LBB11_2812
; %bb.2811:
	s_waitcnt vmcnt(0)
	v_cvt_i32_f64_e32 v5, v[43:44]
	global_store_b16 v[2:3], v5, off
.LBB11_2812:
	s_mov_b32 s0, 0
.LBB11_2813:
	s_delay_alu instid0(SALU_CYCLE_1)
	s_and_not1_b32 vcc_lo, exec_lo, s0
	s_cbranch_vccnz .LBB11_2818
; %bb.2814:
	v_cmp_lt_i16_e32 vcc_lo, 0, v6
	s_mov_b32 s0, -1
	s_cbranch_vccz .LBB11_2816
; %bb.2815:
	s_waitcnt vmcnt(0)
	v_cvt_i32_f64_e32 v5, v[43:44]
	s_mov_b32 s0, 0
	global_store_b8 v[2:3], v5, off
.LBB11_2816:
	s_and_not1_b32 vcc_lo, exec_lo, s0
	s_cbranch_vccnz .LBB11_2818
; %bb.2817:
	s_waitcnt vmcnt(0)
	v_trunc_f64_e32 v[7:8], v[43:44]
	s_delay_alu instid0(VALU_DEP_1) | instskip(NEXT) | instid1(VALU_DEP_1)
	v_ldexp_f64 v[9:10], v[7:8], 0xffffffe0
	v_floor_f64_e32 v[9:10], v[9:10]
	s_delay_alu instid0(VALU_DEP_1) | instskip(NEXT) | instid1(VALU_DEP_1)
	v_fma_f64 v[7:8], 0xc1f00000, v[9:10], v[7:8]
	v_cvt_u32_f64_e32 v5, v[7:8]
	global_store_b8 v[2:3], v5, off
.LBB11_2818:
	s_mov_b32 s2, -1
.LBB11_2819:
	s_delay_alu instid0(SALU_CYCLE_1)
	s_and_not1_b32 vcc_lo, exec_lo, s2
	s_cbranch_vccnz .LBB11_3134
; %bb.2820:
	s_lshl_b32 s1, s48, 7
	v_cmp_gt_i16_e32 vcc_lo, 11, v6
	v_add_nc_u32_e32 v4, s1, v4
	s_delay_alu instid0(VALU_DEP_1) | instskip(SKIP_1) | instid1(VALU_DEP_1)
	v_ashrrev_i32_e32 v3, 31, v4
	v_add_co_u32 v2, s0, s44, v4
	v_add_co_ci_u32_e64 v3, s0, s45, v3, s0
	s_cbranch_vccnz .LBB11_2898
; %bb.2821:
	v_cmp_lt_i16_e32 vcc_lo, 25, v6
	s_mov_b32 s4, -1
	s_mov_b32 s2, 0
	s_mov_b32 s3, 0
	;; [unrolled: 1-line block ×3, first 2 shown]
	s_cbranch_vccz .LBB11_2854
; %bb.2822:
	v_cmp_lt_i16_e32 vcc_lo, 28, v6
	s_cbranch_vccz .LBB11_2837
; %bb.2823:
	v_cmp_lt_i16_e32 vcc_lo, 43, v6
	;; [unrolled: 3-line block ×3, first 2 shown]
	s_cbranch_vccz .LBB11_2827
; %bb.2825:
	v_cmp_eq_u16_e32 vcc_lo, 46, v6
	s_mov_b32 s0, -1
	s_mov_b32 s4, 0
	s_cbranch_vccz .LBB11_2827
; %bb.2826:
	s_waitcnt vmcnt(0)
	v_cvt_f32_f64_e32 v5, v[56:57]
	s_mov_b32 s0, 0
	s_mov_b32 s3, -1
	s_delay_alu instid0(VALU_DEP_1) | instskip(SKIP_1) | instid1(VALU_DEP_2)
	v_bfe_u32 v7, v5, 16, 1
	v_cmp_o_f32_e32 vcc_lo, v5, v5
	v_add3_u32 v7, v5, v7, 0x7fff
	s_delay_alu instid0(VALU_DEP_1) | instskip(NEXT) | instid1(VALU_DEP_1)
	v_lshrrev_b32_e32 v7, 16, v7
	v_cndmask_b32_e32 v5, 0x7fc0, v7, vcc_lo
	global_store_b32 v[2:3], v5, off
.LBB11_2827:
	s_and_b32 vcc_lo, exec_lo, s4
	s_cbranch_vccz .LBB11_2832
; %bb.2828:
	v_cmp_eq_u16_e32 vcc_lo, 44, v6
	s_mov_b32 s0, -1
	s_cbranch_vccz .LBB11_2832
; %bb.2829:
	s_waitcnt vmcnt(0)
	v_cvt_f32_f64_e32 v5, v[56:57]
	v_mov_b32_e32 v7, 0xff
	s_mov_b32 s3, exec_lo
	s_delay_alu instid0(VALU_DEP_2) | instskip(NEXT) | instid1(VALU_DEP_1)
	v_bfe_u32 v8, v5, 23, 8
	v_cmpx_ne_u32_e32 0xff, v8
; %bb.2830:
	v_and_b32_e32 v7, 0x400000, v5
	v_and_or_b32 v8, 0x3fffff, v5, v8
	v_lshrrev_b32_e32 v5, 23, v5
	s_delay_alu instid0(VALU_DEP_3) | instskip(NEXT) | instid1(VALU_DEP_3)
	v_cmp_ne_u32_e32 vcc_lo, 0, v7
	v_cmp_ne_u32_e64 s0, 0, v8
	s_delay_alu instid0(VALU_DEP_1) | instskip(NEXT) | instid1(SALU_CYCLE_1)
	s_and_b32 s0, vcc_lo, s0
	v_cndmask_b32_e64 v7, 0, 1, s0
	s_delay_alu instid0(VALU_DEP_1)
	v_add_nc_u32_e32 v7, v5, v7
; %bb.2831:
	s_or_b32 exec_lo, exec_lo, s3
	s_mov_b32 s0, 0
	s_mov_b32 s3, -1
	global_store_b8 v[2:3], v7, off
.LBB11_2832:
	s_mov_b32 s4, 0
.LBB11_2833:
	s_delay_alu instid0(SALU_CYCLE_1)
	s_and_b32 vcc_lo, exec_lo, s4
	s_cbranch_vccz .LBB11_2836
; %bb.2834:
	v_cmp_eq_u16_e32 vcc_lo, 29, v6
	s_mov_b32 s0, -1
	s_cbranch_vccz .LBB11_2836
; %bb.2835:
	s_waitcnt vmcnt(0)
	v_trunc_f64_e32 v[7:8], v[56:57]
	s_mov_b32 s0, 0
	s_mov_b32 s3, -1
	s_delay_alu instid0(VALU_DEP_1) | instskip(NEXT) | instid1(VALU_DEP_1)
	v_ldexp_f64 v[9:10], v[7:8], 0xffffffe0
	v_floor_f64_e32 v[9:10], v[9:10]
	s_delay_alu instid0(VALU_DEP_1) | instskip(SKIP_1) | instid1(VALU_DEP_2)
	v_fma_f64 v[7:8], 0xc1f00000, v[9:10], v[7:8]
	v_cvt_u32_f64_e32 v9, v[9:10]
	v_cvt_u32_f64_e32 v8, v[7:8]
	global_store_b64 v[2:3], v[8:9], off
.LBB11_2836:
	s_mov_b32 s4, 0
.LBB11_2837:
	s_delay_alu instid0(SALU_CYCLE_1)
	s_and_b32 vcc_lo, exec_lo, s4
	s_cbranch_vccz .LBB11_2853
; %bb.2838:
	v_cmp_gt_i16_e32 vcc_lo, 27, v6
	s_mov_b32 s3, -1
	s_cbranch_vccnz .LBB11_2844
; %bb.2839:
	s_waitcnt vmcnt(0)
	v_cvt_u32_f64_e32 v5, v[56:57]
	v_cmp_lt_i16_e32 vcc_lo, 27, v6
	s_cbranch_vccz .LBB11_2841
; %bb.2840:
	s_mov_b32 s3, 0
	global_store_b32 v[2:3], v5, off
.LBB11_2841:
	s_and_not1_b32 vcc_lo, exec_lo, s3
	s_cbranch_vccnz .LBB11_2843
; %bb.2842:
	global_store_b16 v[2:3], v5, off
.LBB11_2843:
	s_mov_b32 s3, 0
.LBB11_2844:
	s_delay_alu instid0(SALU_CYCLE_1)
	s_and_not1_b32 vcc_lo, exec_lo, s3
	s_cbranch_vccnz .LBB11_2852
; %bb.2845:
	s_waitcnt vmcnt(0)
	v_cvt_f32_f64_e32 v5, v[56:57]
	v_mov_b32_e32 v8, 0x80
	s_mov_b32 s3, exec_lo
	s_delay_alu instid0(VALU_DEP_2) | instskip(NEXT) | instid1(VALU_DEP_1)
	v_and_b32_e32 v7, 0x7fffffff, v5
	v_cmpx_gt_u32_e32 0x43800000, v7
	s_cbranch_execz .LBB11_2851
; %bb.2846:
	v_cmp_lt_u32_e32 vcc_lo, 0x3bffffff, v7
	s_mov_b32 s4, 0
                                        ; implicit-def: $vgpr7
	s_and_saveexec_b32 s5, vcc_lo
	s_delay_alu instid0(SALU_CYCLE_1)
	s_xor_b32 s5, exec_lo, s5
	s_cbranch_execz .LBB11_3146
; %bb.2847:
	v_bfe_u32 v7, v5, 20, 1
	s_mov_b32 s4, exec_lo
	s_delay_alu instid0(VALU_DEP_1) | instskip(NEXT) | instid1(VALU_DEP_1)
	v_add3_u32 v7, v5, v7, 0x487ffff
	v_lshrrev_b32_e32 v7, 20, v7
	s_or_saveexec_b32 s5, s5
                                        ; implicit-def: $sgpr6
	s_delay_alu instid0(SALU_CYCLE_1)
	s_xor_b32 exec_lo, exec_lo, s5
	s_cbranch_execnz .LBB11_3147
.LBB11_2848:
	s_or_b32 exec_lo, exec_lo, s5
	v_mov_b32_e32 v8, s6
	s_and_saveexec_b32 s5, s4
.LBB11_2849:
	v_lshrrev_b32_e32 v5, 24, v5
	s_delay_alu instid0(VALU_DEP_1)
	v_and_or_b32 v8, 0x80, v5, v7
.LBB11_2850:
	s_or_b32 exec_lo, exec_lo, s5
.LBB11_2851:
	s_delay_alu instid0(SALU_CYCLE_1)
	s_or_b32 exec_lo, exec_lo, s3
	global_store_b8 v[2:3], v8, off
.LBB11_2852:
	s_mov_b32 s3, -1
.LBB11_2853:
	s_mov_b32 s4, 0
.LBB11_2854:
	s_delay_alu instid0(SALU_CYCLE_1)
	s_and_b32 vcc_lo, exec_lo, s4
	s_cbranch_vccz .LBB11_2894
; %bb.2855:
	v_cmp_lt_i16_e32 vcc_lo, 22, v6
	s_mov_b32 s2, -1
	s_cbranch_vccz .LBB11_2887
; %bb.2856:
	v_cmp_gt_i16_e32 vcc_lo, 24, v6
	s_cbranch_vccnz .LBB11_2876
; %bb.2857:
	v_cmp_lt_i16_e32 vcc_lo, 24, v6
	s_cbranch_vccz .LBB11_2865
; %bb.2858:
	s_waitcnt vmcnt(0)
	v_cvt_f32_f64_e32 v5, v[56:57]
	v_mov_b32_e32 v8, 0x80
	s_mov_b32 s2, exec_lo
	s_delay_alu instid0(VALU_DEP_2) | instskip(NEXT) | instid1(VALU_DEP_1)
	v_and_b32_e32 v7, 0x7fffffff, v5
	v_cmpx_gt_u32_e32 0x47800000, v7
	s_cbranch_execz .LBB11_2864
; %bb.2859:
	v_cmp_lt_u32_e32 vcc_lo, 0x37ffffff, v7
	s_mov_b32 s3, 0
                                        ; implicit-def: $vgpr7
	s_and_saveexec_b32 s4, vcc_lo
	s_delay_alu instid0(SALU_CYCLE_1)
	s_xor_b32 s4, exec_lo, s4
	s_cbranch_execz .LBB11_3152
; %bb.2860:
	v_bfe_u32 v7, v5, 21, 1
	s_mov_b32 s3, exec_lo
	s_delay_alu instid0(VALU_DEP_1) | instskip(NEXT) | instid1(VALU_DEP_1)
	v_add3_u32 v7, v5, v7, 0x88fffff
	v_lshrrev_b32_e32 v7, 21, v7
	s_or_saveexec_b32 s4, s4
                                        ; implicit-def: $sgpr5
	s_delay_alu instid0(SALU_CYCLE_1)
	s_xor_b32 exec_lo, exec_lo, s4
	s_cbranch_execnz .LBB11_3153
.LBB11_2861:
	s_or_b32 exec_lo, exec_lo, s4
	v_mov_b32_e32 v8, s5
	s_and_saveexec_b32 s4, s3
.LBB11_2862:
	v_lshrrev_b32_e32 v5, 24, v5
	s_delay_alu instid0(VALU_DEP_1)
	v_and_or_b32 v8, 0x80, v5, v7
.LBB11_2863:
	s_or_b32 exec_lo, exec_lo, s4
.LBB11_2864:
	s_delay_alu instid0(SALU_CYCLE_1)
	s_or_b32 exec_lo, exec_lo, s2
	s_mov_b32 s2, 0
	global_store_b8 v[2:3], v8, off
.LBB11_2865:
	s_and_b32 vcc_lo, exec_lo, s2
	s_cbranch_vccz .LBB11_2875
; %bb.2866:
	s_waitcnt vmcnt(0)
	v_cvt_f32_f64_e32 v5, v[56:57]
	s_mov_b32 s2, exec_lo
                                        ; implicit-def: $vgpr7
	s_delay_alu instid0(VALU_DEP_1) | instskip(NEXT) | instid1(VALU_DEP_1)
	v_and_b32_e32 v8, 0x7fffffff, v5
	v_cmpx_gt_u32_e32 0x43f00000, v8
	s_xor_b32 s2, exec_lo, s2
	s_cbranch_execz .LBB11_2872
; %bb.2867:
	s_mov_b32 s3, exec_lo
                                        ; implicit-def: $vgpr7
	v_cmpx_lt_u32_e32 0x3c7fffff, v8
	s_xor_b32 s3, exec_lo, s3
; %bb.2868:
	v_bfe_u32 v7, v5, 20, 1
	s_delay_alu instid0(VALU_DEP_1) | instskip(NEXT) | instid1(VALU_DEP_1)
	v_add3_u32 v7, v5, v7, 0x407ffff
	v_and_b32_e32 v8, 0xff00000, v7
	v_lshrrev_b32_e32 v7, 20, v7
	s_delay_alu instid0(VALU_DEP_2) | instskip(NEXT) | instid1(VALU_DEP_2)
	v_cmp_ne_u32_e32 vcc_lo, 0x7f00000, v8
	v_cndmask_b32_e32 v7, 0x7e, v7, vcc_lo
; %bb.2869:
	s_and_not1_saveexec_b32 s3, s3
; %bb.2870:
	v_add_f32_e64 v7, 0x46800000, |v5|
; %bb.2871:
	s_or_b32 exec_lo, exec_lo, s3
                                        ; implicit-def: $vgpr8
.LBB11_2872:
	s_and_not1_saveexec_b32 s2, s2
; %bb.2873:
	v_mov_b32_e32 v7, 0x7f
	v_cmp_lt_u32_e32 vcc_lo, 0x7f800000, v8
	s_delay_alu instid0(VALU_DEP_2)
	v_cndmask_b32_e32 v7, 0x7e, v7, vcc_lo
; %bb.2874:
	s_or_b32 exec_lo, exec_lo, s2
	v_lshrrev_b32_e32 v5, 24, v5
	s_delay_alu instid0(VALU_DEP_1)
	v_and_or_b32 v5, 0x80, v5, v7
	global_store_b8 v[2:3], v5, off
.LBB11_2875:
	s_mov_b32 s2, 0
.LBB11_2876:
	s_delay_alu instid0(SALU_CYCLE_1)
	s_and_not1_b32 vcc_lo, exec_lo, s2
	s_cbranch_vccnz .LBB11_2886
; %bb.2877:
	s_waitcnt vmcnt(0)
	v_cvt_f32_f64_e32 v5, v[56:57]
	s_mov_b32 s2, exec_lo
                                        ; implicit-def: $vgpr7
	s_delay_alu instid0(VALU_DEP_1) | instskip(NEXT) | instid1(VALU_DEP_1)
	v_and_b32_e32 v8, 0x7fffffff, v5
	v_cmpx_gt_u32_e32 0x47800000, v8
	s_xor_b32 s2, exec_lo, s2
	s_cbranch_execz .LBB11_2883
; %bb.2878:
	s_mov_b32 s3, exec_lo
                                        ; implicit-def: $vgpr7
	v_cmpx_lt_u32_e32 0x387fffff, v8
	s_xor_b32 s3, exec_lo, s3
; %bb.2879:
	v_bfe_u32 v7, v5, 21, 1
	s_delay_alu instid0(VALU_DEP_1) | instskip(NEXT) | instid1(VALU_DEP_1)
	v_add3_u32 v7, v5, v7, 0x80fffff
	v_lshrrev_b32_e32 v7, 21, v7
; %bb.2880:
	s_and_not1_saveexec_b32 s3, s3
; %bb.2881:
	v_add_f32_e64 v7, 0x43000000, |v5|
; %bb.2882:
	s_or_b32 exec_lo, exec_lo, s3
                                        ; implicit-def: $vgpr8
.LBB11_2883:
	s_and_not1_saveexec_b32 s2, s2
; %bb.2884:
	v_mov_b32_e32 v7, 0x7f
	v_cmp_lt_u32_e32 vcc_lo, 0x7f800000, v8
	s_delay_alu instid0(VALU_DEP_2)
	v_cndmask_b32_e32 v7, 0x7c, v7, vcc_lo
; %bb.2885:
	s_or_b32 exec_lo, exec_lo, s2
	v_lshrrev_b32_e32 v5, 24, v5
	s_delay_alu instid0(VALU_DEP_1)
	v_and_or_b32 v5, 0x80, v5, v7
	global_store_b8 v[2:3], v5, off
.LBB11_2886:
	s_mov_b32 s2, 0
	s_mov_b32 s3, -1
.LBB11_2887:
	s_and_not1_b32 vcc_lo, exec_lo, s2
	s_mov_b32 s2, 0
	s_cbranch_vccnz .LBB11_2894
; %bb.2888:
	v_cmp_lt_i16_e32 vcc_lo, 14, v6
	s_mov_b32 s2, -1
	s_cbranch_vccz .LBB11_2892
; %bb.2889:
	v_cmp_eq_u16_e32 vcc_lo, 15, v6
	s_mov_b32 s0, -1
	s_cbranch_vccz .LBB11_2891
; %bb.2890:
	s_waitcnt vmcnt(0)
	v_cvt_f32_f64_e32 v5, v[56:57]
	s_mov_b32 s0, 0
	s_mov_b32 s3, -1
	s_delay_alu instid0(VALU_DEP_1) | instskip(SKIP_1) | instid1(VALU_DEP_2)
	v_bfe_u32 v7, v5, 16, 1
	v_cmp_o_f32_e32 vcc_lo, v5, v5
	v_add3_u32 v7, v5, v7, 0x7fff
	s_delay_alu instid0(VALU_DEP_1) | instskip(NEXT) | instid1(VALU_DEP_1)
	v_lshrrev_b32_e32 v7, 16, v7
	v_cndmask_b32_e32 v5, 0x7fc0, v7, vcc_lo
	global_store_b16 v[2:3], v5, off
.LBB11_2891:
	s_mov_b32 s2, 0
.LBB11_2892:
	s_delay_alu instid0(SALU_CYCLE_1)
	s_and_b32 vcc_lo, exec_lo, s2
	s_mov_b32 s2, 0
	s_cbranch_vccz .LBB11_2894
; %bb.2893:
	v_cmp_ne_u16_e64 s0, 11, v6
	s_mov_b32 s2, -1
.LBB11_2894:
	s_delay_alu instid0(VALU_DEP_1)
	s_and_b32 vcc_lo, exec_lo, s0
	s_cbranch_vccnz .LBB11_3150
; %bb.2895:
	s_and_not1_b32 vcc_lo, exec_lo, s2
	s_cbranch_vccnz .LBB11_2897
.LBB11_2896:
	s_waitcnt vmcnt(0)
	v_cmp_neq_f64_e32 vcc_lo, 0, v[56:57]
	s_mov_b32 s3, -1
	v_cndmask_b32_e64 v5, 0, 1, vcc_lo
	global_store_b8 v[2:3], v5, off
.LBB11_2897:
	s_mov_b32 s0, 0
	s_branch .LBB11_2899
.LBB11_2898:
	s_mov_b32 s0, -1
	s_mov_b32 s3, 0
.LBB11_2899:
	s_and_b32 vcc_lo, exec_lo, s0
	s_cbranch_vccz .LBB11_2938
; %bb.2900:
	v_cmp_gt_i16_e32 vcc_lo, 5, v6
	s_mov_b32 s0, -1
	s_cbranch_vccnz .LBB11_2921
; %bb.2901:
	v_cmp_gt_i16_e32 vcc_lo, 8, v6
	s_cbranch_vccnz .LBB11_2911
; %bb.2902:
	v_cmp_gt_i16_e32 vcc_lo, 9, v6
	s_cbranch_vccnz .LBB11_2908
; %bb.2903:
	v_cmp_lt_i16_e32 vcc_lo, 9, v6
	s_cbranch_vccz .LBB11_2905
; %bb.2904:
	s_waitcnt vmcnt(0)
	v_mov_b32_e32 v58, 0
	s_mov_b32 s0, 0
	s_delay_alu instid0(VALU_DEP_1)
	v_mov_b32_e32 v59, v58
	global_store_b128 v[2:3], v[56:59], off
.LBB11_2905:
	s_and_not1_b32 vcc_lo, exec_lo, s0
	s_cbranch_vccnz .LBB11_2907
; %bb.2906:
	s_waitcnt vmcnt(0)
	v_cvt_f32_f64_e32 v7, v[56:57]
	v_mov_b32_e32 v8, 0
	global_store_b64 v[2:3], v[7:8], off
.LBB11_2907:
	s_mov_b32 s0, 0
.LBB11_2908:
	s_delay_alu instid0(SALU_CYCLE_1)
	s_and_not1_b32 vcc_lo, exec_lo, s0
	s_cbranch_vccnz .LBB11_2910
; %bb.2909:
	s_waitcnt vmcnt(0)
	v_cvt_f32_f64_e32 v5, v[56:57]
	s_delay_alu instid0(VALU_DEP_1) | instskip(NEXT) | instid1(VALU_DEP_1)
	v_cvt_f16_f32_e32 v5, v5
	v_and_b32_e32 v5, 0xffff, v5
	global_store_b32 v[2:3], v5, off
.LBB11_2910:
	s_mov_b32 s0, 0
.LBB11_2911:
	s_delay_alu instid0(SALU_CYCLE_1)
	s_and_not1_b32 vcc_lo, exec_lo, s0
	s_cbranch_vccnz .LBB11_2920
; %bb.2912:
	v_cmp_gt_i16_e32 vcc_lo, 6, v6
	s_mov_b32 s0, -1
	s_cbranch_vccnz .LBB11_2918
; %bb.2913:
	v_cmp_lt_i16_e32 vcc_lo, 6, v6
	s_cbranch_vccz .LBB11_2915
; %bb.2914:
	s_mov_b32 s0, 0
	s_waitcnt vmcnt(0)
	global_store_b64 v[2:3], v[56:57], off
.LBB11_2915:
	s_and_not1_b32 vcc_lo, exec_lo, s0
	s_cbranch_vccnz .LBB11_2917
; %bb.2916:
	s_waitcnt vmcnt(0)
	v_cvt_f32_f64_e32 v5, v[56:57]
	global_store_b32 v[2:3], v5, off
.LBB11_2917:
	s_mov_b32 s0, 0
.LBB11_2918:
	s_delay_alu instid0(SALU_CYCLE_1)
	s_and_not1_b32 vcc_lo, exec_lo, s0
	s_cbranch_vccnz .LBB11_2920
; %bb.2919:
	s_waitcnt vmcnt(0)
	v_cvt_f32_f64_e32 v5, v[56:57]
	s_delay_alu instid0(VALU_DEP_1)
	v_cvt_f16_f32_e32 v5, v5
	global_store_b16 v[2:3], v5, off
.LBB11_2920:
	s_mov_b32 s0, 0
.LBB11_2921:
	s_delay_alu instid0(SALU_CYCLE_1)
	s_and_not1_b32 vcc_lo, exec_lo, s0
	s_cbranch_vccnz .LBB11_2937
; %bb.2922:
	v_cmp_gt_i16_e32 vcc_lo, 2, v6
	s_mov_b32 s0, -1
	s_cbranch_vccnz .LBB11_2932
; %bb.2923:
	v_cmp_gt_i16_e32 vcc_lo, 3, v6
	s_cbranch_vccnz .LBB11_2929
; %bb.2924:
	v_cmp_lt_i16_e32 vcc_lo, 3, v6
	s_cbranch_vccz .LBB11_2926
; %bb.2925:
	s_waitcnt vmcnt(0)
	v_trunc_f64_e32 v[7:8], v[56:57]
	s_mov_b32 s0, 0
	s_delay_alu instid0(VALU_DEP_1) | instskip(NEXT) | instid1(VALU_DEP_1)
	v_ldexp_f64 v[9:10], v[7:8], 0xffffffe0
	v_floor_f64_e32 v[9:10], v[9:10]
	s_delay_alu instid0(VALU_DEP_1) | instskip(SKIP_1) | instid1(VALU_DEP_2)
	v_fma_f64 v[7:8], 0xc1f00000, v[9:10], v[7:8]
	v_cvt_i32_f64_e32 v9, v[9:10]
	v_cvt_u32_f64_e32 v8, v[7:8]
	global_store_b64 v[2:3], v[8:9], off
.LBB11_2926:
	s_and_not1_b32 vcc_lo, exec_lo, s0
	s_cbranch_vccnz .LBB11_2928
; %bb.2927:
	s_waitcnt vmcnt(0)
	v_cvt_i32_f64_e32 v5, v[56:57]
	global_store_b32 v[2:3], v5, off
.LBB11_2928:
	s_mov_b32 s0, 0
.LBB11_2929:
	s_delay_alu instid0(SALU_CYCLE_1)
	s_and_not1_b32 vcc_lo, exec_lo, s0
	s_cbranch_vccnz .LBB11_2931
; %bb.2930:
	s_waitcnt vmcnt(0)
	v_cvt_i32_f64_e32 v5, v[56:57]
	global_store_b16 v[2:3], v5, off
.LBB11_2931:
	s_mov_b32 s0, 0
.LBB11_2932:
	s_delay_alu instid0(SALU_CYCLE_1)
	s_and_not1_b32 vcc_lo, exec_lo, s0
	s_cbranch_vccnz .LBB11_2937
; %bb.2933:
	v_cmp_lt_i16_e32 vcc_lo, 0, v6
	s_mov_b32 s0, -1
	s_cbranch_vccz .LBB11_2935
; %bb.2934:
	s_waitcnt vmcnt(0)
	v_cvt_i32_f64_e32 v5, v[56:57]
	s_mov_b32 s0, 0
	global_store_b8 v[2:3], v5, off
.LBB11_2935:
	s_and_not1_b32 vcc_lo, exec_lo, s0
	s_cbranch_vccnz .LBB11_2937
; %bb.2936:
	s_waitcnt vmcnt(0)
	v_trunc_f64_e32 v[7:8], v[56:57]
	s_delay_alu instid0(VALU_DEP_1) | instskip(NEXT) | instid1(VALU_DEP_1)
	v_ldexp_f64 v[9:10], v[7:8], 0xffffffe0
	v_floor_f64_e32 v[9:10], v[9:10]
	s_delay_alu instid0(VALU_DEP_1) | instskip(NEXT) | instid1(VALU_DEP_1)
	v_fma_f64 v[7:8], 0xc1f00000, v[9:10], v[7:8]
	v_cvt_u32_f64_e32 v5, v[7:8]
	global_store_b8 v[2:3], v5, off
.LBB11_2937:
	s_mov_b32 s3, -1
.LBB11_2938:
	s_delay_alu instid0(SALU_CYCLE_1)
	s_and_not1_b32 vcc_lo, exec_lo, s3
	s_cbranch_vccnz .LBB11_3134
; %bb.2939:
	v_add_nc_u32_e32 v4, s1, v4
	v_cmp_gt_i16_e32 vcc_lo, 11, v6
	s_delay_alu instid0(VALU_DEP_2) | instskip(SKIP_1) | instid1(VALU_DEP_1)
	v_ashrrev_i32_e32 v3, 31, v4
	v_add_co_u32 v2, s0, s44, v4
	v_add_co_ci_u32_e64 v3, s0, s45, v3, s0
	s_cbranch_vccnz .LBB11_3017
; %bb.2940:
	v_cmp_lt_i16_e32 vcc_lo, 25, v6
	s_mov_b32 s4, -1
	s_mov_b32 s2, 0
	s_mov_b32 s3, 0
	;; [unrolled: 1-line block ×3, first 2 shown]
	s_cbranch_vccz .LBB11_2973
; %bb.2941:
	v_cmp_lt_i16_e32 vcc_lo, 28, v6
	s_cbranch_vccz .LBB11_2956
; %bb.2942:
	v_cmp_lt_i16_e32 vcc_lo, 43, v6
	;; [unrolled: 3-line block ×3, first 2 shown]
	s_cbranch_vccz .LBB11_2946
; %bb.2944:
	v_cmp_eq_u16_e32 vcc_lo, 46, v6
	s_mov_b32 s0, -1
	s_mov_b32 s4, 0
	s_cbranch_vccz .LBB11_2946
; %bb.2945:
	v_cvt_f32_f64_e32 v5, v[60:61]
	s_mov_b32 s0, 0
	s_mov_b32 s3, -1
	s_delay_alu instid0(VALU_DEP_1) | instskip(SKIP_1) | instid1(VALU_DEP_2)
	v_bfe_u32 v7, v5, 16, 1
	v_cmp_o_f32_e32 vcc_lo, v5, v5
	v_add3_u32 v7, v5, v7, 0x7fff
	s_delay_alu instid0(VALU_DEP_1) | instskip(NEXT) | instid1(VALU_DEP_1)
	v_lshrrev_b32_e32 v7, 16, v7
	v_cndmask_b32_e32 v5, 0x7fc0, v7, vcc_lo
	global_store_b32 v[2:3], v5, off
.LBB11_2946:
	s_and_b32 vcc_lo, exec_lo, s4
	s_cbranch_vccz .LBB11_2951
; %bb.2947:
	v_cmp_eq_u16_e32 vcc_lo, 44, v6
	s_mov_b32 s0, -1
	s_cbranch_vccz .LBB11_2951
; %bb.2948:
	v_cvt_f32_f64_e32 v5, v[60:61]
	v_mov_b32_e32 v7, 0xff
	s_mov_b32 s3, exec_lo
	s_delay_alu instid0(VALU_DEP_2) | instskip(NEXT) | instid1(VALU_DEP_1)
	v_bfe_u32 v8, v5, 23, 8
	v_cmpx_ne_u32_e32 0xff, v8
; %bb.2949:
	v_and_b32_e32 v7, 0x400000, v5
	v_and_or_b32 v8, 0x3fffff, v5, v8
	v_lshrrev_b32_e32 v5, 23, v5
	s_delay_alu instid0(VALU_DEP_3) | instskip(NEXT) | instid1(VALU_DEP_3)
	v_cmp_ne_u32_e32 vcc_lo, 0, v7
	v_cmp_ne_u32_e64 s0, 0, v8
	s_delay_alu instid0(VALU_DEP_1) | instskip(NEXT) | instid1(SALU_CYCLE_1)
	s_and_b32 s0, vcc_lo, s0
	v_cndmask_b32_e64 v7, 0, 1, s0
	s_delay_alu instid0(VALU_DEP_1)
	v_add_nc_u32_e32 v7, v5, v7
; %bb.2950:
	s_or_b32 exec_lo, exec_lo, s3
	s_mov_b32 s0, 0
	s_mov_b32 s3, -1
	global_store_b8 v[2:3], v7, off
.LBB11_2951:
	s_mov_b32 s4, 0
.LBB11_2952:
	s_delay_alu instid0(SALU_CYCLE_1)
	s_and_b32 vcc_lo, exec_lo, s4
	s_cbranch_vccz .LBB11_2955
; %bb.2953:
	v_cmp_eq_u16_e32 vcc_lo, 29, v6
	s_mov_b32 s0, -1
	s_cbranch_vccz .LBB11_2955
; %bb.2954:
	v_trunc_f64_e32 v[7:8], v[60:61]
	s_mov_b32 s0, 0
	s_mov_b32 s3, -1
	s_delay_alu instid0(VALU_DEP_1) | instskip(NEXT) | instid1(VALU_DEP_1)
	v_ldexp_f64 v[9:10], v[7:8], 0xffffffe0
	v_floor_f64_e32 v[9:10], v[9:10]
	s_delay_alu instid0(VALU_DEP_1) | instskip(SKIP_1) | instid1(VALU_DEP_2)
	v_fma_f64 v[7:8], 0xc1f00000, v[9:10], v[7:8]
	v_cvt_u32_f64_e32 v9, v[9:10]
	v_cvt_u32_f64_e32 v8, v[7:8]
	global_store_b64 v[2:3], v[8:9], off
.LBB11_2955:
	s_mov_b32 s4, 0
.LBB11_2956:
	s_delay_alu instid0(SALU_CYCLE_1)
	s_and_b32 vcc_lo, exec_lo, s4
	s_cbranch_vccz .LBB11_2972
; %bb.2957:
	v_cmp_gt_i16_e32 vcc_lo, 27, v6
	s_mov_b32 s3, -1
	s_cbranch_vccnz .LBB11_2963
; %bb.2958:
	v_cmp_lt_i16_e32 vcc_lo, 27, v6
	s_cbranch_vccz .LBB11_2960
; %bb.2959:
	v_cvt_u32_f64_e32 v5, v[60:61]
	s_mov_b32 s3, 0
	global_store_b32 v[2:3], v5, off
.LBB11_2960:
	s_and_not1_b32 vcc_lo, exec_lo, s3
	s_cbranch_vccnz .LBB11_2962
; %bb.2961:
	v_cvt_u32_f64_e32 v5, v[60:61]
	global_store_b16 v[2:3], v5, off
.LBB11_2962:
	s_mov_b32 s3, 0
.LBB11_2963:
	s_delay_alu instid0(SALU_CYCLE_1)
	s_and_not1_b32 vcc_lo, exec_lo, s3
	s_cbranch_vccnz .LBB11_2971
; %bb.2964:
	v_cvt_f32_f64_e32 v5, v[60:61]
	v_mov_b32_e32 v8, 0x80
	s_mov_b32 s3, exec_lo
	s_delay_alu instid0(VALU_DEP_2) | instskip(NEXT) | instid1(VALU_DEP_1)
	v_and_b32_e32 v7, 0x7fffffff, v5
	v_cmpx_gt_u32_e32 0x43800000, v7
	s_cbranch_execz .LBB11_2970
; %bb.2965:
	v_cmp_lt_u32_e32 vcc_lo, 0x3bffffff, v7
	s_mov_b32 s4, 0
                                        ; implicit-def: $vgpr7
	s_and_saveexec_b32 s5, vcc_lo
	s_delay_alu instid0(SALU_CYCLE_1)
	s_xor_b32 s5, exec_lo, s5
	s_cbranch_execz .LBB11_3154
; %bb.2966:
	v_bfe_u32 v7, v5, 20, 1
	s_mov_b32 s4, exec_lo
	s_delay_alu instid0(VALU_DEP_1) | instskip(NEXT) | instid1(VALU_DEP_1)
	v_add3_u32 v7, v5, v7, 0x487ffff
	v_lshrrev_b32_e32 v7, 20, v7
	s_or_saveexec_b32 s5, s5
                                        ; implicit-def: $sgpr6
	s_delay_alu instid0(SALU_CYCLE_1)
	s_xor_b32 exec_lo, exec_lo, s5
	s_cbranch_execnz .LBB11_3155
.LBB11_2967:
	s_or_b32 exec_lo, exec_lo, s5
	v_mov_b32_e32 v8, s6
	s_and_saveexec_b32 s5, s4
.LBB11_2968:
	v_lshrrev_b32_e32 v5, 24, v5
	s_delay_alu instid0(VALU_DEP_1)
	v_and_or_b32 v8, 0x80, v5, v7
.LBB11_2969:
	s_or_b32 exec_lo, exec_lo, s5
.LBB11_2970:
	s_delay_alu instid0(SALU_CYCLE_1)
	s_or_b32 exec_lo, exec_lo, s3
	global_store_b8 v[2:3], v8, off
.LBB11_2971:
	s_mov_b32 s3, -1
.LBB11_2972:
	s_mov_b32 s4, 0
.LBB11_2973:
	s_delay_alu instid0(SALU_CYCLE_1)
	s_and_b32 vcc_lo, exec_lo, s4
	s_cbranch_vccz .LBB11_3013
; %bb.2974:
	v_cmp_lt_i16_e32 vcc_lo, 22, v6
	s_mov_b32 s2, -1
	s_cbranch_vccz .LBB11_3006
; %bb.2975:
	v_cmp_gt_i16_e32 vcc_lo, 24, v6
	s_cbranch_vccnz .LBB11_2995
; %bb.2976:
	v_cmp_lt_i16_e32 vcc_lo, 24, v6
	s_cbranch_vccz .LBB11_2984
; %bb.2977:
	v_cvt_f32_f64_e32 v5, v[60:61]
	v_mov_b32_e32 v8, 0x80
	s_mov_b32 s2, exec_lo
	s_delay_alu instid0(VALU_DEP_2) | instskip(NEXT) | instid1(VALU_DEP_1)
	v_and_b32_e32 v7, 0x7fffffff, v5
	v_cmpx_gt_u32_e32 0x47800000, v7
	s_cbranch_execz .LBB11_2983
; %bb.2978:
	v_cmp_lt_u32_e32 vcc_lo, 0x37ffffff, v7
	s_mov_b32 s3, 0
                                        ; implicit-def: $vgpr7
	s_and_saveexec_b32 s4, vcc_lo
	s_delay_alu instid0(SALU_CYCLE_1)
	s_xor_b32 s4, exec_lo, s4
	s_cbranch_execz .LBB11_3160
; %bb.2979:
	v_bfe_u32 v7, v5, 21, 1
	s_mov_b32 s3, exec_lo
	s_delay_alu instid0(VALU_DEP_1) | instskip(NEXT) | instid1(VALU_DEP_1)
	v_add3_u32 v7, v5, v7, 0x88fffff
	v_lshrrev_b32_e32 v7, 21, v7
	s_or_saveexec_b32 s4, s4
                                        ; implicit-def: $sgpr5
	s_delay_alu instid0(SALU_CYCLE_1)
	s_xor_b32 exec_lo, exec_lo, s4
	s_cbranch_execnz .LBB11_3161
.LBB11_2980:
	s_or_b32 exec_lo, exec_lo, s4
	v_mov_b32_e32 v8, s5
	s_and_saveexec_b32 s4, s3
.LBB11_2981:
	v_lshrrev_b32_e32 v5, 24, v5
	s_delay_alu instid0(VALU_DEP_1)
	v_and_or_b32 v8, 0x80, v5, v7
.LBB11_2982:
	s_or_b32 exec_lo, exec_lo, s4
.LBB11_2983:
	s_delay_alu instid0(SALU_CYCLE_1)
	s_or_b32 exec_lo, exec_lo, s2
	s_mov_b32 s2, 0
	global_store_b8 v[2:3], v8, off
.LBB11_2984:
	s_and_b32 vcc_lo, exec_lo, s2
	s_cbranch_vccz .LBB11_2994
; %bb.2985:
	v_cvt_f32_f64_e32 v5, v[60:61]
	s_mov_b32 s2, exec_lo
                                        ; implicit-def: $vgpr7
	s_delay_alu instid0(VALU_DEP_1) | instskip(NEXT) | instid1(VALU_DEP_1)
	v_and_b32_e32 v8, 0x7fffffff, v5
	v_cmpx_gt_u32_e32 0x43f00000, v8
	s_xor_b32 s2, exec_lo, s2
	s_cbranch_execz .LBB11_2991
; %bb.2986:
	s_mov_b32 s3, exec_lo
                                        ; implicit-def: $vgpr7
	v_cmpx_lt_u32_e32 0x3c7fffff, v8
	s_xor_b32 s3, exec_lo, s3
; %bb.2987:
	v_bfe_u32 v7, v5, 20, 1
	s_delay_alu instid0(VALU_DEP_1) | instskip(NEXT) | instid1(VALU_DEP_1)
	v_add3_u32 v7, v5, v7, 0x407ffff
	v_and_b32_e32 v8, 0xff00000, v7
	v_lshrrev_b32_e32 v7, 20, v7
	s_delay_alu instid0(VALU_DEP_2) | instskip(NEXT) | instid1(VALU_DEP_2)
	v_cmp_ne_u32_e32 vcc_lo, 0x7f00000, v8
	v_cndmask_b32_e32 v7, 0x7e, v7, vcc_lo
; %bb.2988:
	s_and_not1_saveexec_b32 s3, s3
; %bb.2989:
	v_add_f32_e64 v7, 0x46800000, |v5|
; %bb.2990:
	s_or_b32 exec_lo, exec_lo, s3
                                        ; implicit-def: $vgpr8
.LBB11_2991:
	s_and_not1_saveexec_b32 s2, s2
; %bb.2992:
	v_mov_b32_e32 v7, 0x7f
	v_cmp_lt_u32_e32 vcc_lo, 0x7f800000, v8
	s_delay_alu instid0(VALU_DEP_2)
	v_cndmask_b32_e32 v7, 0x7e, v7, vcc_lo
; %bb.2993:
	s_or_b32 exec_lo, exec_lo, s2
	v_lshrrev_b32_e32 v5, 24, v5
	s_delay_alu instid0(VALU_DEP_1)
	v_and_or_b32 v5, 0x80, v5, v7
	global_store_b8 v[2:3], v5, off
.LBB11_2994:
	s_mov_b32 s2, 0
.LBB11_2995:
	s_delay_alu instid0(SALU_CYCLE_1)
	s_and_not1_b32 vcc_lo, exec_lo, s2
	s_cbranch_vccnz .LBB11_3005
; %bb.2996:
	v_cvt_f32_f64_e32 v5, v[60:61]
	s_mov_b32 s2, exec_lo
                                        ; implicit-def: $vgpr7
	s_delay_alu instid0(VALU_DEP_1) | instskip(NEXT) | instid1(VALU_DEP_1)
	v_and_b32_e32 v8, 0x7fffffff, v5
	v_cmpx_gt_u32_e32 0x47800000, v8
	s_xor_b32 s2, exec_lo, s2
	s_cbranch_execz .LBB11_3002
; %bb.2997:
	s_mov_b32 s3, exec_lo
                                        ; implicit-def: $vgpr7
	v_cmpx_lt_u32_e32 0x387fffff, v8
	s_xor_b32 s3, exec_lo, s3
; %bb.2998:
	v_bfe_u32 v7, v5, 21, 1
	s_delay_alu instid0(VALU_DEP_1) | instskip(NEXT) | instid1(VALU_DEP_1)
	v_add3_u32 v7, v5, v7, 0x80fffff
	v_lshrrev_b32_e32 v7, 21, v7
; %bb.2999:
	s_and_not1_saveexec_b32 s3, s3
; %bb.3000:
	v_add_f32_e64 v7, 0x43000000, |v5|
; %bb.3001:
	s_or_b32 exec_lo, exec_lo, s3
                                        ; implicit-def: $vgpr8
.LBB11_3002:
	s_and_not1_saveexec_b32 s2, s2
; %bb.3003:
	v_mov_b32_e32 v7, 0x7f
	v_cmp_lt_u32_e32 vcc_lo, 0x7f800000, v8
	s_delay_alu instid0(VALU_DEP_2)
	v_cndmask_b32_e32 v7, 0x7c, v7, vcc_lo
; %bb.3004:
	s_or_b32 exec_lo, exec_lo, s2
	v_lshrrev_b32_e32 v5, 24, v5
	s_delay_alu instid0(VALU_DEP_1)
	v_and_or_b32 v5, 0x80, v5, v7
	global_store_b8 v[2:3], v5, off
.LBB11_3005:
	s_mov_b32 s2, 0
	s_mov_b32 s3, -1
.LBB11_3006:
	s_and_not1_b32 vcc_lo, exec_lo, s2
	s_mov_b32 s2, 0
	s_cbranch_vccnz .LBB11_3013
; %bb.3007:
	v_cmp_lt_i16_e32 vcc_lo, 14, v6
	s_mov_b32 s2, -1
	s_cbranch_vccz .LBB11_3011
; %bb.3008:
	v_cmp_eq_u16_e32 vcc_lo, 15, v6
	s_mov_b32 s0, -1
	s_cbranch_vccz .LBB11_3010
; %bb.3009:
	v_cvt_f32_f64_e32 v5, v[60:61]
	s_mov_b32 s0, 0
	s_mov_b32 s3, -1
	s_delay_alu instid0(VALU_DEP_1) | instskip(SKIP_1) | instid1(VALU_DEP_2)
	v_bfe_u32 v7, v5, 16, 1
	v_cmp_o_f32_e32 vcc_lo, v5, v5
	v_add3_u32 v7, v5, v7, 0x7fff
	s_delay_alu instid0(VALU_DEP_1) | instskip(NEXT) | instid1(VALU_DEP_1)
	v_lshrrev_b32_e32 v7, 16, v7
	v_cndmask_b32_e32 v5, 0x7fc0, v7, vcc_lo
	global_store_b16 v[2:3], v5, off
.LBB11_3010:
	s_mov_b32 s2, 0
.LBB11_3011:
	s_delay_alu instid0(SALU_CYCLE_1)
	s_and_b32 vcc_lo, exec_lo, s2
	s_mov_b32 s2, 0
	s_cbranch_vccz .LBB11_3013
; %bb.3012:
	v_cmp_ne_u16_e64 s0, 11, v6
	s_mov_b32 s2, -1
.LBB11_3013:
	s_delay_alu instid0(VALU_DEP_1)
	s_and_b32 vcc_lo, exec_lo, s0
	s_cbranch_vccnz .LBB11_3158
; %bb.3014:
	s_and_not1_b32 vcc_lo, exec_lo, s2
	s_cbranch_vccnz .LBB11_3016
.LBB11_3015:
	v_cmp_neq_f64_e32 vcc_lo, 0, v[60:61]
	s_mov_b32 s3, -1
	v_cndmask_b32_e64 v5, 0, 1, vcc_lo
	global_store_b8 v[2:3], v5, off
.LBB11_3016:
	s_mov_b32 s0, 0
	s_branch .LBB11_3018
.LBB11_3017:
	s_mov_b32 s0, -1
	s_mov_b32 s3, 0
.LBB11_3018:
	s_and_b32 vcc_lo, exec_lo, s0
	s_cbranch_vccz .LBB11_3057
; %bb.3019:
	v_cmp_gt_i16_e32 vcc_lo, 5, v6
	s_mov_b32 s0, -1
	s_cbranch_vccnz .LBB11_3040
; %bb.3020:
	v_cmp_gt_i16_e32 vcc_lo, 8, v6
	s_cbranch_vccnz .LBB11_3030
; %bb.3021:
	v_cmp_gt_i16_e32 vcc_lo, 9, v6
	s_cbranch_vccnz .LBB11_3027
; %bb.3022:
	v_cmp_lt_i16_e32 vcc_lo, 9, v6
	s_cbranch_vccz .LBB11_3024
; %bb.3023:
	v_mov_b32_e32 v62, 0
	s_mov_b32 s0, 0
	s_delay_alu instid0(VALU_DEP_1)
	v_mov_b32_e32 v63, v62
	global_store_b128 v[2:3], v[60:63], off
.LBB11_3024:
	s_and_not1_b32 vcc_lo, exec_lo, s0
	s_cbranch_vccnz .LBB11_3026
; %bb.3025:
	v_cvt_f32_f64_e32 v7, v[60:61]
	v_mov_b32_e32 v8, 0
	global_store_b64 v[2:3], v[7:8], off
.LBB11_3026:
	s_mov_b32 s0, 0
.LBB11_3027:
	s_delay_alu instid0(SALU_CYCLE_1)
	s_and_not1_b32 vcc_lo, exec_lo, s0
	s_cbranch_vccnz .LBB11_3029
; %bb.3028:
	v_cvt_f32_f64_e32 v5, v[60:61]
	s_delay_alu instid0(VALU_DEP_1) | instskip(NEXT) | instid1(VALU_DEP_1)
	v_cvt_f16_f32_e32 v5, v5
	v_and_b32_e32 v5, 0xffff, v5
	global_store_b32 v[2:3], v5, off
.LBB11_3029:
	s_mov_b32 s0, 0
.LBB11_3030:
	s_delay_alu instid0(SALU_CYCLE_1)
	s_and_not1_b32 vcc_lo, exec_lo, s0
	s_cbranch_vccnz .LBB11_3039
; %bb.3031:
	v_cmp_gt_i16_e32 vcc_lo, 6, v6
	s_mov_b32 s0, -1
	s_cbranch_vccnz .LBB11_3037
; %bb.3032:
	v_cmp_lt_i16_e32 vcc_lo, 6, v6
	s_cbranch_vccz .LBB11_3034
; %bb.3033:
	s_mov_b32 s0, 0
	global_store_b64 v[2:3], v[60:61], off
.LBB11_3034:
	s_and_not1_b32 vcc_lo, exec_lo, s0
	s_cbranch_vccnz .LBB11_3036
; %bb.3035:
	v_cvt_f32_f64_e32 v5, v[60:61]
	global_store_b32 v[2:3], v5, off
.LBB11_3036:
	s_mov_b32 s0, 0
.LBB11_3037:
	s_delay_alu instid0(SALU_CYCLE_1)
	s_and_not1_b32 vcc_lo, exec_lo, s0
	s_cbranch_vccnz .LBB11_3039
; %bb.3038:
	v_cvt_f32_f64_e32 v5, v[60:61]
	s_delay_alu instid0(VALU_DEP_1)
	v_cvt_f16_f32_e32 v5, v5
	global_store_b16 v[2:3], v5, off
.LBB11_3039:
	s_mov_b32 s0, 0
.LBB11_3040:
	s_delay_alu instid0(SALU_CYCLE_1)
	s_and_not1_b32 vcc_lo, exec_lo, s0
	s_cbranch_vccnz .LBB11_3056
; %bb.3041:
	v_cmp_gt_i16_e32 vcc_lo, 2, v6
	s_mov_b32 s0, -1
	s_cbranch_vccnz .LBB11_3051
; %bb.3042:
	v_cmp_gt_i16_e32 vcc_lo, 3, v6
	s_cbranch_vccnz .LBB11_3048
; %bb.3043:
	v_cmp_lt_i16_e32 vcc_lo, 3, v6
	s_cbranch_vccz .LBB11_3045
; %bb.3044:
	v_trunc_f64_e32 v[7:8], v[60:61]
	s_mov_b32 s0, 0
	s_delay_alu instid0(VALU_DEP_1) | instskip(NEXT) | instid1(VALU_DEP_1)
	v_ldexp_f64 v[9:10], v[7:8], 0xffffffe0
	v_floor_f64_e32 v[9:10], v[9:10]
	s_delay_alu instid0(VALU_DEP_1) | instskip(SKIP_1) | instid1(VALU_DEP_2)
	v_fma_f64 v[7:8], 0xc1f00000, v[9:10], v[7:8]
	v_cvt_i32_f64_e32 v9, v[9:10]
	v_cvt_u32_f64_e32 v8, v[7:8]
	global_store_b64 v[2:3], v[8:9], off
.LBB11_3045:
	s_and_not1_b32 vcc_lo, exec_lo, s0
	s_cbranch_vccnz .LBB11_3047
; %bb.3046:
	v_cvt_i32_f64_e32 v5, v[60:61]
	global_store_b32 v[2:3], v5, off
.LBB11_3047:
	s_mov_b32 s0, 0
.LBB11_3048:
	s_delay_alu instid0(SALU_CYCLE_1)
	s_and_not1_b32 vcc_lo, exec_lo, s0
	s_cbranch_vccnz .LBB11_3050
; %bb.3049:
	v_cvt_i32_f64_e32 v5, v[60:61]
	global_store_b16 v[2:3], v5, off
.LBB11_3050:
	s_mov_b32 s0, 0
.LBB11_3051:
	s_delay_alu instid0(SALU_CYCLE_1)
	s_and_not1_b32 vcc_lo, exec_lo, s0
	s_cbranch_vccnz .LBB11_3056
; %bb.3052:
	v_cmp_lt_i16_e32 vcc_lo, 0, v6
	s_mov_b32 s0, -1
	s_cbranch_vccz .LBB11_3054
; %bb.3053:
	v_cvt_i32_f64_e32 v5, v[60:61]
	s_mov_b32 s0, 0
	global_store_b8 v[2:3], v5, off
.LBB11_3054:
	s_and_not1_b32 vcc_lo, exec_lo, s0
	s_cbranch_vccnz .LBB11_3056
; %bb.3055:
	v_trunc_f64_e32 v[7:8], v[60:61]
	s_delay_alu instid0(VALU_DEP_1) | instskip(NEXT) | instid1(VALU_DEP_1)
	v_ldexp_f64 v[9:10], v[7:8], 0xffffffe0
	v_floor_f64_e32 v[9:10], v[9:10]
	s_delay_alu instid0(VALU_DEP_1) | instskip(NEXT) | instid1(VALU_DEP_1)
	v_fma_f64 v[7:8], 0xc1f00000, v[9:10], v[7:8]
	v_cvt_u32_f64_e32 v5, v[7:8]
	global_store_b8 v[2:3], v5, off
.LBB11_3056:
	s_mov_b32 s3, -1
.LBB11_3057:
	s_delay_alu instid0(SALU_CYCLE_1)
	s_and_not1_b32 vcc_lo, exec_lo, s3
	s_cbranch_vccnz .LBB11_3134
; %bb.3058:
	v_add_nc_u32_e32 v2, s1, v4
	v_cmp_gt_i16_e32 vcc_lo, 11, v6
	s_delay_alu instid0(VALU_DEP_2) | instskip(SKIP_1) | instid1(VALU_DEP_1)
	v_ashrrev_i32_e32 v3, 31, v2
	v_add_co_u32 v4, s0, s44, v2
	v_add_co_ci_u32_e64 v5, s0, s45, v3, s0
	s_cbranch_vccnz .LBB11_3135
; %bb.3059:
	v_cmp_lt_i16_e32 vcc_lo, 25, v6
	s_mov_b32 s2, -1
	s_mov_b32 s1, 0
	s_mov_b32 s0, 0
	s_cbranch_vccz .LBB11_3092
; %bb.3060:
	v_cmp_lt_i16_e32 vcc_lo, 28, v6
	s_cbranch_vccz .LBB11_3076
; %bb.3061:
	v_cmp_lt_i16_e32 vcc_lo, 43, v6
	;; [unrolled: 3-line block ×3, first 2 shown]
	s_cbranch_vccz .LBB11_3066
; %bb.3063:
	v_cmp_eq_u16_e32 vcc_lo, 46, v6
	s_mov_b32 s0, -1
	s_cbranch_vccz .LBB11_3065
; %bb.3064:
	v_cvt_f32_f64_e32 v2, v[0:1]
	s_mov_b32 s0, 0
	s_delay_alu instid0(VALU_DEP_1) | instskip(SKIP_1) | instid1(VALU_DEP_2)
	v_bfe_u32 v3, v2, 16, 1
	v_cmp_o_f32_e32 vcc_lo, v2, v2
	v_add3_u32 v3, v2, v3, 0x7fff
	s_delay_alu instid0(VALU_DEP_1) | instskip(NEXT) | instid1(VALU_DEP_1)
	v_lshrrev_b32_e32 v3, 16, v3
	v_cndmask_b32_e32 v2, 0x7fc0, v3, vcc_lo
	global_store_b32 v[4:5], v2, off
.LBB11_3065:
	s_mov_b32 s2, 0
.LBB11_3066:
	s_delay_alu instid0(SALU_CYCLE_1)
	s_and_b32 vcc_lo, exec_lo, s2
	s_cbranch_vccz .LBB11_3071
; %bb.3067:
	v_cmp_eq_u16_e32 vcc_lo, 44, v6
	s_mov_b32 s0, -1
	s_cbranch_vccz .LBB11_3071
; %bb.3068:
	v_cvt_f32_f64_e32 v2, v[0:1]
	v_mov_b32_e32 v3, 0xff
	s_mov_b32 s2, exec_lo
	s_delay_alu instid0(VALU_DEP_2) | instskip(NEXT) | instid1(VALU_DEP_1)
	v_bfe_u32 v7, v2, 23, 8
	v_cmpx_ne_u32_e32 0xff, v7
; %bb.3069:
	v_and_b32_e32 v3, 0x400000, v2
	v_and_or_b32 v7, 0x3fffff, v2, v7
	v_lshrrev_b32_e32 v2, 23, v2
	s_delay_alu instid0(VALU_DEP_3) | instskip(NEXT) | instid1(VALU_DEP_3)
	v_cmp_ne_u32_e32 vcc_lo, 0, v3
	v_cmp_ne_u32_e64 s0, 0, v7
	s_delay_alu instid0(VALU_DEP_1) | instskip(NEXT) | instid1(SALU_CYCLE_1)
	s_and_b32 s0, vcc_lo, s0
	v_cndmask_b32_e64 v3, 0, 1, s0
	s_delay_alu instid0(VALU_DEP_1)
	v_add_nc_u32_e32 v3, v2, v3
; %bb.3070:
	s_or_b32 exec_lo, exec_lo, s2
	s_mov_b32 s0, 0
	global_store_b8 v[4:5], v3, off
.LBB11_3071:
	s_mov_b32 s2, 0
.LBB11_3072:
	s_delay_alu instid0(SALU_CYCLE_1)
	s_and_b32 vcc_lo, exec_lo, s2
	s_cbranch_vccz .LBB11_3075
; %bb.3073:
	v_cmp_eq_u16_e32 vcc_lo, 29, v6
	s_mov_b32 s0, -1
	s_cbranch_vccz .LBB11_3075
; %bb.3074:
	v_trunc_f64_e32 v[2:3], v[0:1]
	s_mov_b32 s0, 0
	s_delay_alu instid0(VALU_DEP_1) | instskip(NEXT) | instid1(VALU_DEP_1)
	v_ldexp_f64 v[7:8], v[2:3], 0xffffffe0
	v_floor_f64_e32 v[7:8], v[7:8]
	s_delay_alu instid0(VALU_DEP_1) | instskip(SKIP_1) | instid1(VALU_DEP_2)
	v_fma_f64 v[2:3], 0xc1f00000, v[7:8], v[2:3]
	v_cvt_u32_f64_e32 v8, v[7:8]
	v_cvt_u32_f64_e32 v7, v[2:3]
	global_store_b64 v[4:5], v[7:8], off
.LBB11_3075:
	s_mov_b32 s2, 0
.LBB11_3076:
	s_delay_alu instid0(SALU_CYCLE_1)
	s_and_b32 vcc_lo, exec_lo, s2
	s_cbranch_vccz .LBB11_3091
; %bb.3077:
	v_cmp_gt_i16_e32 vcc_lo, 27, v6
	s_mov_b32 s2, -1
	s_cbranch_vccnz .LBB11_3083
; %bb.3078:
	v_cmp_lt_i16_e32 vcc_lo, 27, v6
	s_cbranch_vccz .LBB11_3080
; %bb.3079:
	v_cvt_u32_f64_e32 v2, v[0:1]
	s_mov_b32 s2, 0
	global_store_b32 v[4:5], v2, off
.LBB11_3080:
	s_and_not1_b32 vcc_lo, exec_lo, s2
	s_cbranch_vccnz .LBB11_3082
; %bb.3081:
	v_cvt_u32_f64_e32 v2, v[0:1]
	global_store_b16 v[4:5], v2, off
.LBB11_3082:
	s_mov_b32 s2, 0
.LBB11_3083:
	s_delay_alu instid0(SALU_CYCLE_1)
	s_and_not1_b32 vcc_lo, exec_lo, s2
	s_cbranch_vccnz .LBB11_3091
; %bb.3084:
	v_cvt_f32_f64_e32 v2, v[0:1]
	v_mov_b32_e32 v7, 0x80
	s_mov_b32 s2, exec_lo
	s_delay_alu instid0(VALU_DEP_2) | instskip(NEXT) | instid1(VALU_DEP_1)
	v_and_b32_e32 v3, 0x7fffffff, v2
	v_cmpx_gt_u32_e32 0x43800000, v3
	s_cbranch_execz .LBB11_3090
; %bb.3085:
	v_cmp_lt_u32_e32 vcc_lo, 0x3bffffff, v3
	s_mov_b32 s3, 0
                                        ; implicit-def: $vgpr3
	s_and_saveexec_b32 s4, vcc_lo
	s_delay_alu instid0(SALU_CYCLE_1)
	s_xor_b32 s4, exec_lo, s4
	s_cbranch_execz .LBB11_3162
; %bb.3086:
	v_bfe_u32 v3, v2, 20, 1
	s_mov_b32 s3, exec_lo
	s_delay_alu instid0(VALU_DEP_1) | instskip(NEXT) | instid1(VALU_DEP_1)
	v_add3_u32 v3, v2, v3, 0x487ffff
	v_lshrrev_b32_e32 v3, 20, v3
	s_or_saveexec_b32 s4, s4
                                        ; implicit-def: $sgpr5
	s_delay_alu instid0(SALU_CYCLE_1)
	s_xor_b32 exec_lo, exec_lo, s4
	s_cbranch_execnz .LBB11_3163
.LBB11_3087:
	s_or_b32 exec_lo, exec_lo, s4
	v_mov_b32_e32 v7, s5
	s_and_saveexec_b32 s4, s3
.LBB11_3088:
	v_lshrrev_b32_e32 v2, 24, v2
	s_delay_alu instid0(VALU_DEP_1)
	v_and_or_b32 v7, 0x80, v2, v3
.LBB11_3089:
	s_or_b32 exec_lo, exec_lo, s4
.LBB11_3090:
	s_delay_alu instid0(SALU_CYCLE_1)
	s_or_b32 exec_lo, exec_lo, s2
	global_store_b8 v[4:5], v7, off
.LBB11_3091:
	s_mov_b32 s2, 0
.LBB11_3092:
	s_delay_alu instid0(SALU_CYCLE_1)
	s_and_b32 vcc_lo, exec_lo, s2
	s_cbranch_vccz .LBB11_3132
; %bb.3093:
	v_cmp_lt_i16_e32 vcc_lo, 22, v6
	s_mov_b32 s1, -1
	s_cbranch_vccz .LBB11_3125
; %bb.3094:
	v_cmp_gt_i16_e32 vcc_lo, 24, v6
	s_cbranch_vccnz .LBB11_3114
; %bb.3095:
	v_cmp_lt_i16_e32 vcc_lo, 24, v6
	s_cbranch_vccz .LBB11_3103
; %bb.3096:
	v_cvt_f32_f64_e32 v2, v[0:1]
	v_mov_b32_e32 v7, 0x80
	s_mov_b32 s1, exec_lo
	s_delay_alu instid0(VALU_DEP_2) | instskip(NEXT) | instid1(VALU_DEP_1)
	v_and_b32_e32 v3, 0x7fffffff, v2
	v_cmpx_gt_u32_e32 0x47800000, v3
	s_cbranch_execz .LBB11_3102
; %bb.3097:
	v_cmp_lt_u32_e32 vcc_lo, 0x37ffffff, v3
	s_mov_b32 s2, 0
                                        ; implicit-def: $vgpr3
	s_and_saveexec_b32 s3, vcc_lo
	s_delay_alu instid0(SALU_CYCLE_1)
	s_xor_b32 s3, exec_lo, s3
	s_cbranch_execz .LBB11_3168
; %bb.3098:
	v_bfe_u32 v3, v2, 21, 1
	s_mov_b32 s2, exec_lo
	s_delay_alu instid0(VALU_DEP_1) | instskip(NEXT) | instid1(VALU_DEP_1)
	v_add3_u32 v3, v2, v3, 0x88fffff
	v_lshrrev_b32_e32 v3, 21, v3
	s_or_saveexec_b32 s3, s3
                                        ; implicit-def: $sgpr4
	s_delay_alu instid0(SALU_CYCLE_1)
	s_xor_b32 exec_lo, exec_lo, s3
	s_cbranch_execnz .LBB11_3169
.LBB11_3099:
	s_or_b32 exec_lo, exec_lo, s3
	v_mov_b32_e32 v7, s4
	s_and_saveexec_b32 s3, s2
.LBB11_3100:
	v_lshrrev_b32_e32 v2, 24, v2
	s_delay_alu instid0(VALU_DEP_1)
	v_and_or_b32 v7, 0x80, v2, v3
.LBB11_3101:
	s_or_b32 exec_lo, exec_lo, s3
.LBB11_3102:
	s_delay_alu instid0(SALU_CYCLE_1)
	s_or_b32 exec_lo, exec_lo, s1
	s_mov_b32 s1, 0
	global_store_b8 v[4:5], v7, off
.LBB11_3103:
	s_and_b32 vcc_lo, exec_lo, s1
	s_cbranch_vccz .LBB11_3113
; %bb.3104:
	v_cvt_f32_f64_e32 v2, v[0:1]
	s_mov_b32 s1, exec_lo
                                        ; implicit-def: $vgpr3
	s_delay_alu instid0(VALU_DEP_1) | instskip(NEXT) | instid1(VALU_DEP_1)
	v_and_b32_e32 v7, 0x7fffffff, v2
	v_cmpx_gt_u32_e32 0x43f00000, v7
	s_xor_b32 s1, exec_lo, s1
	s_cbranch_execz .LBB11_3110
; %bb.3105:
	s_mov_b32 s2, exec_lo
                                        ; implicit-def: $vgpr3
	v_cmpx_lt_u32_e32 0x3c7fffff, v7
	s_xor_b32 s2, exec_lo, s2
; %bb.3106:
	v_bfe_u32 v3, v2, 20, 1
	s_delay_alu instid0(VALU_DEP_1) | instskip(NEXT) | instid1(VALU_DEP_1)
	v_add3_u32 v3, v2, v3, 0x407ffff
	v_and_b32_e32 v7, 0xff00000, v3
	v_lshrrev_b32_e32 v3, 20, v3
	s_delay_alu instid0(VALU_DEP_2) | instskip(NEXT) | instid1(VALU_DEP_2)
	v_cmp_ne_u32_e32 vcc_lo, 0x7f00000, v7
	v_cndmask_b32_e32 v3, 0x7e, v3, vcc_lo
; %bb.3107:
	s_and_not1_saveexec_b32 s2, s2
; %bb.3108:
	v_add_f32_e64 v3, 0x46800000, |v2|
; %bb.3109:
	s_or_b32 exec_lo, exec_lo, s2
                                        ; implicit-def: $vgpr7
.LBB11_3110:
	s_and_not1_saveexec_b32 s1, s1
; %bb.3111:
	v_mov_b32_e32 v3, 0x7f
	v_cmp_lt_u32_e32 vcc_lo, 0x7f800000, v7
	s_delay_alu instid0(VALU_DEP_2)
	v_cndmask_b32_e32 v3, 0x7e, v3, vcc_lo
; %bb.3112:
	s_or_b32 exec_lo, exec_lo, s1
	v_lshrrev_b32_e32 v2, 24, v2
	s_delay_alu instid0(VALU_DEP_1)
	v_and_or_b32 v2, 0x80, v2, v3
	global_store_b8 v[4:5], v2, off
.LBB11_3113:
	s_mov_b32 s1, 0
.LBB11_3114:
	s_delay_alu instid0(SALU_CYCLE_1)
	s_and_not1_b32 vcc_lo, exec_lo, s1
	s_cbranch_vccnz .LBB11_3124
; %bb.3115:
	v_cvt_f32_f64_e32 v2, v[0:1]
	s_mov_b32 s1, exec_lo
                                        ; implicit-def: $vgpr3
	s_delay_alu instid0(VALU_DEP_1) | instskip(NEXT) | instid1(VALU_DEP_1)
	v_and_b32_e32 v7, 0x7fffffff, v2
	v_cmpx_gt_u32_e32 0x47800000, v7
	s_xor_b32 s1, exec_lo, s1
	s_cbranch_execz .LBB11_3121
; %bb.3116:
	s_mov_b32 s2, exec_lo
                                        ; implicit-def: $vgpr3
	v_cmpx_lt_u32_e32 0x387fffff, v7
	s_xor_b32 s2, exec_lo, s2
; %bb.3117:
	v_bfe_u32 v3, v2, 21, 1
	s_delay_alu instid0(VALU_DEP_1) | instskip(NEXT) | instid1(VALU_DEP_1)
	v_add3_u32 v3, v2, v3, 0x80fffff
	v_lshrrev_b32_e32 v3, 21, v3
; %bb.3118:
	s_and_not1_saveexec_b32 s2, s2
; %bb.3119:
	v_add_f32_e64 v3, 0x43000000, |v2|
; %bb.3120:
	s_or_b32 exec_lo, exec_lo, s2
                                        ; implicit-def: $vgpr7
.LBB11_3121:
	s_and_not1_saveexec_b32 s1, s1
; %bb.3122:
	v_mov_b32_e32 v3, 0x7f
	v_cmp_lt_u32_e32 vcc_lo, 0x7f800000, v7
	s_delay_alu instid0(VALU_DEP_2)
	v_cndmask_b32_e32 v3, 0x7c, v3, vcc_lo
; %bb.3123:
	s_or_b32 exec_lo, exec_lo, s1
	v_lshrrev_b32_e32 v2, 24, v2
	s_delay_alu instid0(VALU_DEP_1)
	v_and_or_b32 v2, 0x80, v2, v3
	global_store_b8 v[4:5], v2, off
.LBB11_3124:
	s_mov_b32 s1, 0
.LBB11_3125:
	s_delay_alu instid0(SALU_CYCLE_1)
	s_and_not1_b32 vcc_lo, exec_lo, s1
	s_mov_b32 s1, 0
	s_cbranch_vccnz .LBB11_3132
; %bb.3126:
	v_cmp_lt_i16_e32 vcc_lo, 14, v6
	s_mov_b32 s1, -1
	s_cbranch_vccz .LBB11_3130
; %bb.3127:
	v_cmp_eq_u16_e32 vcc_lo, 15, v6
	s_mov_b32 s0, -1
	s_cbranch_vccz .LBB11_3129
; %bb.3128:
	v_cvt_f32_f64_e32 v2, v[0:1]
	s_mov_b32 s0, 0
	s_delay_alu instid0(VALU_DEP_1) | instskip(SKIP_1) | instid1(VALU_DEP_2)
	v_bfe_u32 v3, v2, 16, 1
	v_cmp_o_f32_e32 vcc_lo, v2, v2
	v_add3_u32 v3, v2, v3, 0x7fff
	s_delay_alu instid0(VALU_DEP_1) | instskip(NEXT) | instid1(VALU_DEP_1)
	v_lshrrev_b32_e32 v3, 16, v3
	v_cndmask_b32_e32 v2, 0x7fc0, v3, vcc_lo
	global_store_b16 v[4:5], v2, off
.LBB11_3129:
	s_mov_b32 s1, 0
.LBB11_3130:
	s_delay_alu instid0(SALU_CYCLE_1)
	s_and_b32 vcc_lo, exec_lo, s1
	s_mov_b32 s1, 0
	s_cbranch_vccz .LBB11_3132
; %bb.3131:
	v_cmp_ne_u16_e64 s0, 11, v6
	s_mov_b32 s1, -1
.LBB11_3132:
	s_delay_alu instid0(VALU_DEP_1)
	s_and_b32 vcc_lo, exec_lo, s0
	s_cbranch_vccnz .LBB11_3166
.LBB11_3133:
	s_mov_b32 s0, 0
	s_branch .LBB11_2654
.LBB11_3134:
	s_mov_b32 s0, 0
	s_mov_b32 s1, 0
                                        ; implicit-def: $vgpr6
                                        ; implicit-def: $vgpr4_vgpr5
	s_branch .LBB11_2654
.LBB11_3135:
	s_mov_b32 s1, 0
	s_mov_b32 s0, -1
	s_branch .LBB11_2654
.LBB11_3136:
	s_cbranch_execnz .LBB11_3140
; %bb.3137:
	s_or_b32 s55, s55, exec_lo
                                        ; implicit-def: $vgpr58_vgpr59
	s_cbranch_execz .LBB11_2599
	s_branch .LBB11_2600
.LBB11_3138:
	s_or_saveexec_b32 s4, s4
                                        ; implicit-def: $sgpr5
	s_delay_alu instid0(SALU_CYCLE_1)
	s_xor_b32 exec_lo, exec_lo, s4
	s_cbranch_execz .LBB11_2729
.LBB11_3139:
	v_add_f32_e64 v7, 0x46000000, |v5|
	s_and_not1_b32 s3, s3, exec_lo
	s_mov_b32 s5, 0
	s_delay_alu instid0(VALU_DEP_1) | instskip(NEXT) | instid1(VALU_DEP_1)
	v_and_b32_e32 v7, 0xff, v7
	v_cmp_ne_u32_e32 vcc_lo, 0, v7
	s_and_b32 s6, vcc_lo, exec_lo
	s_delay_alu instid0(SALU_CYCLE_1)
	s_or_b32 s3, s3, s6
	s_or_b32 exec_lo, exec_lo, s4
	v_mov_b32_e32 v8, s5
	s_and_saveexec_b32 s4, s3
	s_cbranch_execnz .LBB11_2730
	s_branch .LBB11_2731
.LBB11_3140:
	s_trap 2
	s_sendmsg_rtn_b32 s0, sendmsg(MSG_RTN_GET_DOORBELL)
	s_mov_b32 ttmp2, m0
	s_waitcnt lgkmcnt(0)
	s_and_b32 s0, s0, 0x3ff
	s_delay_alu instid0(SALU_CYCLE_1) | instskip(NEXT) | instid1(SALU_CYCLE_1)
	s_bitset1_b32 s0, 10
	s_mov_b32 m0, s0
	s_sendmsg sendmsg(MSG_INTERRUPT)
	s_mov_b32 m0, ttmp2
.LBB11_3141:                            ; =>This Inner Loop Header: Depth=1
	s_sethalt 5
	s_branch .LBB11_3141
.LBB11_3142:
	s_cbranch_execnz .LBB11_3148
; %bb.3143:
	s_or_b32 s55, s55, exec_lo
	s_cbranch_execz .LBB11_2777
	s_branch .LBB11_2778
.LBB11_3144:
	s_or_saveexec_b32 s3, s3
                                        ; implicit-def: $sgpr4
	s_delay_alu instid0(SALU_CYCLE_1)
	s_xor_b32 exec_lo, exec_lo, s3
	s_cbranch_execz .LBB11_2742
.LBB11_3145:
	v_add_f32_e64 v7, 0x42800000, |v5|
	s_and_not1_b32 s2, s2, exec_lo
	s_mov_b32 s4, 0
	s_delay_alu instid0(VALU_DEP_1) | instskip(NEXT) | instid1(VALU_DEP_1)
	v_and_b32_e32 v7, 0xff, v7
	v_cmp_ne_u32_e32 vcc_lo, 0, v7
	s_and_b32 s5, vcc_lo, exec_lo
	s_delay_alu instid0(SALU_CYCLE_1)
	s_or_b32 s2, s2, s5
	s_or_b32 exec_lo, exec_lo, s3
	v_mov_b32_e32 v8, s4
	s_and_saveexec_b32 s3, s2
	s_cbranch_execnz .LBB11_2743
	s_branch .LBB11_2744
.LBB11_3146:
	s_or_saveexec_b32 s5, s5
                                        ; implicit-def: $sgpr6
	s_delay_alu instid0(SALU_CYCLE_1)
	s_xor_b32 exec_lo, exec_lo, s5
	s_cbranch_execz .LBB11_2848
.LBB11_3147:
	v_add_f32_e64 v7, 0x46000000, |v5|
	s_and_not1_b32 s4, s4, exec_lo
	s_mov_b32 s6, 0
	s_delay_alu instid0(VALU_DEP_1) | instskip(NEXT) | instid1(VALU_DEP_1)
	v_and_b32_e32 v7, 0xff, v7
	v_cmp_ne_u32_e32 vcc_lo, 0, v7
	s_and_b32 s7, vcc_lo, exec_lo
	s_delay_alu instid0(SALU_CYCLE_1)
	s_or_b32 s4, s4, s7
	s_or_b32 exec_lo, exec_lo, s5
	v_mov_b32_e32 v8, s6
	s_and_saveexec_b32 s5, s4
	s_cbranch_execnz .LBB11_2849
	s_branch .LBB11_2850
.LBB11_3148:
	s_trap 2
	s_sendmsg_rtn_b32 s0, sendmsg(MSG_RTN_GET_DOORBELL)
	s_mov_b32 ttmp2, m0
	s_waitcnt lgkmcnt(0)
	s_and_b32 s0, s0, 0x3ff
	s_delay_alu instid0(SALU_CYCLE_1) | instskip(NEXT) | instid1(SALU_CYCLE_1)
	s_bitset1_b32 s0, 10
	s_mov_b32 m0, s0
	s_sendmsg sendmsg(MSG_INTERRUPT)
	s_mov_b32 m0, ttmp2
.LBB11_3149:                            ; =>This Inner Loop Header: Depth=1
	s_sethalt 5
	s_branch .LBB11_3149
.LBB11_3150:
	s_cbranch_execnz .LBB11_3156
; %bb.3151:
	s_or_b32 s55, s55, exec_lo
	s_cbranch_execz .LBB11_2896
	s_branch .LBB11_2897
.LBB11_3152:
	s_or_saveexec_b32 s4, s4
                                        ; implicit-def: $sgpr5
	s_delay_alu instid0(SALU_CYCLE_1)
	s_xor_b32 exec_lo, exec_lo, s4
	s_cbranch_execz .LBB11_2861
.LBB11_3153:
	v_add_f32_e64 v7, 0x42800000, |v5|
	s_and_not1_b32 s3, s3, exec_lo
	s_mov_b32 s5, 0
	s_delay_alu instid0(VALU_DEP_1) | instskip(NEXT) | instid1(VALU_DEP_1)
	v_and_b32_e32 v7, 0xff, v7
	v_cmp_ne_u32_e32 vcc_lo, 0, v7
	s_and_b32 s6, vcc_lo, exec_lo
	s_delay_alu instid0(SALU_CYCLE_1)
	s_or_b32 s3, s3, s6
	s_or_b32 exec_lo, exec_lo, s4
	v_mov_b32_e32 v8, s5
	s_and_saveexec_b32 s4, s3
	s_cbranch_execnz .LBB11_2862
	s_branch .LBB11_2863
.LBB11_3154:
	s_or_saveexec_b32 s5, s5
                                        ; implicit-def: $sgpr6
	s_delay_alu instid0(SALU_CYCLE_1)
	s_xor_b32 exec_lo, exec_lo, s5
	s_cbranch_execz .LBB11_2967
.LBB11_3155:
	v_add_f32_e64 v7, 0x46000000, |v5|
	s_and_not1_b32 s4, s4, exec_lo
	s_mov_b32 s6, 0
	s_delay_alu instid0(VALU_DEP_1) | instskip(NEXT) | instid1(VALU_DEP_1)
	v_and_b32_e32 v7, 0xff, v7
	v_cmp_ne_u32_e32 vcc_lo, 0, v7
	s_and_b32 s7, vcc_lo, exec_lo
	s_delay_alu instid0(SALU_CYCLE_1)
	s_or_b32 s4, s4, s7
	s_or_b32 exec_lo, exec_lo, s5
	v_mov_b32_e32 v8, s6
	s_and_saveexec_b32 s5, s4
	s_cbranch_execnz .LBB11_2968
	s_branch .LBB11_2969
.LBB11_3156:
	s_trap 2
	s_sendmsg_rtn_b32 s0, sendmsg(MSG_RTN_GET_DOORBELL)
	s_mov_b32 ttmp2, m0
	s_waitcnt lgkmcnt(0)
	s_and_b32 s0, s0, 0x3ff
	s_delay_alu instid0(SALU_CYCLE_1) | instskip(NEXT) | instid1(SALU_CYCLE_1)
	s_bitset1_b32 s0, 10
	s_mov_b32 m0, s0
	s_sendmsg sendmsg(MSG_INTERRUPT)
	s_mov_b32 m0, ttmp2
.LBB11_3157:                            ; =>This Inner Loop Header: Depth=1
	s_sethalt 5
	s_branch .LBB11_3157
.LBB11_3158:
	s_cbranch_execnz .LBB11_3164
; %bb.3159:
	s_or_b32 s55, s55, exec_lo
	s_cbranch_execz .LBB11_3015
	s_branch .LBB11_3016
.LBB11_3160:
	s_or_saveexec_b32 s4, s4
                                        ; implicit-def: $sgpr5
	s_delay_alu instid0(SALU_CYCLE_1)
	s_xor_b32 exec_lo, exec_lo, s4
	s_cbranch_execz .LBB11_2980
.LBB11_3161:
	v_add_f32_e64 v7, 0x42800000, |v5|
	s_and_not1_b32 s3, s3, exec_lo
	s_mov_b32 s5, 0
	s_delay_alu instid0(VALU_DEP_1) | instskip(NEXT) | instid1(VALU_DEP_1)
	v_and_b32_e32 v7, 0xff, v7
	v_cmp_ne_u32_e32 vcc_lo, 0, v7
	s_and_b32 s6, vcc_lo, exec_lo
	s_delay_alu instid0(SALU_CYCLE_1)
	s_or_b32 s3, s3, s6
	s_or_b32 exec_lo, exec_lo, s4
	v_mov_b32_e32 v8, s5
	s_and_saveexec_b32 s4, s3
	s_cbranch_execnz .LBB11_2981
	s_branch .LBB11_2982
.LBB11_3162:
	s_or_saveexec_b32 s4, s4
                                        ; implicit-def: $sgpr5
	s_delay_alu instid0(SALU_CYCLE_1)
	s_xor_b32 exec_lo, exec_lo, s4
	s_cbranch_execz .LBB11_3087
.LBB11_3163:
	v_add_f32_e64 v3, 0x46000000, |v2|
	s_and_not1_b32 s3, s3, exec_lo
	s_mov_b32 s5, 0
	s_delay_alu instid0(VALU_DEP_1) | instskip(NEXT) | instid1(VALU_DEP_1)
	v_and_b32_e32 v3, 0xff, v3
	v_cmp_ne_u32_e32 vcc_lo, 0, v3
	s_and_b32 s6, vcc_lo, exec_lo
	s_delay_alu instid0(SALU_CYCLE_1)
	s_or_b32 s3, s3, s6
	s_or_b32 exec_lo, exec_lo, s4
	v_mov_b32_e32 v7, s5
	s_and_saveexec_b32 s4, s3
	s_cbranch_execnz .LBB11_3088
	s_branch .LBB11_3089
.LBB11_3164:
	s_trap 2
	s_sendmsg_rtn_b32 s0, sendmsg(MSG_RTN_GET_DOORBELL)
	s_mov_b32 ttmp2, m0
	s_waitcnt lgkmcnt(0)
	s_and_b32 s0, s0, 0x3ff
	s_delay_alu instid0(SALU_CYCLE_1) | instskip(NEXT) | instid1(SALU_CYCLE_1)
	s_bitset1_b32 s0, 10
	s_mov_b32 m0, s0
	s_sendmsg sendmsg(MSG_INTERRUPT)
	s_mov_b32 m0, ttmp2
.LBB11_3165:                            ; =>This Inner Loop Header: Depth=1
	s_sethalt 5
	s_branch .LBB11_3165
.LBB11_3166:
	s_cbranch_execnz .LBB11_3170
; %bb.3167:
	s_mov_b32 s1, 0
	s_or_b32 s55, s55, exec_lo
	s_branch .LBB11_3133
.LBB11_3168:
	s_or_saveexec_b32 s3, s3
                                        ; implicit-def: $sgpr4
	s_delay_alu instid0(SALU_CYCLE_1)
	s_xor_b32 exec_lo, exec_lo, s3
	s_cbranch_execz .LBB11_3099
.LBB11_3169:
	v_add_f32_e64 v3, 0x42800000, |v2|
	s_and_not1_b32 s2, s2, exec_lo
	s_mov_b32 s4, 0
	s_delay_alu instid0(VALU_DEP_1) | instskip(NEXT) | instid1(VALU_DEP_1)
	v_and_b32_e32 v3, 0xff, v3
	v_cmp_ne_u32_e32 vcc_lo, 0, v3
	s_and_b32 s5, vcc_lo, exec_lo
	s_delay_alu instid0(SALU_CYCLE_1)
	s_or_b32 s2, s2, s5
	s_or_b32 exec_lo, exec_lo, s3
	v_mov_b32_e32 v7, s4
	s_and_saveexec_b32 s3, s2
	s_cbranch_execnz .LBB11_3100
	s_branch .LBB11_3101
.LBB11_3170:
	s_trap 2
	s_sendmsg_rtn_b32 s0, sendmsg(MSG_RTN_GET_DOORBELL)
	s_mov_b32 ttmp2, m0
	s_waitcnt lgkmcnt(0)
	s_and_b32 s0, s0, 0x3ff
	s_delay_alu instid0(SALU_CYCLE_1) | instskip(NEXT) | instid1(SALU_CYCLE_1)
	s_bitset1_b32 s0, 10
	s_mov_b32 m0, s0
	s_sendmsg sendmsg(MSG_INTERRUPT)
	s_mov_b32 m0, ttmp2
.LBB11_3171:                            ; =>This Inner Loop Header: Depth=1
	s_sethalt 5
	s_branch .LBB11_3171
	.section	.rodata,"a",@progbits
	.p2align	6, 0x0
	.amdhsa_kernel _ZN2at6native32elementwise_kernel_manual_unrollILi128ELi4EZNS0_15gpu_kernel_implIN12_GLOBAL__N_110CalcIgammaIdEEEEvRNS_18TensorIteratorBaseERKT_EUlibE_EEviT1_
		.amdhsa_group_segment_fixed_size 0
		.amdhsa_private_segment_fixed_size 240
		.amdhsa_kernarg_size 48
		.amdhsa_user_sgpr_count 15
		.amdhsa_user_sgpr_dispatch_ptr 0
		.amdhsa_user_sgpr_queue_ptr 0
		.amdhsa_user_sgpr_kernarg_segment_ptr 1
		.amdhsa_user_sgpr_dispatch_id 0
		.amdhsa_user_sgpr_private_segment_size 0
		.amdhsa_wavefront_size32 1
		.amdhsa_uses_dynamic_stack 0
		.amdhsa_enable_private_segment 1
		.amdhsa_system_sgpr_workgroup_id_x 1
		.amdhsa_system_sgpr_workgroup_id_y 0
		.amdhsa_system_sgpr_workgroup_id_z 0
		.amdhsa_system_sgpr_workgroup_info 0
		.amdhsa_system_vgpr_workitem_id 0
		.amdhsa_next_free_vgpr 104
		.amdhsa_next_free_sgpr 71
		.amdhsa_reserve_vcc 1
		.amdhsa_float_round_mode_32 0
		.amdhsa_float_round_mode_16_64 0
		.amdhsa_float_denorm_mode_32 3
		.amdhsa_float_denorm_mode_16_64 3
		.amdhsa_dx10_clamp 1
		.amdhsa_ieee_mode 1
		.amdhsa_fp16_overflow 0
		.amdhsa_workgroup_processor_mode 1
		.amdhsa_memory_ordered 1
		.amdhsa_forward_progress 0
		.amdhsa_shared_vgpr_count 0
		.amdhsa_exception_fp_ieee_invalid_op 0
		.amdhsa_exception_fp_denorm_src 0
		.amdhsa_exception_fp_ieee_div_zero 0
		.amdhsa_exception_fp_ieee_overflow 0
		.amdhsa_exception_fp_ieee_underflow 0
		.amdhsa_exception_fp_ieee_inexact 0
		.amdhsa_exception_int_div_zero 0
	.end_amdhsa_kernel
	.section	.text._ZN2at6native32elementwise_kernel_manual_unrollILi128ELi4EZNS0_15gpu_kernel_implIN12_GLOBAL__N_110CalcIgammaIdEEEEvRNS_18TensorIteratorBaseERKT_EUlibE_EEviT1_,"axG",@progbits,_ZN2at6native32elementwise_kernel_manual_unrollILi128ELi4EZNS0_15gpu_kernel_implIN12_GLOBAL__N_110CalcIgammaIdEEEEvRNS_18TensorIteratorBaseERKT_EUlibE_EEviT1_,comdat
.Lfunc_end11:
	.size	_ZN2at6native32elementwise_kernel_manual_unrollILi128ELi4EZNS0_15gpu_kernel_implIN12_GLOBAL__N_110CalcIgammaIdEEEEvRNS_18TensorIteratorBaseERKT_EUlibE_EEviT1_, .Lfunc_end11-_ZN2at6native32elementwise_kernel_manual_unrollILi128ELi4EZNS0_15gpu_kernel_implIN12_GLOBAL__N_110CalcIgammaIdEEEEvRNS_18TensorIteratorBaseERKT_EUlibE_EEviT1_
                                        ; -- End function
	.section	.AMDGPU.csdata,"",@progbits
; Kernel info:
; codeLenInByte = 56160
; NumSgprs: 73
; NumVgprs: 104
; ScratchSize: 240
; MemoryBound: 1
; FloatMode: 240
; IeeeMode: 1
; LDSByteSize: 0 bytes/workgroup (compile time only)
; SGPRBlocks: 9
; VGPRBlocks: 12
; NumSGPRsForWavesPerEU: 73
; NumVGPRsForWavesPerEU: 104
; Occupancy: 12
; WaveLimiterHint : 0
; COMPUTE_PGM_RSRC2:SCRATCH_EN: 1
; COMPUTE_PGM_RSRC2:USER_SGPR: 15
; COMPUTE_PGM_RSRC2:TRAP_HANDLER: 0
; COMPUTE_PGM_RSRC2:TGID_X_EN: 1
; COMPUTE_PGM_RSRC2:TGID_Y_EN: 0
; COMPUTE_PGM_RSRC2:TGID_Z_EN: 0
; COMPUTE_PGM_RSRC2:TIDIG_COMP_CNT: 0
	.section	.text._ZN2at6native32elementwise_kernel_manual_unrollILi128ELi4EZNS0_15gpu_kernel_implIN12_GLOBAL__N_110CalcIgammaIdEEEEvRNS_18TensorIteratorBaseERKT_EUlibE0_EEviT1_,"axG",@progbits,_ZN2at6native32elementwise_kernel_manual_unrollILi128ELi4EZNS0_15gpu_kernel_implIN12_GLOBAL__N_110CalcIgammaIdEEEEvRNS_18TensorIteratorBaseERKT_EUlibE0_EEviT1_,comdat
	.globl	_ZN2at6native32elementwise_kernel_manual_unrollILi128ELi4EZNS0_15gpu_kernel_implIN12_GLOBAL__N_110CalcIgammaIdEEEEvRNS_18TensorIteratorBaseERKT_EUlibE0_EEviT1_ ; -- Begin function _ZN2at6native32elementwise_kernel_manual_unrollILi128ELi4EZNS0_15gpu_kernel_implIN12_GLOBAL__N_110CalcIgammaIdEEEEvRNS_18TensorIteratorBaseERKT_EUlibE0_EEviT1_
	.p2align	8
	.type	_ZN2at6native32elementwise_kernel_manual_unrollILi128ELi4EZNS0_15gpu_kernel_implIN12_GLOBAL__N_110CalcIgammaIdEEEEvRNS_18TensorIteratorBaseERKT_EUlibE0_EEviT1_,@function
_ZN2at6native32elementwise_kernel_manual_unrollILi128ELi4EZNS0_15gpu_kernel_implIN12_GLOBAL__N_110CalcIgammaIdEEEEvRNS_18TensorIteratorBaseERKT_EUlibE0_EEviT1_: ; @_ZN2at6native32elementwise_kernel_manual_unrollILi128ELi4EZNS0_15gpu_kernel_implIN12_GLOBAL__N_110CalcIgammaIdEEEEvRNS_18TensorIteratorBaseERKT_EUlibE0_EEviT1_
; %bb.0:
	s_clause 0x1
	s_load_b32 s43, s[0:1], 0x8
	s_load_b32 s76, s[0:1], 0x0
	v_lshl_or_b32 v47, s15, 9, v0
	s_or_b32 s56, s0, 8
	s_mov_b32 s3, -1
	s_mov_b32 s67, 0
	s_mov_b32 s57, s1
	v_or_b32_e32 v2, 0x180, v47
	s_mov_b32 s50, 0
	s_mov_b32 s32, 0
	s_mov_b32 s2, exec_lo
	s_waitcnt lgkmcnt(0)
	s_add_i32 s66, s43, -1
	s_delay_alu instid0(SALU_CYCLE_1)
	s_cmp_gt_u32 s66, 1
	s_cselect_b32 s68, -1, 0
	v_cmpx_le_i32_e64 s76, v2
	s_xor_b32 s69, exec_lo, s2
	s_cbranch_execz .LBB12_1601
; %bb.1:
	s_clause 0x6
	s_load_b32 s2, s[56:57], 0x1a0
	s_load_b128 s[52:55], s[56:57], 0x4
	s_load_b64 s[62:63], s[56:57], 0x14
	s_load_b128 s[48:51], s[56:57], 0xc4
	s_load_b64 s[60:61], s[56:57], 0xd4
	s_load_b64 s[58:59], s[56:57], 0x198
	s_load_b128 s[44:47], s[56:57], 0x188
	s_cmp_lg_u32 s43, 0
	s_mov_b32 s82, 0
	s_cselect_b32 s77, -1, 0
	s_min_u32 s75, s66, 15
	s_cmp_gt_u32 s43, 1
	s_mov_b32 s80, 0
	s_cselect_b32 s74, -1, 0
	s_mov_b32 s79, 0
	s_mov_b32 s78, 0
	s_mov_b32 s81, exec_lo
	s_waitcnt lgkmcnt(0)
	s_lshr_b32 s73, s2, 16
	s_lshr_b32 s70, s2, 8
	;; [unrolled: 1-line block ×3, first 2 shown]
	s_bitcmp1_b32 s2, 0
	s_cselect_b32 s2, -1, 0
	s_delay_alu instid0(SALU_CYCLE_1)
	s_xor_b32 s71, s2, -1
	v_cmpx_gt_i32_e64 s76, v47
	s_cbranch_execz .LBB12_394
; %bb.2:
	s_and_not1_b32 vcc_lo, exec_lo, s68
	s_cbranch_vccnz .LBB12_8
; %bb.3:
	v_dual_mov_b32 v56, 0 :: v_dual_mov_b32 v1, 0
	v_mov_b32_e32 v0, 0
	s_and_not1_b32 vcc_lo, exec_lo, s77
	s_mov_b32 s4, 0
	s_cbranch_vccnz .LBB12_9
; %bb.4:
	s_add_i32 s2, s75, 1
	v_dual_mov_b32 v0, 0 :: v_dual_mov_b32 v1, 0
	v_mov_b32_e32 v56, 0
	v_mov_b32_e32 v2, v47
	s_and_b32 s5, s2, 30
	s_add_u32 s2, s56, 0xffffffec
	s_addc_u32 s3, s57, -1
	s_set_inst_prefetch_distance 0x1
	.p2align	6
.LBB12_5:                               ; =>This Inner Loop Header: Depth=1
	s_clause 0x2
	s_load_b128 s[8:11], s[2:3], 0x18
	s_load_b64 s[6:7], s[2:3], 0x28
	s_load_b128 s[12:15], s[2:3], 0xd8
	s_waitcnt lgkmcnt(0)
	v_mul_hi_u32 v3, s9, v2
	s_delay_alu instid0(VALU_DEP_1) | instskip(NEXT) | instid1(VALU_DEP_1)
	v_add_nc_u32_e32 v3, v2, v3
	v_lshrrev_b32_e32 v3, s10, v3
	s_delay_alu instid0(VALU_DEP_1)
	v_mul_hi_u32 v4, s6, v3
	v_mul_lo_u32 v5, v3, s8
	s_load_b64 s[8:9], s[2:3], 0xe8
	s_add_u32 s2, s2, 24
	s_addc_u32 s3, s3, 0
	s_add_i32 s5, s5, -2
	s_delay_alu instid0(SALU_CYCLE_1) | instskip(NEXT) | instid1(VALU_DEP_2)
	s_cmp_lg_u32 s5, 0
	v_add_nc_u32_e32 v4, v3, v4
	s_delay_alu instid0(VALU_DEP_2) | instskip(NEXT) | instid1(VALU_DEP_2)
	v_sub_nc_u32_e32 v5, v2, v5
	v_lshrrev_b32_e32 v2, s7, v4
	s_delay_alu instid0(VALU_DEP_2) | instskip(NEXT) | instid1(VALU_DEP_2)
	v_mul_lo_u32 v6, v5, s12
	v_mul_lo_u32 v4, v2, s11
	s_delay_alu instid0(VALU_DEP_1) | instskip(SKIP_2) | instid1(VALU_DEP_3)
	v_sub_nc_u32_e32 v3, v3, v4
	v_mul_lo_u32 v4, v5, s13
	v_mul_lo_u32 v5, v5, s14
	;; [unrolled: 1-line block ×3, first 2 shown]
	s_waitcnt lgkmcnt(0)
	v_mul_lo_u32 v8, v3, s8
	v_mul_lo_u32 v3, v3, s9
	s_delay_alu instid0(VALU_DEP_3) | instskip(NEXT) | instid1(VALU_DEP_3)
	v_add3_u32 v56, v6, v56, v7
	v_add3_u32 v1, v4, v1, v8
	s_delay_alu instid0(VALU_DEP_3)
	v_add3_u32 v0, v5, v0, v3
	s_cbranch_scc1 .LBB12_5
; %bb.6:
	s_set_inst_prefetch_distance 0x2
	s_bitcmp1_b32 s75, 0
	s_cselect_b32 s5, -1, 0
	s_delay_alu instid0(SALU_CYCLE_1)
	s_and_b32 vcc_lo, exec_lo, s5
	s_cbranch_vccnz .LBB12_9
; %bb.7:
	s_clause 0x3
	s_load_b64 s[6:7], s[2:3], 0x18
	s_load_b32 s5, s[2:3], 0x20
	s_load_b64 s[8:9], s[2:3], 0xd8
	s_load_b32 s2, s[2:3], 0xe0
	s_waitcnt lgkmcnt(0)
	v_mul_hi_u32 v3, s7, v2
	s_delay_alu instid0(VALU_DEP_1) | instskip(NEXT) | instid1(VALU_DEP_1)
	v_add_nc_u32_e32 v3, v2, v3
	v_lshrrev_b32_e32 v3, s5, v3
	s_delay_alu instid0(VALU_DEP_1) | instskip(NEXT) | instid1(VALU_DEP_1)
	v_mul_lo_u32 v3, v3, s6
	v_sub_nc_u32_e32 v6, v2, v3
	s_delay_alu instid0(VALU_DEP_1) | instskip(NEXT) | instid1(VALU_DEP_1)
	v_mad_u64_u32 v[2:3], null, v6, s8, v[56:57]
	v_mad_u64_u32 v[3:4], null, v6, s9, v[1:2]
	;; [unrolled: 1-line block ×3, first 2 shown]
	s_delay_alu instid0(VALU_DEP_2) | instskip(NEXT) | instid1(VALU_DEP_2)
	v_dual_mov_b32 v56, v2 :: v_dual_mov_b32 v1, v3
	v_mov_b32_e32 v0, v4
	s_branch .LBB12_9
.LBB12_8:
	s_mov_b32 s4, -1
                                        ; implicit-def: $vgpr56
                                        ; implicit-def: $vgpr1
                                        ; implicit-def: $vgpr0
.LBB12_9:
	s_delay_alu instid0(SALU_CYCLE_1)
	s_and_not1_b32 vcc_lo, exec_lo, s4
	s_cbranch_vccnz .LBB12_12
; %bb.10:
	v_mul_hi_u32 v0, s53, v47
	s_and_not1_b32 vcc_lo, exec_lo, s74
	s_delay_alu instid0(VALU_DEP_1) | instskip(NEXT) | instid1(VALU_DEP_1)
	v_add_nc_u32_e32 v0, v47, v0
	v_lshrrev_b32_e32 v2, s54, v0
	s_delay_alu instid0(VALU_DEP_1) | instskip(NEXT) | instid1(VALU_DEP_1)
	v_mul_lo_u32 v0, v2, s52
	v_sub_nc_u32_e32 v0, v47, v0
	s_delay_alu instid0(VALU_DEP_1)
	v_mul_lo_u32 v56, v0, s48
	v_mul_lo_u32 v1, v0, s49
	;; [unrolled: 1-line block ×3, first 2 shown]
	s_cbranch_vccnz .LBB12_12
; %bb.11:
	v_mul_hi_u32 v3, s62, v2
	s_delay_alu instid0(VALU_DEP_1) | instskip(NEXT) | instid1(VALU_DEP_1)
	v_add_nc_u32_e32 v3, v2, v3
	v_lshrrev_b32_e32 v3, s63, v3
	s_delay_alu instid0(VALU_DEP_1) | instskip(NEXT) | instid1(VALU_DEP_1)
	v_mul_lo_u32 v3, v3, s55
	v_sub_nc_u32_e32 v6, v2, v3
	s_delay_alu instid0(VALU_DEP_1) | instskip(NEXT) | instid1(VALU_DEP_1)
	v_mad_u64_u32 v[2:3], null, v6, s51, v[56:57]
	v_mad_u64_u32 v[3:4], null, v6, s60, v[1:2]
	;; [unrolled: 1-line block ×3, first 2 shown]
	s_delay_alu instid0(VALU_DEP_2) | instskip(NEXT) | instid1(VALU_DEP_2)
	v_dual_mov_b32 v56, v2 :: v_dual_mov_b32 v1, v3
	v_mov_b32_e32 v0, v4
.LBB12_12:
	v_and_b32_e64 v3, 0xff, s73
	s_delay_alu instid0(VALU_DEP_3) | instskip(NEXT) | instid1(VALU_DEP_1)
	v_add_co_u32 v1, s2, s46, v1
	v_add_co_ci_u32_e64 v2, null, s47, 0, s2
	s_delay_alu instid0(VALU_DEP_3)
	v_cmp_gt_i16_e32 vcc_lo, 11, v3
	s_mov_b32 s80, 0
	s_cbranch_vccnz .LBB12_19
; %bb.13:
	v_cmp_lt_i16_e32 vcc_lo, 25, v3
	s_cbranch_vccz .LBB12_28
; %bb.14:
	v_cmp_lt_i16_e32 vcc_lo, 28, v3
	s_cbranch_vccz .LBB12_33
	;; [unrolled: 3-line block ×4, first 2 shown]
; %bb.17:
	v_cmp_eq_u16_e32 vcc_lo, 46, v3
	s_mov_b32 s3, 0
	s_cbranch_vccz .LBB12_159
; %bb.18:
	global_load_b32 v4, v[1:2], off
	s_mov_b32 s2, -1
	s_waitcnt vmcnt(0)
	v_lshlrev_b32_e32 v4, 16, v4
	s_delay_alu instid0(VALU_DEP_1)
	v_cvt_f64_f32_e32 v[43:44], v4
	s_branch .LBB12_161
.LBB12_19:
	s_mov_b32 s2, 0
                                        ; implicit-def: $vgpr43_vgpr44
	s_cbranch_execnz .LBB12_226
.LBB12_20:
	s_and_not1_b32 vcc_lo, exec_lo, s2
	s_cbranch_vccnz .LBB12_273
.LBB12_21:
	v_cmp_lt_i16_e64 s2, s72, 11
	v_add_co_u32 v0, s3, s58, v0
	s_delay_alu instid0(VALU_DEP_1) | instskip(NEXT) | instid1(VALU_DEP_3)
	v_add_co_ci_u32_e64 v1, null, s59, 0, s3
	s_and_b32 vcc_lo, exec_lo, s2
	s_mov_b32 s79, 0
	s_cbranch_vccnz .LBB12_29
; %bb.22:
	v_cmp_gt_i16_e64 s2, s72, 25
	s_delay_alu instid0(VALU_DEP_1)
	s_and_b32 vcc_lo, exec_lo, s2
	s_cbranch_vccz .LBB12_34
; %bb.23:
	v_cmp_gt_i16_e64 s2, s72, 28
	s_delay_alu instid0(VALU_DEP_1)
	s_and_b32 vcc_lo, exec_lo, s2
	s_cbranch_vccz .LBB12_156
	;; [unrolled: 5-line block ×4, first 2 shown]
; %bb.26:
	v_cmp_eq_u16_e64 s2, s72, 46
	s_mov_b32 s3, 0
	s_delay_alu instid0(VALU_DEP_1)
	s_and_b32 vcc_lo, exec_lo, s2
	s_cbranch_vccz .LBB12_274
; %bb.27:
	global_load_b32 v2, v[0:1], off
	s_mov_b32 s2, -1
	s_waitcnt vmcnt(0)
	v_lshlrev_b32_e32 v2, 16, v2
	s_delay_alu instid0(VALU_DEP_1)
	v_cvt_f64_f32_e32 v[45:46], v2
	s_branch .LBB12_276
.LBB12_28:
	s_mov_b32 s2, 0
                                        ; implicit-def: $vgpr43_vgpr44
	s_cbranch_execnz .LBB12_193
	s_branch .LBB12_225
.LBB12_29:
	s_mov_b32 s2, 0
                                        ; implicit-def: $vgpr45_vgpr46
	s_cbranch_execnz .LBB12_343
.LBB12_30:
	s_and_not1_b32 vcc_lo, exec_lo, s2
	s_cbranch_vccnz .LBB12_391
.LBB12_31:
	s_mov_b64 s[64:65], s[0:1]
	s_and_b32 vcc_lo, exec_lo, s71
	s_cbranch_vccz .LBB12_35
; %bb.32:
	s_waitcnt vmcnt(0)
	s_delay_alu instid0(VALU_DEP_4) | instskip(NEXT) | instid1(VALU_DEP_2)
	v_dual_mov_b32 v0, v43 :: v_dual_mov_b32 v1, v44
	v_dual_mov_b32 v2, v45 :: v_dual_mov_b32 v3, v46
	s_getpc_b64 s[0:1]
	s_add_u32 s0, s0, _ZN12_GLOBAL__N_111calc_igammaIdEET_S1_S1_@rel32@lo+4
	s_addc_u32 s1, s1, _ZN12_GLOBAL__N_111calc_igammaIdEET_S1_S1_@rel32@hi+12
	s_delay_alu instid0(SALU_CYCLE_1)
	s_swappc_b64 s[30:31], s[0:1]
	s_mov_b32 s0, 0
	s_branch .LBB12_36
.LBB12_33:
	s_mov_b32 s3, -1
	s_mov_b32 s2, 0
                                        ; implicit-def: $vgpr43_vgpr44
	s_branch .LBB12_172
.LBB12_34:
	s_mov_b32 s3, -1
	s_mov_b32 s2, 0
                                        ; implicit-def: $vgpr45_vgpr46
	s_branch .LBB12_309
.LBB12_35:
	s_mov_b32 s0, -1
                                        ; implicit-def: $vgpr0_vgpr1
.LBB12_36:
	s_delay_alu instid0(SALU_CYCLE_1)
	s_and_not1_b32 vcc_lo, exec_lo, s0
	s_cbranch_vccnz .LBB12_38
; %bb.37:
	s_waitcnt vmcnt(0)
	s_delay_alu instid0(VALU_DEP_4) | instskip(NEXT) | instid1(VALU_DEP_2)
	v_dual_mov_b32 v0, v43 :: v_dual_mov_b32 v1, v44
	v_dual_mov_b32 v2, v45 :: v_dual_mov_b32 v3, v46
	s_getpc_b64 s[0:1]
	s_add_u32 s0, s0, _ZN12_GLOBAL__N_112calc_igammacIdEET_S1_S1_@rel32@lo+4
	s_addc_u32 s1, s1, _ZN12_GLOBAL__N_112calc_igammacIdEET_S1_S1_@rel32@hi+12
	s_delay_alu instid0(SALU_CYCLE_1)
	s_swappc_b64 s[30:31], s[0:1]
.LBB12_38:
	v_and_b32_e64 v6, 0xff, s70
	v_add_co_u32 v4, s3, s44, v56
	s_delay_alu instid0(VALU_DEP_1) | instskip(NEXT) | instid1(VALU_DEP_3)
	v_add_co_ci_u32_e64 v5, null, s45, 0, s3
	v_cmp_gt_i16_e32 vcc_lo, 11, v6
	s_mov_b64 s[0:1], s[64:65]
	s_mov_b32 s2, 0
	s_mov_b32 s4, -1
	s_mov_b32 s3, 0
	s_cbranch_vccnz .LBB12_115
; %bb.39:
	v_cmp_lt_i16_e32 vcc_lo, 25, v6
	s_cbranch_vccz .LBB12_72
; %bb.40:
	v_cmp_lt_i16_e32 vcc_lo, 28, v6
	s_cbranch_vccz .LBB12_55
	;; [unrolled: 3-line block ×4, first 2 shown]
; %bb.43:
	v_cmp_eq_u16_e32 vcc_lo, 46, v6
	s_mov_b32 s4, 0
	s_mov_b32 s2, -1
	s_cbranch_vccz .LBB12_45
; %bb.44:
	v_cvt_f32_f64_e32 v2, v[0:1]
	s_mov_b32 s3, -1
	s_mov_b32 s2, 0
	s_delay_alu instid0(VALU_DEP_1) | instskip(SKIP_1) | instid1(VALU_DEP_2)
	v_bfe_u32 v3, v2, 16, 1
	v_cmp_o_f32_e32 vcc_lo, v2, v2
	v_add3_u32 v3, v2, v3, 0x7fff
	s_delay_alu instid0(VALU_DEP_1) | instskip(NEXT) | instid1(VALU_DEP_1)
	v_lshrrev_b32_e32 v3, 16, v3
	v_cndmask_b32_e32 v2, 0x7fc0, v3, vcc_lo
	global_store_b32 v[4:5], v2, off
.LBB12_45:
	s_and_b32 vcc_lo, exec_lo, s4
	s_cbranch_vccz .LBB12_50
; %bb.46:
	v_cmp_eq_u16_e32 vcc_lo, 44, v6
	s_mov_b32 s2, -1
	s_cbranch_vccz .LBB12_50
; %bb.47:
	v_cvt_f32_f64_e32 v2, v[0:1]
	v_mov_b32_e32 v3, 0xff
	s_mov_b32 s3, exec_lo
	s_delay_alu instid0(VALU_DEP_2) | instskip(NEXT) | instid1(VALU_DEP_1)
	v_bfe_u32 v7, v2, 23, 8
	v_cmpx_ne_u32_e32 0xff, v7
; %bb.48:
	v_and_b32_e32 v3, 0x400000, v2
	v_and_or_b32 v7, 0x3fffff, v2, v7
	v_lshrrev_b32_e32 v2, 23, v2
	s_delay_alu instid0(VALU_DEP_3) | instskip(NEXT) | instid1(VALU_DEP_3)
	v_cmp_ne_u32_e32 vcc_lo, 0, v3
	v_cmp_ne_u32_e64 s2, 0, v7
	s_delay_alu instid0(VALU_DEP_1) | instskip(NEXT) | instid1(SALU_CYCLE_1)
	s_and_b32 s2, vcc_lo, s2
	v_cndmask_b32_e64 v3, 0, 1, s2
	s_delay_alu instid0(VALU_DEP_1)
	v_add_nc_u32_e32 v3, v2, v3
; %bb.49:
	s_or_b32 exec_lo, exec_lo, s3
	s_mov_b32 s3, -1
	s_mov_b32 s2, 0
	global_store_b8 v[4:5], v3, off
.LBB12_50:
	s_mov_b32 s4, 0
.LBB12_51:
	s_delay_alu instid0(SALU_CYCLE_1)
	s_and_b32 vcc_lo, exec_lo, s4
	s_cbranch_vccz .LBB12_54
; %bb.52:
	v_cmp_eq_u16_e32 vcc_lo, 29, v6
	s_mov_b32 s2, -1
	s_cbranch_vccz .LBB12_54
; %bb.53:
	v_trunc_f64_e32 v[2:3], v[0:1]
	s_mov_b32 s3, -1
	s_mov_b32 s2, 0
	s_delay_alu instid0(VALU_DEP_1) | instskip(NEXT) | instid1(VALU_DEP_1)
	v_ldexp_f64 v[7:8], v[2:3], 0xffffffe0
	v_floor_f64_e32 v[7:8], v[7:8]
	s_delay_alu instid0(VALU_DEP_1) | instskip(SKIP_1) | instid1(VALU_DEP_2)
	v_fma_f64 v[2:3], 0xc1f00000, v[7:8], v[2:3]
	v_cvt_u32_f64_e32 v8, v[7:8]
	v_cvt_u32_f64_e32 v7, v[2:3]
	global_store_b64 v[4:5], v[7:8], off
.LBB12_54:
	s_mov_b32 s4, 0
.LBB12_55:
	s_delay_alu instid0(SALU_CYCLE_1)
	s_and_b32 vcc_lo, exec_lo, s4
	s_cbranch_vccz .LBB12_71
; %bb.56:
	v_cmp_gt_i16_e32 vcc_lo, 27, v6
	s_mov_b32 s3, -1
	s_cbranch_vccnz .LBB12_62
; %bb.57:
	v_cmp_lt_i16_e32 vcc_lo, 27, v6
	s_cbranch_vccz .LBB12_59
; %bb.58:
	v_cvt_u32_f64_e32 v2, v[0:1]
	s_mov_b32 s3, 0
	global_store_b32 v[4:5], v2, off
.LBB12_59:
	s_and_not1_b32 vcc_lo, exec_lo, s3
	s_cbranch_vccnz .LBB12_61
; %bb.60:
	v_cvt_u32_f64_e32 v2, v[0:1]
	global_store_b16 v[4:5], v2, off
.LBB12_61:
	s_mov_b32 s3, 0
.LBB12_62:
	s_delay_alu instid0(SALU_CYCLE_1)
	s_and_not1_b32 vcc_lo, exec_lo, s3
	s_cbranch_vccnz .LBB12_70
; %bb.63:
	v_cvt_f32_f64_e32 v2, v[0:1]
	v_mov_b32_e32 v7, 0x80
	s_mov_b32 s3, exec_lo
	s_delay_alu instid0(VALU_DEP_2) | instskip(NEXT) | instid1(VALU_DEP_1)
	v_and_b32_e32 v3, 0x7fffffff, v2
	v_cmpx_gt_u32_e32 0x43800000, v3
	s_cbranch_execz .LBB12_69
; %bb.64:
	v_cmp_lt_u32_e32 vcc_lo, 0x3bffffff, v3
	s_mov_b32 s4, 0
                                        ; implicit-def: $vgpr3
	s_and_saveexec_b32 s5, vcc_lo
	s_delay_alu instid0(SALU_CYCLE_1)
	s_xor_b32 s5, exec_lo, s5
	s_cbranch_execz .LBB12_279
; %bb.65:
	v_bfe_u32 v3, v2, 20, 1
	s_mov_b32 s4, exec_lo
	s_delay_alu instid0(VALU_DEP_1) | instskip(NEXT) | instid1(VALU_DEP_1)
	v_add3_u32 v3, v2, v3, 0x487ffff
	v_lshrrev_b32_e32 v3, 20, v3
	s_or_saveexec_b32 s5, s5
                                        ; implicit-def: $sgpr6
	s_delay_alu instid0(SALU_CYCLE_1)
	s_xor_b32 exec_lo, exec_lo, s5
	s_cbranch_execnz .LBB12_280
.LBB12_66:
	s_or_b32 exec_lo, exec_lo, s5
	v_mov_b32_e32 v7, s6
	s_and_saveexec_b32 s5, s4
.LBB12_67:
	v_lshrrev_b32_e32 v2, 24, v2
	s_delay_alu instid0(VALU_DEP_1)
	v_and_or_b32 v7, 0x80, v2, v3
.LBB12_68:
	s_or_b32 exec_lo, exec_lo, s5
.LBB12_69:
	s_delay_alu instid0(SALU_CYCLE_1)
	s_or_b32 exec_lo, exec_lo, s3
	global_store_b8 v[4:5], v7, off
.LBB12_70:
	s_mov_b32 s3, -1
.LBB12_71:
	s_mov_b32 s4, 0
.LBB12_72:
	s_delay_alu instid0(SALU_CYCLE_1)
	s_and_b32 vcc_lo, exec_lo, s4
	s_cbranch_vccz .LBB12_113
; %bb.73:
	v_cmp_lt_i16_e32 vcc_lo, 22, v6
	s_mov_b32 s4, -1
	s_cbranch_vccz .LBB12_105
; %bb.74:
	v_cmp_gt_i16_e32 vcc_lo, 24, v6
	s_mov_b32 s3, -1
	s_cbranch_vccnz .LBB12_94
; %bb.75:
	v_cmp_lt_i16_e32 vcc_lo, 24, v6
	s_cbranch_vccz .LBB12_83
; %bb.76:
	v_cvt_f32_f64_e32 v2, v[0:1]
	v_mov_b32_e32 v7, 0x80
	s_mov_b32 s3, exec_lo
	s_delay_alu instid0(VALU_DEP_2) | instskip(NEXT) | instid1(VALU_DEP_1)
	v_and_b32_e32 v3, 0x7fffffff, v2
	v_cmpx_gt_u32_e32 0x47800000, v3
	s_cbranch_execz .LBB12_82
; %bb.77:
	v_cmp_lt_u32_e32 vcc_lo, 0x37ffffff, v3
	s_mov_b32 s4, 0
                                        ; implicit-def: $vgpr3
	s_and_saveexec_b32 s5, vcc_lo
	s_delay_alu instid0(SALU_CYCLE_1)
	s_xor_b32 s5, exec_lo, s5
	s_cbranch_execz .LBB12_547
; %bb.78:
	v_bfe_u32 v3, v2, 21, 1
	s_mov_b32 s4, exec_lo
	s_delay_alu instid0(VALU_DEP_1) | instskip(NEXT) | instid1(VALU_DEP_1)
	v_add3_u32 v3, v2, v3, 0x88fffff
	v_lshrrev_b32_e32 v3, 21, v3
	s_or_saveexec_b32 s5, s5
                                        ; implicit-def: $sgpr6
	s_delay_alu instid0(SALU_CYCLE_1)
	s_xor_b32 exec_lo, exec_lo, s5
	s_cbranch_execnz .LBB12_548
.LBB12_79:
	s_or_b32 exec_lo, exec_lo, s5
	v_mov_b32_e32 v7, s6
	s_and_saveexec_b32 s5, s4
.LBB12_80:
	v_lshrrev_b32_e32 v2, 24, v2
	s_delay_alu instid0(VALU_DEP_1)
	v_and_or_b32 v7, 0x80, v2, v3
.LBB12_81:
	s_or_b32 exec_lo, exec_lo, s5
.LBB12_82:
	s_delay_alu instid0(SALU_CYCLE_1)
	s_or_b32 exec_lo, exec_lo, s3
	s_mov_b32 s3, 0
	global_store_b8 v[4:5], v7, off
.LBB12_83:
	s_and_b32 vcc_lo, exec_lo, s3
	s_cbranch_vccz .LBB12_93
; %bb.84:
	v_cvt_f32_f64_e32 v2, v[0:1]
	s_mov_b32 s3, exec_lo
                                        ; implicit-def: $vgpr3
	s_delay_alu instid0(VALU_DEP_1) | instskip(NEXT) | instid1(VALU_DEP_1)
	v_and_b32_e32 v7, 0x7fffffff, v2
	v_cmpx_gt_u32_e32 0x43f00000, v7
	s_xor_b32 s3, exec_lo, s3
	s_cbranch_execz .LBB12_90
; %bb.85:
	s_mov_b32 s4, exec_lo
                                        ; implicit-def: $vgpr3
	v_cmpx_lt_u32_e32 0x3c7fffff, v7
	s_xor_b32 s4, exec_lo, s4
; %bb.86:
	v_bfe_u32 v3, v2, 20, 1
	s_delay_alu instid0(VALU_DEP_1) | instskip(NEXT) | instid1(VALU_DEP_1)
	v_add3_u32 v3, v2, v3, 0x407ffff
	v_and_b32_e32 v7, 0xff00000, v3
	v_lshrrev_b32_e32 v3, 20, v3
	s_delay_alu instid0(VALU_DEP_2) | instskip(NEXT) | instid1(VALU_DEP_2)
	v_cmp_ne_u32_e32 vcc_lo, 0x7f00000, v7
	v_cndmask_b32_e32 v3, 0x7e, v3, vcc_lo
; %bb.87:
	s_and_not1_saveexec_b32 s4, s4
; %bb.88:
	v_add_f32_e64 v3, 0x46800000, |v2|
; %bb.89:
	s_or_b32 exec_lo, exec_lo, s4
                                        ; implicit-def: $vgpr7
.LBB12_90:
	s_and_not1_saveexec_b32 s3, s3
; %bb.91:
	v_mov_b32_e32 v3, 0x7f
	v_cmp_lt_u32_e32 vcc_lo, 0x7f800000, v7
	s_delay_alu instid0(VALU_DEP_2)
	v_cndmask_b32_e32 v3, 0x7e, v3, vcc_lo
; %bb.92:
	s_or_b32 exec_lo, exec_lo, s3
	v_lshrrev_b32_e32 v2, 24, v2
	s_delay_alu instid0(VALU_DEP_1)
	v_and_or_b32 v2, 0x80, v2, v3
	global_store_b8 v[4:5], v2, off
.LBB12_93:
	s_mov_b32 s3, 0
.LBB12_94:
	s_delay_alu instid0(SALU_CYCLE_1)
	s_and_not1_b32 vcc_lo, exec_lo, s3
	s_cbranch_vccnz .LBB12_104
; %bb.95:
	v_cvt_f32_f64_e32 v2, v[0:1]
	s_mov_b32 s3, exec_lo
                                        ; implicit-def: $vgpr3
	s_delay_alu instid0(VALU_DEP_1) | instskip(NEXT) | instid1(VALU_DEP_1)
	v_and_b32_e32 v7, 0x7fffffff, v2
	v_cmpx_gt_u32_e32 0x47800000, v7
	s_xor_b32 s3, exec_lo, s3
	s_cbranch_execz .LBB12_101
; %bb.96:
	s_mov_b32 s4, exec_lo
                                        ; implicit-def: $vgpr3
	v_cmpx_lt_u32_e32 0x387fffff, v7
	s_xor_b32 s4, exec_lo, s4
; %bb.97:
	v_bfe_u32 v3, v2, 21, 1
	s_delay_alu instid0(VALU_DEP_1) | instskip(NEXT) | instid1(VALU_DEP_1)
	v_add3_u32 v3, v2, v3, 0x80fffff
	v_lshrrev_b32_e32 v3, 21, v3
; %bb.98:
	s_and_not1_saveexec_b32 s4, s4
; %bb.99:
	v_add_f32_e64 v3, 0x43000000, |v2|
; %bb.100:
	s_or_b32 exec_lo, exec_lo, s4
                                        ; implicit-def: $vgpr7
.LBB12_101:
	s_and_not1_saveexec_b32 s3, s3
; %bb.102:
	v_mov_b32_e32 v3, 0x7f
	v_cmp_lt_u32_e32 vcc_lo, 0x7f800000, v7
	s_delay_alu instid0(VALU_DEP_2)
	v_cndmask_b32_e32 v3, 0x7c, v3, vcc_lo
; %bb.103:
	s_or_b32 exec_lo, exec_lo, s3
	v_lshrrev_b32_e32 v2, 24, v2
	s_delay_alu instid0(VALU_DEP_1)
	v_and_or_b32 v2, 0x80, v2, v3
	global_store_b8 v[4:5], v2, off
.LBB12_104:
	s_mov_b32 s4, 0
	s_mov_b32 s3, -1
.LBB12_105:
	s_and_not1_b32 vcc_lo, exec_lo, s4
	s_cbranch_vccnz .LBB12_113
; %bb.106:
	v_cmp_lt_i16_e32 vcc_lo, 14, v6
	s_mov_b32 s4, -1
	s_cbranch_vccz .LBB12_110
; %bb.107:
	v_cmp_eq_u16_e32 vcc_lo, 15, v6
	s_mov_b32 s2, -1
	s_cbranch_vccz .LBB12_109
; %bb.108:
	v_cvt_f32_f64_e32 v2, v[0:1]
	s_mov_b32 s3, -1
	s_mov_b32 s2, 0
	s_delay_alu instid0(VALU_DEP_1) | instskip(SKIP_1) | instid1(VALU_DEP_2)
	v_bfe_u32 v3, v2, 16, 1
	v_cmp_o_f32_e32 vcc_lo, v2, v2
	v_add3_u32 v3, v2, v3, 0x7fff
	s_delay_alu instid0(VALU_DEP_1) | instskip(NEXT) | instid1(VALU_DEP_1)
	v_lshrrev_b32_e32 v3, 16, v3
	v_cndmask_b32_e32 v2, 0x7fc0, v3, vcc_lo
	global_store_b16 v[4:5], v2, off
.LBB12_109:
	s_mov_b32 s4, 0
.LBB12_110:
	s_delay_alu instid0(SALU_CYCLE_1)
	s_and_b32 vcc_lo, exec_lo, s4
	s_cbranch_vccz .LBB12_113
; %bb.111:
	v_cmp_eq_u16_e32 vcc_lo, 11, v6
	s_mov_b32 s2, -1
	s_cbranch_vccz .LBB12_113
; %bb.112:
	v_cmp_neq_f64_e32 vcc_lo, 0, v[0:1]
	s_mov_b32 s3, -1
	s_mov_b32 s2, 0
	v_cndmask_b32_e64 v2, 0, 1, vcc_lo
	global_store_b8 v[4:5], v2, off
.LBB12_113:
.LBB12_114:
	s_and_not1_b32 vcc_lo, exec_lo, s3
	s_cbranch_vccz .LBB12_154
	s_branch .LBB12_392
.LBB12_115:
	s_and_b32 vcc_lo, exec_lo, s4
	s_cbranch_vccz .LBB12_114
; %bb.116:
	v_cmp_gt_i16_e32 vcc_lo, 5, v6
	s_mov_b32 s3, -1
	s_cbranch_vccnz .LBB12_137
; %bb.117:
	v_cmp_gt_i16_e32 vcc_lo, 8, v6
	s_cbranch_vccnz .LBB12_127
; %bb.118:
	v_cmp_gt_i16_e32 vcc_lo, 9, v6
	s_cbranch_vccnz .LBB12_124
; %bb.119:
	v_cmp_lt_i16_e32 vcc_lo, 9, v6
	s_cbranch_vccz .LBB12_121
; %bb.120:
	v_mov_b32_e32 v2, 0
	s_mov_b32 s3, 0
	s_delay_alu instid0(VALU_DEP_1)
	v_mov_b32_e32 v3, v2
	global_store_b128 v[4:5], v[0:3], off
.LBB12_121:
	s_and_not1_b32 vcc_lo, exec_lo, s3
	s_cbranch_vccnz .LBB12_123
; %bb.122:
	v_cvt_f32_f64_e32 v2, v[0:1]
	v_mov_b32_e32 v3, 0
	global_store_b64 v[4:5], v[2:3], off
.LBB12_123:
	s_mov_b32 s3, 0
.LBB12_124:
	s_delay_alu instid0(SALU_CYCLE_1)
	s_and_not1_b32 vcc_lo, exec_lo, s3
	s_cbranch_vccnz .LBB12_126
; %bb.125:
	v_cvt_f32_f64_e32 v2, v[0:1]
	s_delay_alu instid0(VALU_DEP_1) | instskip(NEXT) | instid1(VALU_DEP_1)
	v_cvt_f16_f32_e32 v2, v2
	v_and_b32_e32 v2, 0xffff, v2
	global_store_b32 v[4:5], v2, off
.LBB12_126:
	s_mov_b32 s3, 0
.LBB12_127:
	s_delay_alu instid0(SALU_CYCLE_1)
	s_and_not1_b32 vcc_lo, exec_lo, s3
	s_cbranch_vccnz .LBB12_136
; %bb.128:
	v_cmp_gt_i16_e32 vcc_lo, 6, v6
	s_mov_b32 s3, -1
	s_cbranch_vccnz .LBB12_134
; %bb.129:
	v_cmp_lt_i16_e32 vcc_lo, 6, v6
	s_cbranch_vccz .LBB12_131
; %bb.130:
	s_mov_b32 s3, 0
	global_store_b64 v[4:5], v[0:1], off
.LBB12_131:
	s_and_not1_b32 vcc_lo, exec_lo, s3
	s_cbranch_vccnz .LBB12_133
; %bb.132:
	v_cvt_f32_f64_e32 v2, v[0:1]
	global_store_b32 v[4:5], v2, off
.LBB12_133:
	s_mov_b32 s3, 0
.LBB12_134:
	s_delay_alu instid0(SALU_CYCLE_1)
	s_and_not1_b32 vcc_lo, exec_lo, s3
	s_cbranch_vccnz .LBB12_136
; %bb.135:
	v_cvt_f32_f64_e32 v2, v[0:1]
	s_delay_alu instid0(VALU_DEP_1)
	v_cvt_f16_f32_e32 v2, v2
	global_store_b16 v[4:5], v2, off
.LBB12_136:
	s_mov_b32 s3, 0
.LBB12_137:
	s_delay_alu instid0(SALU_CYCLE_1)
	s_and_not1_b32 vcc_lo, exec_lo, s3
	s_cbranch_vccnz .LBB12_153
; %bb.138:
	v_cmp_gt_i16_e32 vcc_lo, 2, v6
	s_mov_b32 s3, -1
	s_cbranch_vccnz .LBB12_148
; %bb.139:
	v_cmp_gt_i16_e32 vcc_lo, 3, v6
	s_cbranch_vccnz .LBB12_145
; %bb.140:
	v_cmp_lt_i16_e32 vcc_lo, 3, v6
	s_cbranch_vccz .LBB12_142
; %bb.141:
	v_trunc_f64_e32 v[2:3], v[0:1]
	s_mov_b32 s3, 0
	s_delay_alu instid0(VALU_DEP_1) | instskip(NEXT) | instid1(VALU_DEP_1)
	v_ldexp_f64 v[7:8], v[2:3], 0xffffffe0
	v_floor_f64_e32 v[7:8], v[7:8]
	s_delay_alu instid0(VALU_DEP_1) | instskip(SKIP_1) | instid1(VALU_DEP_2)
	v_fma_f64 v[2:3], 0xc1f00000, v[7:8], v[2:3]
	v_cvt_i32_f64_e32 v8, v[7:8]
	v_cvt_u32_f64_e32 v7, v[2:3]
	global_store_b64 v[4:5], v[7:8], off
.LBB12_142:
	s_and_not1_b32 vcc_lo, exec_lo, s3
	s_cbranch_vccnz .LBB12_144
; %bb.143:
	v_cvt_i32_f64_e32 v2, v[0:1]
	global_store_b32 v[4:5], v2, off
.LBB12_144:
	s_mov_b32 s3, 0
.LBB12_145:
	s_delay_alu instid0(SALU_CYCLE_1)
	s_and_not1_b32 vcc_lo, exec_lo, s3
	s_cbranch_vccnz .LBB12_147
; %bb.146:
	v_cvt_i32_f64_e32 v2, v[0:1]
	global_store_b16 v[4:5], v2, off
.LBB12_147:
	s_mov_b32 s3, 0
.LBB12_148:
	s_delay_alu instid0(SALU_CYCLE_1)
	s_and_not1_b32 vcc_lo, exec_lo, s3
	s_cbranch_vccnz .LBB12_153
; %bb.149:
	v_cmp_lt_i16_e32 vcc_lo, 0, v6
	s_mov_b32 s3, -1
	s_cbranch_vccz .LBB12_151
; %bb.150:
	v_cvt_i32_f64_e32 v2, v[0:1]
	s_mov_b32 s3, 0
	global_store_b8 v[4:5], v2, off
.LBB12_151:
	s_and_not1_b32 vcc_lo, exec_lo, s3
	s_cbranch_vccnz .LBB12_153
; %bb.152:
	v_trunc_f64_e32 v[0:1], v[0:1]
	s_delay_alu instid0(VALU_DEP_1) | instskip(NEXT) | instid1(VALU_DEP_1)
	v_ldexp_f64 v[2:3], v[0:1], 0xffffffe0
	v_floor_f64_e32 v[2:3], v[2:3]
	s_delay_alu instid0(VALU_DEP_1) | instskip(NEXT) | instid1(VALU_DEP_1)
	v_fma_f64 v[0:1], 0xc1f00000, v[2:3], v[0:1]
	v_cvt_u32_f64_e32 v0, v[0:1]
	global_store_b8 v[4:5], v0, off
.LBB12_153:
.LBB12_154:
	v_add_nc_u32_e32 v47, 0x80, v47
	s_mov_b32 s3, -1
	s_branch .LBB12_393
.LBB12_155:
	s_mov_b32 s3, -1
	s_mov_b32 s2, 0
                                        ; implicit-def: $vgpr43_vgpr44
	s_branch .LBB12_167
.LBB12_156:
	s_mov_b32 s3, -1
	s_mov_b32 s2, 0
                                        ; implicit-def: $vgpr45_vgpr46
	s_branch .LBB12_288
.LBB12_157:
	s_mov_b32 s3, -1
	s_branch .LBB12_160
.LBB12_158:
	s_mov_b32 s3, -1
	s_mov_b32 s2, 0
                                        ; implicit-def: $vgpr45_vgpr46
	s_branch .LBB12_283
.LBB12_159:
	s_mov_b32 s80, -1
.LBB12_160:
	s_mov_b32 s2, 0
                                        ; implicit-def: $vgpr43_vgpr44
.LBB12_161:
	s_and_b32 vcc_lo, exec_lo, s3
	s_cbranch_vccz .LBB12_166
; %bb.162:
	v_cmp_eq_u16_e32 vcc_lo, 44, v3
	s_cbranch_vccz .LBB12_165
; %bb.163:
	global_load_u8 v6, v[1:2], off
	s_mov_b32 s80, 0
	s_mov_b32 s2, -1
	s_waitcnt vmcnt(0)
	v_cmp_ne_u32_e32 vcc_lo, 0xff, v6
	v_lshlrev_b32_e32 v4, 23, v6
	s_delay_alu instid0(VALU_DEP_1) | instskip(NEXT) | instid1(VALU_DEP_1)
	v_cvt_f64_f32_e32 v[4:5], v4
	v_cndmask_b32_e32 v5, 0x7ff80000, v5, vcc_lo
	s_delay_alu instid0(VALU_DEP_2) | instskip(SKIP_1) | instid1(VALU_DEP_3)
	v_cndmask_b32_e32 v4, 0x20000000, v4, vcc_lo
	v_cmp_ne_u32_e32 vcc_lo, 0, v6
	v_cndmask_b32_e32 v44, 0x38000000, v5, vcc_lo
	s_delay_alu instid0(VALU_DEP_3)
	v_cndmask_b32_e32 v43, 0, v4, vcc_lo
	s_branch .LBB12_166
.LBB12_164:
	s_mov_b32 s3, -1
	s_branch .LBB12_275
.LBB12_165:
	s_mov_b32 s80, -1
                                        ; implicit-def: $vgpr43_vgpr44
.LBB12_166:
	s_mov_b32 s3, 0
.LBB12_167:
	s_delay_alu instid0(SALU_CYCLE_1)
	s_and_b32 vcc_lo, exec_lo, s3
	s_cbranch_vccz .LBB12_171
; %bb.168:
	v_cmp_eq_u16_e32 vcc_lo, 29, v3
	s_cbranch_vccz .LBB12_170
; %bb.169:
	global_load_b64 v[4:5], v[1:2], off
	s_mov_b32 s2, -1
	s_mov_b32 s80, 0
	s_mov_b32 s3, 0
	s_waitcnt vmcnt(0)
	v_cvt_f64_u32_e32 v[5:6], v5
	v_cvt_f64_u32_e32 v[7:8], v4
	s_delay_alu instid0(VALU_DEP_2) | instskip(NEXT) | instid1(VALU_DEP_1)
	v_ldexp_f64 v[5:6], v[5:6], 32
	v_add_f64 v[43:44], v[5:6], v[7:8]
	s_branch .LBB12_172
.LBB12_170:
	s_mov_b32 s80, -1
                                        ; implicit-def: $vgpr43_vgpr44
.LBB12_171:
	s_mov_b32 s3, 0
.LBB12_172:
	s_delay_alu instid0(SALU_CYCLE_1)
	s_and_b32 vcc_lo, exec_lo, s3
	s_cbranch_vccz .LBB12_192
; %bb.173:
	v_cmp_gt_i16_e32 vcc_lo, 27, v3
	s_cbranch_vccnz .LBB12_176
; %bb.174:
	v_cmp_lt_i16_e32 vcc_lo, 27, v3
	s_cbranch_vccz .LBB12_177
; %bb.175:
	global_load_b32 v4, v[1:2], off
	s_mov_b32 s2, 0
	s_waitcnt vmcnt(0)
	v_cvt_f64_u32_e32 v[43:44], v4
	s_branch .LBB12_178
.LBB12_176:
	s_mov_b32 s2, -1
                                        ; implicit-def: $vgpr43_vgpr44
	s_branch .LBB12_181
.LBB12_177:
	s_mov_b32 s2, -1
                                        ; implicit-def: $vgpr43_vgpr44
.LBB12_178:
	s_delay_alu instid0(SALU_CYCLE_1)
	s_and_not1_b32 vcc_lo, exec_lo, s2
	s_cbranch_vccnz .LBB12_180
; %bb.179:
	global_load_u16 v4, v[1:2], off
	s_waitcnt vmcnt(0)
	v_cvt_f64_u32_e32 v[43:44], v4
.LBB12_180:
	s_mov_b32 s2, 0
.LBB12_181:
	s_delay_alu instid0(SALU_CYCLE_1)
	s_and_not1_b32 vcc_lo, exec_lo, s2
	s_cbranch_vccnz .LBB12_191
; %bb.182:
	global_load_u8 v4, v[1:2], off
	s_mov_b32 s4, 0
	s_mov_b32 s5, exec_lo
                                        ; implicit-def: $sgpr2_sgpr3
	s_waitcnt vmcnt(0)
	v_cmpx_lt_i16_e32 0x7f, v4
	s_xor_b32 s5, exec_lo, s5
	s_cbranch_execz .LBB12_186
; %bb.183:
	s_mov_b32 s6, -1
	s_mov_b32 s4, exec_lo
                                        ; implicit-def: $sgpr2_sgpr3
	v_cmpx_eq_u16_e32 0x80, v4
; %bb.184:
	s_mov_b32 s3, 0x7ff80000
	s_brev_b32 s2, 4
	s_xor_b32 s6, exec_lo, -1
; %bb.185:
	s_or_b32 exec_lo, exec_lo, s4
	s_delay_alu instid0(SALU_CYCLE_1)
	s_and_b32 s4, s6, exec_lo
.LBB12_186:
	s_or_saveexec_b32 s5, s5
	v_dual_mov_b32 v44, s3 :: v_dual_mov_b32 v43, s2
	s_xor_b32 exec_lo, exec_lo, s5
; %bb.187:
	v_cmp_ne_u16_e32 vcc_lo, 0, v4
	v_mov_b32_e32 v43, 0
	v_mov_b32_e32 v44, 0
	s_and_not1_b32 s2, s4, exec_lo
	s_and_b32 s3, vcc_lo, exec_lo
	s_delay_alu instid0(SALU_CYCLE_1)
	s_or_b32 s4, s2, s3
; %bb.188:
	s_or_b32 exec_lo, exec_lo, s5
	s_and_saveexec_b32 s2, s4
	s_cbranch_execz .LBB12_190
; %bb.189:
	v_and_b32_e32 v5, 0xffff, v4
	v_lshlrev_b32_e32 v4, 24, v4
	s_delay_alu instid0(VALU_DEP_2) | instskip(NEXT) | instid1(VALU_DEP_2)
	v_and_b32_e32 v6, 7, v5
	v_and_b32_e32 v4, 0x80000000, v4
	s_delay_alu instid0(VALU_DEP_2) | instskip(NEXT) | instid1(VALU_DEP_1)
	v_clz_i32_u32_e32 v7, v6
	v_min_u32_e32 v7, 32, v7
	s_delay_alu instid0(VALU_DEP_1) | instskip(SKIP_1) | instid1(VALU_DEP_2)
	v_subrev_nc_u32_e32 v8, 28, v7
	v_sub_nc_u32_e32 v7, 29, v7
	v_lshlrev_b32_e32 v8, v8, v5
	v_bfe_u32 v5, v5, 3, 4
	s_delay_alu instid0(VALU_DEP_2) | instskip(NEXT) | instid1(VALU_DEP_2)
	v_and_b32_e32 v8, 7, v8
	v_cmp_eq_u32_e32 vcc_lo, 0, v5
	s_delay_alu instid0(VALU_DEP_2) | instskip(NEXT) | instid1(VALU_DEP_1)
	v_dual_cndmask_b32 v5, v5, v7 :: v_dual_cndmask_b32 v6, v6, v8
	v_lshl_add_u32 v5, v5, 23, 0x3b800000
	s_delay_alu instid0(VALU_DEP_2) | instskip(NEXT) | instid1(VALU_DEP_1)
	v_lshlrev_b32_e32 v6, 20, v6
	v_or3_b32 v4, v4, v5, v6
	s_delay_alu instid0(VALU_DEP_1)
	v_cvt_f64_f32_e32 v[43:44], v4
.LBB12_190:
	s_or_b32 exec_lo, exec_lo, s2
.LBB12_191:
	s_mov_b32 s2, -1
.LBB12_192:
	s_branch .LBB12_225
.LBB12_193:
	v_cmp_lt_i16_e32 vcc_lo, 22, v3
	s_cbranch_vccz .LBB12_205
; %bb.194:
	v_cmp_gt_i16_e32 vcc_lo, 24, v3
	s_cbranch_vccnz .LBB12_206
; %bb.195:
	v_cmp_lt_i16_e32 vcc_lo, 24, v3
	s_cbranch_vccz .LBB12_207
; %bb.196:
	global_load_u8 v4, v[1:2], off
	s_mov_b32 s4, 0
	s_mov_b32 s5, exec_lo
                                        ; implicit-def: $sgpr2_sgpr3
	s_waitcnt vmcnt(0)
	v_cmpx_lt_i16_e32 0x7f, v4
	s_xor_b32 s5, exec_lo, s5
	s_cbranch_execz .LBB12_200
; %bb.197:
	s_mov_b32 s6, -1
	s_mov_b32 s4, exec_lo
                                        ; implicit-def: $sgpr2_sgpr3
	v_cmpx_eq_u16_e32 0x80, v4
; %bb.198:
	s_mov_b32 s3, 0x7ff80000
	s_brev_b32 s2, 4
	s_xor_b32 s6, exec_lo, -1
; %bb.199:
	s_or_b32 exec_lo, exec_lo, s4
	s_delay_alu instid0(SALU_CYCLE_1)
	s_and_b32 s4, s6, exec_lo
.LBB12_200:
	s_or_saveexec_b32 s5, s5
	v_dual_mov_b32 v44, s3 :: v_dual_mov_b32 v43, s2
	s_xor_b32 exec_lo, exec_lo, s5
; %bb.201:
	v_cmp_ne_u16_e32 vcc_lo, 0, v4
	v_mov_b32_e32 v43, 0
	v_mov_b32_e32 v44, 0
	s_and_not1_b32 s2, s4, exec_lo
	s_and_b32 s3, vcc_lo, exec_lo
	s_delay_alu instid0(SALU_CYCLE_1)
	s_or_b32 s4, s2, s3
; %bb.202:
	s_or_b32 exec_lo, exec_lo, s5
	s_and_saveexec_b32 s2, s4
	s_cbranch_execz .LBB12_204
; %bb.203:
	v_and_b32_e32 v5, 0xffff, v4
	v_lshlrev_b32_e32 v4, 24, v4
	s_delay_alu instid0(VALU_DEP_2) | instskip(NEXT) | instid1(VALU_DEP_2)
	v_and_b32_e32 v6, 3, v5
	v_and_b32_e32 v4, 0x80000000, v4
	s_delay_alu instid0(VALU_DEP_2) | instskip(NEXT) | instid1(VALU_DEP_1)
	v_clz_i32_u32_e32 v7, v6
	v_min_u32_e32 v7, 32, v7
	s_delay_alu instid0(VALU_DEP_1) | instskip(SKIP_1) | instid1(VALU_DEP_2)
	v_subrev_nc_u32_e32 v8, 29, v7
	v_sub_nc_u32_e32 v7, 30, v7
	v_lshlrev_b32_e32 v8, v8, v5
	v_bfe_u32 v5, v5, 2, 5
	s_delay_alu instid0(VALU_DEP_2) | instskip(NEXT) | instid1(VALU_DEP_2)
	v_and_b32_e32 v8, 3, v8
	v_cmp_eq_u32_e32 vcc_lo, 0, v5
	s_delay_alu instid0(VALU_DEP_2) | instskip(NEXT) | instid1(VALU_DEP_1)
	v_dual_cndmask_b32 v5, v5, v7 :: v_dual_cndmask_b32 v6, v6, v8
	v_lshl_add_u32 v5, v5, 23, 0x37800000
	s_delay_alu instid0(VALU_DEP_2) | instskip(NEXT) | instid1(VALU_DEP_1)
	v_lshlrev_b32_e32 v6, 21, v6
	v_or3_b32 v4, v4, v5, v6
	s_delay_alu instid0(VALU_DEP_1)
	v_cvt_f64_f32_e32 v[43:44], v4
.LBB12_204:
	s_or_b32 exec_lo, exec_lo, s2
	s_mov_b32 s2, 0
	s_branch .LBB12_208
.LBB12_205:
	s_mov_b32 s3, -1
                                        ; implicit-def: $vgpr43_vgpr44
	s_branch .LBB12_214
.LBB12_206:
	s_mov_b32 s2, -1
                                        ; implicit-def: $vgpr43_vgpr44
	s_branch .LBB12_211
.LBB12_207:
	s_mov_b32 s2, -1
                                        ; implicit-def: $vgpr43_vgpr44
.LBB12_208:
	s_delay_alu instid0(SALU_CYCLE_1)
	s_and_b32 vcc_lo, exec_lo, s2
	s_cbranch_vccz .LBB12_210
; %bb.209:
	global_load_u8 v4, v[1:2], off
	s_waitcnt vmcnt(0)
	v_lshlrev_b32_e32 v4, 24, v4
	s_delay_alu instid0(VALU_DEP_1) | instskip(NEXT) | instid1(VALU_DEP_1)
	v_and_b32_e32 v5, 0x7f000000, v4
	v_clz_i32_u32_e32 v6, v5
	v_add_nc_u32_e32 v8, 0x1000000, v5
	v_cmp_ne_u32_e32 vcc_lo, 0, v5
	s_delay_alu instid0(VALU_DEP_3) | instskip(NEXT) | instid1(VALU_DEP_1)
	v_min_u32_e32 v6, 32, v6
	v_sub_nc_u32_e64 v6, v6, 4 clamp
	s_delay_alu instid0(VALU_DEP_1) | instskip(SKIP_1) | instid1(VALU_DEP_2)
	v_lshlrev_b32_e32 v7, v6, v5
	v_lshlrev_b32_e32 v6, 23, v6
	v_lshrrev_b32_e32 v7, 4, v7
	s_delay_alu instid0(VALU_DEP_1) | instskip(SKIP_1) | instid1(VALU_DEP_2)
	v_sub_nc_u32_e32 v6, v7, v6
	v_ashrrev_i32_e32 v7, 8, v8
	v_add_nc_u32_e32 v6, 0x3c000000, v6
	s_delay_alu instid0(VALU_DEP_1) | instskip(NEXT) | instid1(VALU_DEP_1)
	v_and_or_b32 v6, 0x7f800000, v7, v6
	v_cndmask_b32_e32 v5, 0, v6, vcc_lo
	s_delay_alu instid0(VALU_DEP_1) | instskip(NEXT) | instid1(VALU_DEP_1)
	v_and_or_b32 v4, 0x80000000, v4, v5
	v_cvt_f64_f32_e32 v[43:44], v4
.LBB12_210:
	s_mov_b32 s2, 0
.LBB12_211:
	s_delay_alu instid0(SALU_CYCLE_1)
	s_and_not1_b32 vcc_lo, exec_lo, s2
	s_cbranch_vccnz .LBB12_213
; %bb.212:
	global_load_u8 v4, v[1:2], off
	s_waitcnt vmcnt(0)
	v_lshlrev_b32_e32 v5, 25, v4
	v_lshlrev_b16 v4, 8, v4
	s_delay_alu instid0(VALU_DEP_2) | instskip(NEXT) | instid1(VALU_DEP_2)
	v_lshrrev_b32_e32 v6, 4, v5
	v_and_or_b32 v7, 0x7f00, v4, 0.5
	v_bfe_i32 v4, v4, 0, 16
	s_delay_alu instid0(VALU_DEP_3) | instskip(NEXT) | instid1(VALU_DEP_1)
	v_or_b32_e32 v6, 0x70000000, v6
	v_dual_add_f32 v7, -0.5, v7 :: v_dual_mul_f32 v6, 0x7800000, v6
	v_cmp_gt_u32_e32 vcc_lo, 0x8000000, v5
	s_delay_alu instid0(VALU_DEP_2) | instskip(NEXT) | instid1(VALU_DEP_1)
	v_cndmask_b32_e32 v5, v6, v7, vcc_lo
	v_and_or_b32 v4, 0x80000000, v4, v5
	s_delay_alu instid0(VALU_DEP_1)
	v_cvt_f64_f32_e32 v[43:44], v4
.LBB12_213:
	s_mov_b32 s3, 0
	s_mov_b32 s2, -1
.LBB12_214:
	s_and_not1_b32 vcc_lo, exec_lo, s3
	s_cbranch_vccnz .LBB12_225
; %bb.215:
	v_cmp_lt_i16_e32 vcc_lo, 14, v3
	s_cbranch_vccz .LBB12_218
; %bb.216:
	v_cmp_eq_u16_e32 vcc_lo, 15, v3
	s_cbranch_vccz .LBB12_219
; %bb.217:
	global_load_u16 v4, v[1:2], off
	s_mov_b32 s2, -1
	s_mov_b32 s80, 0
	s_waitcnt vmcnt(0)
	v_lshlrev_b32_e32 v4, 16, v4
	s_delay_alu instid0(VALU_DEP_1)
	v_cvt_f64_f32_e32 v[43:44], v4
	s_branch .LBB12_220
.LBB12_218:
	s_mov_b32 s3, -1
                                        ; implicit-def: $vgpr43_vgpr44
	s_branch .LBB12_221
.LBB12_219:
	s_mov_b32 s80, -1
                                        ; implicit-def: $vgpr43_vgpr44
.LBB12_220:
	s_mov_b32 s3, 0
.LBB12_221:
	s_delay_alu instid0(SALU_CYCLE_1)
	s_and_b32 vcc_lo, exec_lo, s3
	s_cbranch_vccz .LBB12_225
; %bb.222:
	v_cmp_eq_u16_e32 vcc_lo, 11, v3
	s_cbranch_vccz .LBB12_224
; %bb.223:
	global_load_u8 v4, v[1:2], off
	v_mov_b32_e32 v43, 0
	s_mov_b32 s80, 0
	s_mov_b32 s2, -1
	s_waitcnt vmcnt(0)
	v_cmp_ne_u16_e32 vcc_lo, 0, v4
	v_cndmask_b32_e64 v44, 0, 0x3ff00000, vcc_lo
	s_branch .LBB12_225
.LBB12_224:
	s_mov_b32 s80, -1
                                        ; implicit-def: $vgpr43_vgpr44
.LBB12_225:
	s_branch .LBB12_20
.LBB12_226:
	v_cmp_gt_i16_e32 vcc_lo, 5, v3
	s_cbranch_vccnz .LBB12_231
; %bb.227:
	v_cmp_gt_i16_e32 vcc_lo, 8, v3
	s_cbranch_vccnz .LBB12_232
; %bb.228:
	;; [unrolled: 3-line block ×3, first 2 shown]
	v_cmp_lt_i16_e32 vcc_lo, 9, v3
	s_cbranch_vccz .LBB12_234
; %bb.230:
	global_load_b64 v[43:44], v[1:2], off
	s_mov_b32 s2, 0
	s_branch .LBB12_235
.LBB12_231:
                                        ; implicit-def: $vgpr43_vgpr44
	s_branch .LBB12_253
.LBB12_232:
	s_mov_b32 s2, -1
                                        ; implicit-def: $vgpr43_vgpr44
	s_branch .LBB12_241
.LBB12_233:
	s_mov_b32 s2, -1
                                        ; implicit-def: $vgpr43_vgpr44
	s_branch .LBB12_238
.LBB12_234:
	s_mov_b32 s2, -1
                                        ; implicit-def: $vgpr43_vgpr44
.LBB12_235:
	s_delay_alu instid0(SALU_CYCLE_1)
	s_and_not1_b32 vcc_lo, exec_lo, s2
	s_cbranch_vccnz .LBB12_237
; %bb.236:
	global_load_b32 v4, v[1:2], off
	s_waitcnt vmcnt(0)
	v_cvt_f64_f32_e32 v[43:44], v4
.LBB12_237:
	s_mov_b32 s2, 0
.LBB12_238:
	s_delay_alu instid0(SALU_CYCLE_1)
	s_and_not1_b32 vcc_lo, exec_lo, s2
	s_cbranch_vccnz .LBB12_240
; %bb.239:
	global_load_b32 v4, v[1:2], off
	s_waitcnt vmcnt(0)
	v_cvt_f32_f16_e32 v4, v4
	s_delay_alu instid0(VALU_DEP_1)
	v_cvt_f64_f32_e32 v[43:44], v4
.LBB12_240:
	s_mov_b32 s2, 0
.LBB12_241:
	s_delay_alu instid0(SALU_CYCLE_1)
	s_and_not1_b32 vcc_lo, exec_lo, s2
	s_cbranch_vccnz .LBB12_252
; %bb.242:
	v_cmp_gt_i16_e32 vcc_lo, 6, v3
	s_cbranch_vccnz .LBB12_245
; %bb.243:
	v_cmp_lt_i16_e32 vcc_lo, 6, v3
	s_cbranch_vccz .LBB12_246
; %bb.244:
	global_load_b64 v[43:44], v[1:2], off
	s_mov_b32 s2, 0
	s_branch .LBB12_247
.LBB12_245:
	s_mov_b32 s2, -1
                                        ; implicit-def: $vgpr43_vgpr44
	s_branch .LBB12_250
.LBB12_246:
	s_mov_b32 s2, -1
                                        ; implicit-def: $vgpr43_vgpr44
.LBB12_247:
	s_delay_alu instid0(SALU_CYCLE_1)
	s_and_not1_b32 vcc_lo, exec_lo, s2
	s_cbranch_vccnz .LBB12_249
; %bb.248:
	global_load_b32 v4, v[1:2], off
	s_waitcnt vmcnt(0)
	v_cvt_f64_f32_e32 v[43:44], v4
.LBB12_249:
	s_mov_b32 s2, 0
.LBB12_250:
	s_delay_alu instid0(SALU_CYCLE_1)
	s_and_not1_b32 vcc_lo, exec_lo, s2
	s_cbranch_vccnz .LBB12_252
; %bb.251:
	global_load_u16 v4, v[1:2], off
	s_waitcnt vmcnt(0)
	v_cvt_f32_f16_e32 v4, v4
	s_delay_alu instid0(VALU_DEP_1)
	v_cvt_f64_f32_e32 v[43:44], v4
.LBB12_252:
	s_cbranch_execnz .LBB12_272
.LBB12_253:
	v_cmp_gt_i16_e32 vcc_lo, 2, v3
	s_cbranch_vccnz .LBB12_257
; %bb.254:
	v_cmp_gt_i16_e32 vcc_lo, 3, v3
	s_cbranch_vccnz .LBB12_258
; %bb.255:
	v_cmp_lt_i16_e32 vcc_lo, 3, v3
	s_cbranch_vccz .LBB12_259
; %bb.256:
	global_load_b64 v[4:5], v[1:2], off
	s_mov_b32 s2, 0
	s_waitcnt vmcnt(0)
	v_cvt_f64_i32_e32 v[5:6], v5
	v_cvt_f64_u32_e32 v[7:8], v4
	s_delay_alu instid0(VALU_DEP_2) | instskip(NEXT) | instid1(VALU_DEP_1)
	v_ldexp_f64 v[5:6], v[5:6], 32
	v_add_f64 v[43:44], v[5:6], v[7:8]
	s_branch .LBB12_260
.LBB12_257:
	s_mov_b32 s2, -1
                                        ; implicit-def: $vgpr43_vgpr44
	s_branch .LBB12_266
.LBB12_258:
	s_mov_b32 s2, -1
                                        ; implicit-def: $vgpr43_vgpr44
	s_branch .LBB12_263
.LBB12_259:
	s_mov_b32 s2, -1
                                        ; implicit-def: $vgpr43_vgpr44
.LBB12_260:
	s_delay_alu instid0(SALU_CYCLE_1)
	s_and_not1_b32 vcc_lo, exec_lo, s2
	s_cbranch_vccnz .LBB12_262
; %bb.261:
	global_load_b32 v4, v[1:2], off
	s_waitcnt vmcnt(0)
	v_cvt_f64_i32_e32 v[43:44], v4
.LBB12_262:
	s_mov_b32 s2, 0
.LBB12_263:
	s_delay_alu instid0(SALU_CYCLE_1)
	s_and_not1_b32 vcc_lo, exec_lo, s2
	s_cbranch_vccnz .LBB12_265
; %bb.264:
	global_load_i16 v4, v[1:2], off
	s_waitcnt vmcnt(0)
	v_cvt_f64_i32_e32 v[43:44], v4
.LBB12_265:
	s_mov_b32 s2, 0
.LBB12_266:
	s_delay_alu instid0(SALU_CYCLE_1)
	s_and_not1_b32 vcc_lo, exec_lo, s2
	s_cbranch_vccnz .LBB12_272
; %bb.267:
	v_cmp_lt_i16_e32 vcc_lo, 0, v3
	s_mov_b32 s2, 0
	s_cbranch_vccz .LBB12_269
; %bb.268:
	global_load_i8 v3, v[1:2], off
	s_waitcnt vmcnt(0)
	v_cvt_f64_i32_e32 v[43:44], v3
	s_branch .LBB12_270
.LBB12_269:
	s_mov_b32 s2, -1
                                        ; implicit-def: $vgpr43_vgpr44
.LBB12_270:
	s_delay_alu instid0(SALU_CYCLE_1)
	s_and_not1_b32 vcc_lo, exec_lo, s2
	s_cbranch_vccnz .LBB12_272
; %bb.271:
	global_load_u8 v1, v[1:2], off
	s_waitcnt vmcnt(0)
	v_cvt_f64_u32_e32 v[43:44], v1
.LBB12_272:
	s_branch .LBB12_21
.LBB12_273:
	s_mov_b32 s2, 0
	s_mov_b32 s79, 0
	s_branch .LBB12_392
.LBB12_274:
	s_mov_b32 s79, -1
.LBB12_275:
	s_mov_b32 s2, 0
                                        ; implicit-def: $vgpr45_vgpr46
.LBB12_276:
	s_and_b32 vcc_lo, exec_lo, s3
	s_cbranch_vccz .LBB12_282
; %bb.277:
	v_cmp_eq_u16_e64 s3, s72, 44
	s_delay_alu instid0(VALU_DEP_1)
	s_and_b32 vcc_lo, exec_lo, s3
	s_cbranch_vccz .LBB12_281
; %bb.278:
	global_load_u8 v4, v[0:1], off
	s_mov_b32 s79, 0
	s_mov_b32 s2, -1
	s_waitcnt vmcnt(0)
	v_cmp_ne_u32_e32 vcc_lo, 0xff, v4
	v_lshlrev_b32_e32 v2, 23, v4
	s_delay_alu instid0(VALU_DEP_1) | instskip(NEXT) | instid1(VALU_DEP_1)
	v_cvt_f64_f32_e32 v[2:3], v2
	v_cndmask_b32_e32 v3, 0x7ff80000, v3, vcc_lo
	s_delay_alu instid0(VALU_DEP_2) | instskip(SKIP_1) | instid1(VALU_DEP_3)
	v_cndmask_b32_e32 v2, 0x20000000, v2, vcc_lo
	v_cmp_ne_u32_e32 vcc_lo, 0, v4
	v_cndmask_b32_e32 v46, 0x38000000, v3, vcc_lo
	s_delay_alu instid0(VALU_DEP_3)
	v_cndmask_b32_e32 v45, 0, v2, vcc_lo
	s_branch .LBB12_282
.LBB12_279:
	s_or_saveexec_b32 s5, s5
                                        ; implicit-def: $sgpr6
	s_delay_alu instid0(SALU_CYCLE_1)
	s_xor_b32 exec_lo, exec_lo, s5
	s_cbranch_execz .LBB12_66
.LBB12_280:
	v_add_f32_e64 v3, 0x46000000, |v2|
	s_and_not1_b32 s4, s4, exec_lo
	s_mov_b32 s6, 0
	s_delay_alu instid0(VALU_DEP_1) | instskip(NEXT) | instid1(VALU_DEP_1)
	v_and_b32_e32 v3, 0xff, v3
	v_cmp_ne_u32_e32 vcc_lo, 0, v3
	s_and_b32 s7, vcc_lo, exec_lo
	s_delay_alu instid0(SALU_CYCLE_1)
	s_or_b32 s4, s4, s7
	s_or_b32 exec_lo, exec_lo, s5
	v_mov_b32_e32 v7, s6
	s_and_saveexec_b32 s5, s4
	s_cbranch_execnz .LBB12_67
	s_branch .LBB12_68
.LBB12_281:
	s_mov_b32 s79, -1
                                        ; implicit-def: $vgpr45_vgpr46
.LBB12_282:
	s_mov_b32 s3, 0
.LBB12_283:
	s_delay_alu instid0(SALU_CYCLE_1)
	s_and_b32 vcc_lo, exec_lo, s3
	s_cbranch_vccz .LBB12_287
; %bb.284:
	v_cmp_eq_u16_e64 s3, s72, 29
	s_delay_alu instid0(VALU_DEP_1)
	s_and_b32 vcc_lo, exec_lo, s3
	s_cbranch_vccz .LBB12_286
; %bb.285:
	global_load_b64 v[2:3], v[0:1], off
	s_mov_b32 s2, -1
	s_mov_b32 s79, 0
	s_mov_b32 s3, 0
	s_waitcnt vmcnt(0)
	v_cvt_f64_u32_e32 v[3:4], v3
	v_cvt_f64_u32_e32 v[5:6], v2
	s_delay_alu instid0(VALU_DEP_2) | instskip(NEXT) | instid1(VALU_DEP_1)
	v_ldexp_f64 v[3:4], v[3:4], 32
	v_add_f64 v[45:46], v[3:4], v[5:6]
	s_branch .LBB12_288
.LBB12_286:
	s_mov_b32 s79, -1
                                        ; implicit-def: $vgpr45_vgpr46
.LBB12_287:
	s_mov_b32 s3, 0
.LBB12_288:
	s_delay_alu instid0(SALU_CYCLE_1)
	s_and_b32 vcc_lo, exec_lo, s3
	s_cbranch_vccz .LBB12_308
; %bb.289:
	v_cmp_lt_i16_e64 s2, s72, 27
	s_delay_alu instid0(VALU_DEP_1)
	s_and_b32 vcc_lo, exec_lo, s2
	s_cbranch_vccnz .LBB12_292
; %bb.290:
	v_cmp_gt_i16_e64 s2, s72, 27
	s_delay_alu instid0(VALU_DEP_1)
	s_and_b32 vcc_lo, exec_lo, s2
	s_cbranch_vccz .LBB12_293
; %bb.291:
	global_load_b32 v2, v[0:1], off
	s_mov_b32 s2, 0
	s_waitcnt vmcnt(0)
	v_cvt_f64_u32_e32 v[45:46], v2
	s_branch .LBB12_294
.LBB12_292:
	s_mov_b32 s2, -1
                                        ; implicit-def: $vgpr45_vgpr46
	s_branch .LBB12_297
.LBB12_293:
	s_mov_b32 s2, -1
                                        ; implicit-def: $vgpr45_vgpr46
.LBB12_294:
	s_delay_alu instid0(SALU_CYCLE_1)
	s_and_not1_b32 vcc_lo, exec_lo, s2
	s_cbranch_vccnz .LBB12_296
; %bb.295:
	global_load_u16 v2, v[0:1], off
	s_waitcnt vmcnt(0)
	v_cvt_f64_u32_e32 v[45:46], v2
.LBB12_296:
	s_mov_b32 s2, 0
.LBB12_297:
	s_delay_alu instid0(SALU_CYCLE_1)
	s_and_not1_b32 vcc_lo, exec_lo, s2
	s_cbranch_vccnz .LBB12_307
; %bb.298:
	global_load_u8 v2, v[0:1], off
	s_mov_b32 s4, 0
	s_mov_b32 s5, exec_lo
                                        ; implicit-def: $sgpr2_sgpr3
	s_waitcnt vmcnt(0)
	v_cmpx_lt_i16_e32 0x7f, v2
	s_xor_b32 s5, exec_lo, s5
	s_cbranch_execz .LBB12_302
; %bb.299:
	s_mov_b32 s6, -1
	s_mov_b32 s4, exec_lo
                                        ; implicit-def: $sgpr2_sgpr3
	v_cmpx_eq_u16_e32 0x80, v2
; %bb.300:
	s_mov_b32 s3, 0x7ff80000
	s_brev_b32 s2, 4
	s_xor_b32 s6, exec_lo, -1
; %bb.301:
	s_or_b32 exec_lo, exec_lo, s4
	s_delay_alu instid0(SALU_CYCLE_1)
	s_and_b32 s4, s6, exec_lo
.LBB12_302:
	s_or_saveexec_b32 s5, s5
	v_dual_mov_b32 v46, s3 :: v_dual_mov_b32 v45, s2
	s_xor_b32 exec_lo, exec_lo, s5
; %bb.303:
	v_cmp_ne_u16_e32 vcc_lo, 0, v2
	v_mov_b32_e32 v45, 0
	v_mov_b32_e32 v46, 0
	s_and_not1_b32 s2, s4, exec_lo
	s_and_b32 s3, vcc_lo, exec_lo
	s_delay_alu instid0(SALU_CYCLE_1)
	s_or_b32 s4, s2, s3
; %bb.304:
	s_or_b32 exec_lo, exec_lo, s5
	s_and_saveexec_b32 s2, s4
	s_cbranch_execz .LBB12_306
; %bb.305:
	v_and_b32_e32 v3, 0xffff, v2
	v_lshlrev_b32_e32 v2, 24, v2
	s_delay_alu instid0(VALU_DEP_2) | instskip(NEXT) | instid1(VALU_DEP_2)
	v_and_b32_e32 v4, 7, v3
	v_and_b32_e32 v2, 0x80000000, v2
	s_delay_alu instid0(VALU_DEP_2) | instskip(NEXT) | instid1(VALU_DEP_1)
	v_clz_i32_u32_e32 v5, v4
	v_min_u32_e32 v5, 32, v5
	s_delay_alu instid0(VALU_DEP_1) | instskip(SKIP_1) | instid1(VALU_DEP_2)
	v_subrev_nc_u32_e32 v6, 28, v5
	v_sub_nc_u32_e32 v5, 29, v5
	v_lshlrev_b32_e32 v6, v6, v3
	v_bfe_u32 v3, v3, 3, 4
	s_delay_alu instid0(VALU_DEP_2) | instskip(NEXT) | instid1(VALU_DEP_2)
	v_and_b32_e32 v6, 7, v6
	v_cmp_eq_u32_e32 vcc_lo, 0, v3
	s_delay_alu instid0(VALU_DEP_2) | instskip(NEXT) | instid1(VALU_DEP_1)
	v_dual_cndmask_b32 v3, v3, v5 :: v_dual_cndmask_b32 v4, v4, v6
	v_lshl_add_u32 v3, v3, 23, 0x3b800000
	s_delay_alu instid0(VALU_DEP_2) | instskip(NEXT) | instid1(VALU_DEP_1)
	v_lshlrev_b32_e32 v4, 20, v4
	v_or3_b32 v2, v2, v3, v4
	s_delay_alu instid0(VALU_DEP_1)
	v_cvt_f64_f32_e32 v[45:46], v2
.LBB12_306:
	s_or_b32 exec_lo, exec_lo, s2
.LBB12_307:
	s_mov_b32 s2, -1
.LBB12_308:
	s_mov_b32 s3, 0
.LBB12_309:
	s_delay_alu instid0(SALU_CYCLE_1)
	s_and_b32 vcc_lo, exec_lo, s3
	s_cbranch_vccz .LBB12_342
; %bb.310:
	v_cmp_gt_i16_e64 s3, s72, 22
	s_delay_alu instid0(VALU_DEP_1)
	s_and_b32 vcc_lo, exec_lo, s3
	s_cbranch_vccz .LBB12_322
; %bb.311:
	v_cmp_lt_i16_e64 s2, s72, 24
	s_delay_alu instid0(VALU_DEP_1)
	s_and_b32 vcc_lo, exec_lo, s2
	s_cbranch_vccnz .LBB12_323
; %bb.312:
	v_cmp_gt_i16_e64 s2, s72, 24
	s_delay_alu instid0(VALU_DEP_1)
	s_and_b32 vcc_lo, exec_lo, s2
	s_cbranch_vccz .LBB12_324
; %bb.313:
	global_load_u8 v2, v[0:1], off
	s_mov_b32 s4, 0
	s_mov_b32 s5, exec_lo
                                        ; implicit-def: $sgpr2_sgpr3
	s_waitcnt vmcnt(0)
	v_cmpx_lt_i16_e32 0x7f, v2
	s_xor_b32 s5, exec_lo, s5
	s_cbranch_execz .LBB12_317
; %bb.314:
	s_mov_b32 s6, -1
	s_mov_b32 s4, exec_lo
                                        ; implicit-def: $sgpr2_sgpr3
	v_cmpx_eq_u16_e32 0x80, v2
; %bb.315:
	s_mov_b32 s3, 0x7ff80000
	s_brev_b32 s2, 4
	s_xor_b32 s6, exec_lo, -1
; %bb.316:
	s_or_b32 exec_lo, exec_lo, s4
	s_delay_alu instid0(SALU_CYCLE_1)
	s_and_b32 s4, s6, exec_lo
.LBB12_317:
	s_or_saveexec_b32 s5, s5
	v_dual_mov_b32 v46, s3 :: v_dual_mov_b32 v45, s2
	s_xor_b32 exec_lo, exec_lo, s5
; %bb.318:
	v_cmp_ne_u16_e32 vcc_lo, 0, v2
	v_mov_b32_e32 v45, 0
	v_mov_b32_e32 v46, 0
	s_and_not1_b32 s2, s4, exec_lo
	s_and_b32 s3, vcc_lo, exec_lo
	s_delay_alu instid0(SALU_CYCLE_1)
	s_or_b32 s4, s2, s3
; %bb.319:
	s_or_b32 exec_lo, exec_lo, s5
	s_and_saveexec_b32 s2, s4
	s_cbranch_execz .LBB12_321
; %bb.320:
	v_and_b32_e32 v3, 0xffff, v2
	v_lshlrev_b32_e32 v2, 24, v2
	s_delay_alu instid0(VALU_DEP_2) | instskip(NEXT) | instid1(VALU_DEP_2)
	v_and_b32_e32 v4, 3, v3
	v_and_b32_e32 v2, 0x80000000, v2
	s_delay_alu instid0(VALU_DEP_2) | instskip(NEXT) | instid1(VALU_DEP_1)
	v_clz_i32_u32_e32 v5, v4
	v_min_u32_e32 v5, 32, v5
	s_delay_alu instid0(VALU_DEP_1) | instskip(SKIP_1) | instid1(VALU_DEP_2)
	v_subrev_nc_u32_e32 v6, 29, v5
	v_sub_nc_u32_e32 v5, 30, v5
	v_lshlrev_b32_e32 v6, v6, v3
	v_bfe_u32 v3, v3, 2, 5
	s_delay_alu instid0(VALU_DEP_2) | instskip(NEXT) | instid1(VALU_DEP_2)
	v_and_b32_e32 v6, 3, v6
	v_cmp_eq_u32_e32 vcc_lo, 0, v3
	s_delay_alu instid0(VALU_DEP_2) | instskip(NEXT) | instid1(VALU_DEP_1)
	v_dual_cndmask_b32 v3, v3, v5 :: v_dual_cndmask_b32 v4, v4, v6
	v_lshl_add_u32 v3, v3, 23, 0x37800000
	s_delay_alu instid0(VALU_DEP_2) | instskip(NEXT) | instid1(VALU_DEP_1)
	v_lshlrev_b32_e32 v4, 21, v4
	v_or3_b32 v2, v2, v3, v4
	s_delay_alu instid0(VALU_DEP_1)
	v_cvt_f64_f32_e32 v[45:46], v2
.LBB12_321:
	s_or_b32 exec_lo, exec_lo, s2
	s_mov_b32 s2, 0
	s_branch .LBB12_325
.LBB12_322:
	s_mov_b32 s3, -1
                                        ; implicit-def: $vgpr45_vgpr46
	s_branch .LBB12_331
.LBB12_323:
	s_mov_b32 s2, -1
                                        ; implicit-def: $vgpr45_vgpr46
	s_branch .LBB12_328
.LBB12_324:
	s_mov_b32 s2, -1
                                        ; implicit-def: $vgpr45_vgpr46
.LBB12_325:
	s_delay_alu instid0(SALU_CYCLE_1)
	s_and_b32 vcc_lo, exec_lo, s2
	s_cbranch_vccz .LBB12_327
; %bb.326:
	global_load_u8 v2, v[0:1], off
	s_waitcnt vmcnt(0)
	v_lshlrev_b32_e32 v2, 24, v2
	s_delay_alu instid0(VALU_DEP_1) | instskip(NEXT) | instid1(VALU_DEP_1)
	v_and_b32_e32 v3, 0x7f000000, v2
	v_clz_i32_u32_e32 v4, v3
	v_add_nc_u32_e32 v6, 0x1000000, v3
	v_cmp_ne_u32_e32 vcc_lo, 0, v3
	s_delay_alu instid0(VALU_DEP_3) | instskip(NEXT) | instid1(VALU_DEP_1)
	v_min_u32_e32 v4, 32, v4
	v_sub_nc_u32_e64 v4, v4, 4 clamp
	s_delay_alu instid0(VALU_DEP_1) | instskip(SKIP_1) | instid1(VALU_DEP_2)
	v_lshlrev_b32_e32 v5, v4, v3
	v_lshlrev_b32_e32 v4, 23, v4
	v_lshrrev_b32_e32 v5, 4, v5
	s_delay_alu instid0(VALU_DEP_1) | instskip(SKIP_1) | instid1(VALU_DEP_2)
	v_sub_nc_u32_e32 v4, v5, v4
	v_ashrrev_i32_e32 v5, 8, v6
	v_add_nc_u32_e32 v4, 0x3c000000, v4
	s_delay_alu instid0(VALU_DEP_1) | instskip(NEXT) | instid1(VALU_DEP_1)
	v_and_or_b32 v4, 0x7f800000, v5, v4
	v_cndmask_b32_e32 v3, 0, v4, vcc_lo
	s_delay_alu instid0(VALU_DEP_1) | instskip(NEXT) | instid1(VALU_DEP_1)
	v_and_or_b32 v2, 0x80000000, v2, v3
	v_cvt_f64_f32_e32 v[45:46], v2
.LBB12_327:
	s_mov_b32 s2, 0
.LBB12_328:
	s_delay_alu instid0(SALU_CYCLE_1)
	s_and_not1_b32 vcc_lo, exec_lo, s2
	s_cbranch_vccnz .LBB12_330
; %bb.329:
	global_load_u8 v2, v[0:1], off
	s_waitcnt vmcnt(0)
	v_lshlrev_b32_e32 v3, 25, v2
	v_lshlrev_b16 v2, 8, v2
	s_delay_alu instid0(VALU_DEP_2) | instskip(NEXT) | instid1(VALU_DEP_2)
	v_lshrrev_b32_e32 v4, 4, v3
	v_and_or_b32 v5, 0x7f00, v2, 0.5
	v_bfe_i32 v2, v2, 0, 16
	s_delay_alu instid0(VALU_DEP_3) | instskip(NEXT) | instid1(VALU_DEP_1)
	v_or_b32_e32 v4, 0x70000000, v4
	v_dual_add_f32 v5, -0.5, v5 :: v_dual_mul_f32 v4, 0x7800000, v4
	v_cmp_gt_u32_e32 vcc_lo, 0x8000000, v3
	s_delay_alu instid0(VALU_DEP_2) | instskip(NEXT) | instid1(VALU_DEP_1)
	v_cndmask_b32_e32 v3, v4, v5, vcc_lo
	v_and_or_b32 v2, 0x80000000, v2, v3
	s_delay_alu instid0(VALU_DEP_1)
	v_cvt_f64_f32_e32 v[45:46], v2
.LBB12_330:
	s_mov_b32 s3, 0
	s_mov_b32 s2, -1
.LBB12_331:
	s_and_not1_b32 vcc_lo, exec_lo, s3
	s_cbranch_vccnz .LBB12_342
; %bb.332:
	v_cmp_gt_i16_e64 s3, s72, 14
	s_delay_alu instid0(VALU_DEP_1)
	s_and_b32 vcc_lo, exec_lo, s3
	s_cbranch_vccz .LBB12_335
; %bb.333:
	v_cmp_eq_u16_e64 s3, s72, 15
	s_delay_alu instid0(VALU_DEP_1)
	s_and_b32 vcc_lo, exec_lo, s3
	s_cbranch_vccz .LBB12_336
; %bb.334:
	global_load_u16 v2, v[0:1], off
	s_mov_b32 s2, -1
	s_mov_b32 s79, 0
	s_waitcnt vmcnt(0)
	v_lshlrev_b32_e32 v2, 16, v2
	s_delay_alu instid0(VALU_DEP_1)
	v_cvt_f64_f32_e32 v[45:46], v2
	s_branch .LBB12_337
.LBB12_335:
	s_mov_b32 s3, -1
                                        ; implicit-def: $vgpr45_vgpr46
	s_branch .LBB12_338
.LBB12_336:
	s_mov_b32 s79, -1
                                        ; implicit-def: $vgpr45_vgpr46
.LBB12_337:
	s_mov_b32 s3, 0
.LBB12_338:
	s_delay_alu instid0(SALU_CYCLE_1)
	s_and_b32 vcc_lo, exec_lo, s3
	s_cbranch_vccz .LBB12_342
; %bb.339:
	v_cmp_eq_u16_e64 s3, s72, 11
	s_delay_alu instid0(VALU_DEP_1)
	s_and_b32 vcc_lo, exec_lo, s3
	s_cbranch_vccz .LBB12_341
; %bb.340:
	global_load_u8 v2, v[0:1], off
	v_mov_b32_e32 v45, 0
	s_mov_b32 s79, 0
	s_mov_b32 s2, -1
	s_waitcnt vmcnt(0)
	v_cmp_ne_u16_e32 vcc_lo, 0, v2
	v_cndmask_b32_e64 v46, 0, 0x3ff00000, vcc_lo
	s_branch .LBB12_342
.LBB12_341:
	s_mov_b32 s79, -1
                                        ; implicit-def: $vgpr45_vgpr46
.LBB12_342:
	s_branch .LBB12_30
.LBB12_343:
	v_cmp_lt_i16_e64 s2, s72, 5
	s_delay_alu instid0(VALU_DEP_1)
	s_and_b32 vcc_lo, exec_lo, s2
	s_cbranch_vccnz .LBB12_348
; %bb.344:
	v_cmp_lt_i16_e64 s2, s72, 8
	s_delay_alu instid0(VALU_DEP_1)
	s_and_b32 vcc_lo, exec_lo, s2
	s_cbranch_vccnz .LBB12_349
; %bb.345:
	;; [unrolled: 5-line block ×3, first 2 shown]
	v_cmp_gt_i16_e64 s2, s72, 9
	s_delay_alu instid0(VALU_DEP_1)
	s_and_b32 vcc_lo, exec_lo, s2
	s_cbranch_vccz .LBB12_351
; %bb.347:
	global_load_b64 v[45:46], v[0:1], off
	s_mov_b32 s2, 0
	s_branch .LBB12_352
.LBB12_348:
	s_mov_b32 s2, -1
                                        ; implicit-def: $vgpr45_vgpr46
	s_branch .LBB12_370
.LBB12_349:
	s_mov_b32 s2, -1
                                        ; implicit-def: $vgpr45_vgpr46
	s_branch .LBB12_358
.LBB12_350:
	s_mov_b32 s2, -1
                                        ; implicit-def: $vgpr45_vgpr46
	s_branch .LBB12_355
.LBB12_351:
	s_mov_b32 s2, -1
                                        ; implicit-def: $vgpr45_vgpr46
.LBB12_352:
	s_delay_alu instid0(SALU_CYCLE_1)
	s_and_not1_b32 vcc_lo, exec_lo, s2
	s_cbranch_vccnz .LBB12_354
; %bb.353:
	global_load_b32 v2, v[0:1], off
	s_waitcnt vmcnt(0)
	v_cvt_f64_f32_e32 v[45:46], v2
.LBB12_354:
	s_mov_b32 s2, 0
.LBB12_355:
	s_delay_alu instid0(SALU_CYCLE_1)
	s_and_not1_b32 vcc_lo, exec_lo, s2
	s_cbranch_vccnz .LBB12_357
; %bb.356:
	global_load_b32 v2, v[0:1], off
	s_waitcnt vmcnt(0)
	v_cvt_f32_f16_e32 v2, v2
	s_delay_alu instid0(VALU_DEP_1)
	v_cvt_f64_f32_e32 v[45:46], v2
.LBB12_357:
	s_mov_b32 s2, 0
.LBB12_358:
	s_delay_alu instid0(SALU_CYCLE_1)
	s_and_not1_b32 vcc_lo, exec_lo, s2
	s_cbranch_vccnz .LBB12_369
; %bb.359:
	v_cmp_lt_i16_e64 s2, s72, 6
	s_delay_alu instid0(VALU_DEP_1)
	s_and_b32 vcc_lo, exec_lo, s2
	s_cbranch_vccnz .LBB12_362
; %bb.360:
	v_cmp_gt_i16_e64 s2, s72, 6
	s_delay_alu instid0(VALU_DEP_1)
	s_and_b32 vcc_lo, exec_lo, s2
	s_cbranch_vccz .LBB12_363
; %bb.361:
	global_load_b64 v[45:46], v[0:1], off
	s_mov_b32 s2, 0
	s_branch .LBB12_364
.LBB12_362:
	s_mov_b32 s2, -1
                                        ; implicit-def: $vgpr45_vgpr46
	s_branch .LBB12_367
.LBB12_363:
	s_mov_b32 s2, -1
                                        ; implicit-def: $vgpr45_vgpr46
.LBB12_364:
	s_delay_alu instid0(SALU_CYCLE_1)
	s_and_not1_b32 vcc_lo, exec_lo, s2
	s_cbranch_vccnz .LBB12_366
; %bb.365:
	global_load_b32 v2, v[0:1], off
	s_waitcnt vmcnt(0)
	v_cvt_f64_f32_e32 v[45:46], v2
.LBB12_366:
	s_mov_b32 s2, 0
.LBB12_367:
	s_delay_alu instid0(SALU_CYCLE_1)
	s_and_not1_b32 vcc_lo, exec_lo, s2
	s_cbranch_vccnz .LBB12_369
; %bb.368:
	global_load_u16 v2, v[0:1], off
	s_waitcnt vmcnt(0)
	v_cvt_f32_f16_e32 v2, v2
	s_delay_alu instid0(VALU_DEP_1)
	v_cvt_f64_f32_e32 v[45:46], v2
.LBB12_369:
	s_mov_b32 s2, 0
.LBB12_370:
	s_delay_alu instid0(SALU_CYCLE_1)
	s_and_not1_b32 vcc_lo, exec_lo, s2
	s_cbranch_vccnz .LBB12_390
; %bb.371:
	v_cmp_lt_i16_e64 s2, s72, 2
	s_delay_alu instid0(VALU_DEP_1)
	s_and_b32 vcc_lo, exec_lo, s2
	s_cbranch_vccnz .LBB12_375
; %bb.372:
	v_cmp_lt_i16_e64 s2, s72, 3
	s_delay_alu instid0(VALU_DEP_1)
	s_and_b32 vcc_lo, exec_lo, s2
	s_cbranch_vccnz .LBB12_376
; %bb.373:
	v_cmp_gt_i16_e64 s2, s72, 3
	s_delay_alu instid0(VALU_DEP_1)
	s_and_b32 vcc_lo, exec_lo, s2
	s_cbranch_vccz .LBB12_377
; %bb.374:
	global_load_b64 v[2:3], v[0:1], off
	s_mov_b32 s2, 0
	s_waitcnt vmcnt(0)
	v_cvt_f64_i32_e32 v[3:4], v3
	v_cvt_f64_u32_e32 v[5:6], v2
	s_delay_alu instid0(VALU_DEP_2) | instskip(NEXT) | instid1(VALU_DEP_1)
	v_ldexp_f64 v[3:4], v[3:4], 32
	v_add_f64 v[45:46], v[3:4], v[5:6]
	s_branch .LBB12_378
.LBB12_375:
	s_mov_b32 s2, -1
                                        ; implicit-def: $vgpr45_vgpr46
	s_branch .LBB12_384
.LBB12_376:
	s_mov_b32 s2, -1
                                        ; implicit-def: $vgpr45_vgpr46
	s_branch .LBB12_381
.LBB12_377:
	s_mov_b32 s2, -1
                                        ; implicit-def: $vgpr45_vgpr46
.LBB12_378:
	s_delay_alu instid0(SALU_CYCLE_1)
	s_and_not1_b32 vcc_lo, exec_lo, s2
	s_cbranch_vccnz .LBB12_380
; %bb.379:
	global_load_b32 v2, v[0:1], off
	s_waitcnt vmcnt(0)
	v_cvt_f64_i32_e32 v[45:46], v2
.LBB12_380:
	s_mov_b32 s2, 0
.LBB12_381:
	s_delay_alu instid0(SALU_CYCLE_1)
	s_and_not1_b32 vcc_lo, exec_lo, s2
	s_cbranch_vccnz .LBB12_383
; %bb.382:
	global_load_i16 v2, v[0:1], off
	s_waitcnt vmcnt(0)
	v_cvt_f64_i32_e32 v[45:46], v2
.LBB12_383:
	s_mov_b32 s2, 0
.LBB12_384:
	s_delay_alu instid0(SALU_CYCLE_1)
	s_and_not1_b32 vcc_lo, exec_lo, s2
	s_cbranch_vccnz .LBB12_390
; %bb.385:
	v_cmp_gt_i16_e64 s2, s72, 0
	s_delay_alu instid0(VALU_DEP_1)
	s_and_b32 vcc_lo, exec_lo, s2
	s_mov_b32 s2, 0
	s_cbranch_vccz .LBB12_387
; %bb.386:
	global_load_i8 v2, v[0:1], off
	s_waitcnt vmcnt(0)
	v_cvt_f64_i32_e32 v[45:46], v2
	s_branch .LBB12_388
.LBB12_387:
	s_mov_b32 s2, -1
                                        ; implicit-def: $vgpr45_vgpr46
.LBB12_388:
	s_delay_alu instid0(SALU_CYCLE_1)
	s_and_not1_b32 vcc_lo, exec_lo, s2
	s_cbranch_vccnz .LBB12_390
; %bb.389:
	global_load_u8 v0, v[0:1], off
	s_waitcnt vmcnt(0)
	v_cvt_f64_u32_e32 v[45:46], v0
.LBB12_390:
	s_branch .LBB12_31
.LBB12_391:
	s_mov_b32 s2, 0
.LBB12_392:
	s_mov_b32 s3, 0
                                        ; implicit-def: $vgpr47
.LBB12_393:
	s_and_b32 s78, s2, exec_lo
	s_and_b32 s79, s79, exec_lo
	;; [unrolled: 1-line block ×3, first 2 shown]
	s_or_not1_b32 s3, s3, exec_lo
.LBB12_394:
	s_or_b32 exec_lo, exec_lo, s81
	s_mov_b32 s4, 0
	s_mov_b32 s2, 0
                                        ; implicit-def: $vgpr3
                                        ; implicit-def: $vgpr1_vgpr2
                                        ; implicit-def: $vgpr56
                                        ; implicit-def: $vgpr0
                                        ; implicit-def: $vgpr43_vgpr44
	s_and_saveexec_b32 s81, s3
	s_cbranch_execz .LBB12_1296
; %bb.395:
	s_mov_b32 s4, -1
	s_mov_b32 s82, s80
	s_mov_b32 s84, s79
	;; [unrolled: 1-line block ×3, first 2 shown]
	s_mov_b32 s85, exec_lo
	v_cmpx_gt_i32_e64 s76, v47
	s_cbranch_execz .LBB12_721
; %bb.396:
	s_and_not1_b32 vcc_lo, exec_lo, s68
	s_cbranch_vccnz .LBB12_402
; %bb.397:
	v_dual_mov_b32 v56, 0 :: v_dual_mov_b32 v1, 0
	v_mov_b32_e32 v0, 0
	s_and_not1_b32 vcc_lo, exec_lo, s77
	s_mov_b32 s4, 0
	s_cbranch_vccnz .LBB12_403
; %bb.398:
	s_add_i32 s2, s75, 1
	v_dual_mov_b32 v0, 0 :: v_dual_mov_b32 v1, 0
	v_mov_b32_e32 v56, 0
	v_mov_b32_e32 v2, v47
	s_and_b32 s5, s2, 30
	s_add_u32 s2, s56, 0xffffffec
	s_addc_u32 s3, s57, -1
	s_set_inst_prefetch_distance 0x1
	.p2align	6
.LBB12_399:                             ; =>This Inner Loop Header: Depth=1
	s_clause 0x2
	s_load_b128 s[8:11], s[2:3], 0x18
	s_load_b64 s[6:7], s[2:3], 0x28
	s_load_b128 s[12:15], s[2:3], 0xd8
	s_waitcnt lgkmcnt(0)
	v_mul_hi_u32 v3, s9, v2
	s_delay_alu instid0(VALU_DEP_1) | instskip(NEXT) | instid1(VALU_DEP_1)
	v_add_nc_u32_e32 v3, v2, v3
	v_lshrrev_b32_e32 v3, s10, v3
	s_delay_alu instid0(VALU_DEP_1)
	v_mul_hi_u32 v4, s6, v3
	v_mul_lo_u32 v5, v3, s8
	s_load_b64 s[8:9], s[2:3], 0xe8
	s_add_u32 s2, s2, 24
	s_addc_u32 s3, s3, 0
	s_add_i32 s5, s5, -2
	s_delay_alu instid0(SALU_CYCLE_1) | instskip(NEXT) | instid1(VALU_DEP_2)
	s_cmp_eq_u32 s5, 0
	v_add_nc_u32_e32 v4, v3, v4
	s_delay_alu instid0(VALU_DEP_2) | instskip(NEXT) | instid1(VALU_DEP_2)
	v_sub_nc_u32_e32 v5, v2, v5
	v_lshrrev_b32_e32 v2, s7, v4
	s_delay_alu instid0(VALU_DEP_2) | instskip(NEXT) | instid1(VALU_DEP_2)
	v_mul_lo_u32 v6, v5, s12
	v_mul_lo_u32 v4, v2, s11
	s_delay_alu instid0(VALU_DEP_1) | instskip(SKIP_2) | instid1(VALU_DEP_3)
	v_sub_nc_u32_e32 v3, v3, v4
	v_mul_lo_u32 v4, v5, s13
	v_mul_lo_u32 v5, v5, s14
	;; [unrolled: 1-line block ×3, first 2 shown]
	s_waitcnt lgkmcnt(0)
	v_mul_lo_u32 v8, v3, s8
	v_mul_lo_u32 v3, v3, s9
	s_delay_alu instid0(VALU_DEP_3) | instskip(NEXT) | instid1(VALU_DEP_3)
	v_add3_u32 v56, v6, v56, v7
	v_add3_u32 v1, v4, v1, v8
	s_delay_alu instid0(VALU_DEP_3)
	v_add3_u32 v0, v5, v0, v3
	s_cbranch_scc0 .LBB12_399
; %bb.400:
	s_set_inst_prefetch_distance 0x2
	s_bitcmp1_b32 s75, 0
	s_cselect_b32 s5, -1, 0
	s_delay_alu instid0(SALU_CYCLE_1)
	s_and_b32 vcc_lo, exec_lo, s5
	s_cbranch_vccnz .LBB12_403
; %bb.401:
	s_clause 0x3
	s_load_b64 s[6:7], s[2:3], 0x18
	s_load_b32 s5, s[2:3], 0x20
	s_load_b64 s[8:9], s[2:3], 0xd8
	s_load_b32 s2, s[2:3], 0xe0
	s_waitcnt lgkmcnt(0)
	v_mul_hi_u32 v3, s7, v2
	s_delay_alu instid0(VALU_DEP_1) | instskip(NEXT) | instid1(VALU_DEP_1)
	v_add_nc_u32_e32 v3, v2, v3
	v_lshrrev_b32_e32 v3, s5, v3
	s_delay_alu instid0(VALU_DEP_1) | instskip(NEXT) | instid1(VALU_DEP_1)
	v_mul_lo_u32 v3, v3, s6
	v_sub_nc_u32_e32 v6, v2, v3
	s_delay_alu instid0(VALU_DEP_1) | instskip(NEXT) | instid1(VALU_DEP_1)
	v_mad_u64_u32 v[2:3], null, v6, s8, v[56:57]
	v_mad_u64_u32 v[3:4], null, v6, s9, v[1:2]
	;; [unrolled: 1-line block ×3, first 2 shown]
	s_delay_alu instid0(VALU_DEP_2) | instskip(NEXT) | instid1(VALU_DEP_2)
	v_dual_mov_b32 v56, v2 :: v_dual_mov_b32 v1, v3
	v_mov_b32_e32 v0, v4
	s_branch .LBB12_403
.LBB12_402:
                                        ; implicit-def: $vgpr56
                                        ; implicit-def: $vgpr1
                                        ; implicit-def: $vgpr0
.LBB12_403:
	s_and_not1_b32 vcc_lo, exec_lo, s4
	s_cbranch_vccnz .LBB12_406
; %bb.404:
	v_mul_hi_u32 v0, s53, v47
	s_and_not1_b32 vcc_lo, exec_lo, s74
	s_delay_alu instid0(VALU_DEP_1) | instskip(NEXT) | instid1(VALU_DEP_1)
	v_add_nc_u32_e32 v0, v47, v0
	v_lshrrev_b32_e32 v2, s54, v0
	s_delay_alu instid0(VALU_DEP_1) | instskip(NEXT) | instid1(VALU_DEP_1)
	v_mul_lo_u32 v0, v2, s52
	v_sub_nc_u32_e32 v0, v47, v0
	s_delay_alu instid0(VALU_DEP_1)
	v_mul_lo_u32 v56, v0, s48
	v_mul_lo_u32 v1, v0, s49
	;; [unrolled: 1-line block ×3, first 2 shown]
	s_cbranch_vccnz .LBB12_406
; %bb.405:
	v_mul_hi_u32 v3, s62, v2
	s_delay_alu instid0(VALU_DEP_1) | instskip(NEXT) | instid1(VALU_DEP_1)
	v_add_nc_u32_e32 v3, v2, v3
	v_lshrrev_b32_e32 v3, s63, v3
	s_delay_alu instid0(VALU_DEP_1) | instskip(NEXT) | instid1(VALU_DEP_1)
	v_mul_lo_u32 v3, v3, s55
	v_sub_nc_u32_e32 v6, v2, v3
	s_delay_alu instid0(VALU_DEP_1) | instskip(NEXT) | instid1(VALU_DEP_1)
	v_mad_u64_u32 v[2:3], null, v6, s51, v[56:57]
	v_mad_u64_u32 v[3:4], null, v6, s60, v[1:2]
	;; [unrolled: 1-line block ×3, first 2 shown]
	s_delay_alu instid0(VALU_DEP_2) | instskip(NEXT) | instid1(VALU_DEP_2)
	v_dual_mov_b32 v56, v2 :: v_dual_mov_b32 v1, v3
	v_mov_b32_e32 v0, v4
.LBB12_406:
	v_and_b32_e64 v3, 0xff, s73
	s_delay_alu instid0(VALU_DEP_3) | instskip(NEXT) | instid1(VALU_DEP_1)
	v_add_co_u32 v1, s2, s46, v1
	v_add_co_ci_u32_e64 v2, null, s47, 0, s2
	s_delay_alu instid0(VALU_DEP_3)
	v_cmp_gt_i16_e32 vcc_lo, 11, v3
	s_mov_b32 s2, 0
	s_cbranch_vccnz .LBB12_413
; %bb.407:
	v_cmp_lt_i16_e32 vcc_lo, 25, v3
	s_cbranch_vccz .LBB12_422
; %bb.408:
	v_cmp_lt_i16_e32 vcc_lo, 28, v3
	s_cbranch_vccz .LBB12_424
	;; [unrolled: 3-line block ×4, first 2 shown]
; %bb.411:
	v_cmp_eq_u16_e32 vcc_lo, 46, v3
	s_mov_b32 s3, 0
	s_cbranch_vccz .LBB12_430
; %bb.412:
	global_load_b32 v4, v[1:2], off
	s_mov_b32 s2, -1
	s_mov_b32 s82, 0
	s_waitcnt vmcnt(0)
	v_lshlrev_b32_e32 v4, 16, v4
	s_delay_alu instid0(VALU_DEP_1)
	v_cvt_f64_f32_e32 v[43:44], v4
	s_branch .LBB12_432
.LBB12_413:
	s_mov_b32 s82, s80
                                        ; implicit-def: $vgpr43_vgpr44
	s_cbranch_execnz .LBB12_498
.LBB12_414:
	s_and_not1_b32 vcc_lo, exec_lo, s2
	s_cbranch_vccnz .LBB12_546
.LBB12_415:
	v_cmp_lt_i16_e64 s2, s72, 11
	v_add_co_u32 v0, s3, s58, v0
	s_delay_alu instid0(VALU_DEP_1) | instskip(NEXT) | instid1(VALU_DEP_3)
	v_add_co_ci_u32_e64 v1, null, s59, 0, s3
	s_and_b32 vcc_lo, exec_lo, s2
	s_mov_b32 s2, 0
	s_cbranch_vccnz .LBB12_423
; %bb.416:
	v_cmp_gt_i16_e64 s2, s72, 25
	s_delay_alu instid0(VALU_DEP_1)
	s_and_b32 vcc_lo, exec_lo, s2
	s_cbranch_vccz .LBB12_425
; %bb.417:
	v_cmp_gt_i16_e64 s2, s72, 28
	s_delay_alu instid0(VALU_DEP_1)
	s_and_b32 vcc_lo, exec_lo, s2
	s_cbranch_vccz .LBB12_427
	;; [unrolled: 5-line block ×4, first 2 shown]
; %bb.420:
	v_cmp_eq_u16_e64 s2, s72, 46
	s_mov_b32 s3, 0
	s_delay_alu instid0(VALU_DEP_1)
	s_and_b32 vcc_lo, exec_lo, s2
	s_cbranch_vccz .LBB12_549
; %bb.421:
	global_load_b32 v2, v[0:1], off
	s_mov_b32 s2, -1
	s_mov_b32 s84, 0
	s_waitcnt vmcnt(0)
	v_lshlrev_b32_e32 v2, 16, v2
	s_delay_alu instid0(VALU_DEP_1)
	v_cvt_f64_f32_e32 v[45:46], v2
	s_branch .LBB12_551
.LBB12_422:
	s_mov_b32 s3, -1
	s_mov_b32 s82, s80
                                        ; implicit-def: $vgpr43_vgpr44
	s_branch .LBB12_464
.LBB12_423:
	s_mov_b32 s3, -1
	s_mov_b32 s84, s79
                                        ; implicit-def: $vgpr45_vgpr46
	s_branch .LBB12_616
.LBB12_424:
	s_mov_b32 s3, -1
	s_mov_b32 s82, s80
                                        ; implicit-def: $vgpr43_vgpr44
	s_branch .LBB12_443
.LBB12_425:
	s_mov_b32 s3, -1
	s_mov_b32 s2, 0
	s_mov_b32 s84, s79
                                        ; implicit-def: $vgpr45_vgpr46
	s_branch .LBB12_582
.LBB12_426:
	s_mov_b32 s3, -1
	s_mov_b32 s82, s80
                                        ; implicit-def: $vgpr43_vgpr44
	s_branch .LBB12_438
.LBB12_427:
	s_mov_b32 s3, -1
	s_mov_b32 s2, 0
	s_mov_b32 s84, s79
                                        ; implicit-def: $vgpr45_vgpr46
	s_branch .LBB12_561
.LBB12_428:
	s_mov_b32 s3, -1
	s_mov_b32 s82, s80
	s_branch .LBB12_431
.LBB12_429:
	s_mov_b32 s3, -1
	s_mov_b32 s2, 0
	s_mov_b32 s84, s79
                                        ; implicit-def: $vgpr45_vgpr46
	s_branch .LBB12_556
.LBB12_430:
	s_mov_b32 s82, -1
.LBB12_431:
                                        ; implicit-def: $vgpr43_vgpr44
.LBB12_432:
	s_and_b32 vcc_lo, exec_lo, s3
	s_cbranch_vccz .LBB12_437
; %bb.433:
	v_cmp_eq_u16_e32 vcc_lo, 44, v3
	s_cbranch_vccz .LBB12_436
; %bb.434:
	global_load_u8 v6, v[1:2], off
	s_mov_b32 s82, 0
	s_mov_b32 s2, -1
	s_waitcnt vmcnt(0)
	v_cmp_ne_u32_e32 vcc_lo, 0xff, v6
	v_lshlrev_b32_e32 v4, 23, v6
	s_delay_alu instid0(VALU_DEP_1) | instskip(NEXT) | instid1(VALU_DEP_1)
	v_cvt_f64_f32_e32 v[4:5], v4
	v_cndmask_b32_e32 v5, 0x7ff80000, v5, vcc_lo
	s_delay_alu instid0(VALU_DEP_2) | instskip(SKIP_1) | instid1(VALU_DEP_3)
	v_cndmask_b32_e32 v4, 0x20000000, v4, vcc_lo
	v_cmp_ne_u32_e32 vcc_lo, 0, v6
	v_cndmask_b32_e32 v44, 0x38000000, v5, vcc_lo
	s_delay_alu instid0(VALU_DEP_3)
	v_cndmask_b32_e32 v43, 0, v4, vcc_lo
	s_branch .LBB12_437
.LBB12_435:
	s_mov_b32 s3, -1
	s_mov_b32 s2, 0
	s_mov_b32 s84, s79
	s_branch .LBB12_550
.LBB12_436:
	s_mov_b32 s82, -1
                                        ; implicit-def: $vgpr43_vgpr44
.LBB12_437:
	s_mov_b32 s3, 0
.LBB12_438:
	s_delay_alu instid0(SALU_CYCLE_1)
	s_and_b32 vcc_lo, exec_lo, s3
	s_cbranch_vccz .LBB12_442
; %bb.439:
	v_cmp_eq_u16_e32 vcc_lo, 29, v3
	s_cbranch_vccz .LBB12_441
; %bb.440:
	global_load_b64 v[4:5], v[1:2], off
	s_mov_b32 s2, -1
	s_mov_b32 s82, 0
	s_mov_b32 s3, 0
	s_waitcnt vmcnt(0)
	v_cvt_f64_u32_e32 v[5:6], v5
	v_cvt_f64_u32_e32 v[7:8], v4
	s_delay_alu instid0(VALU_DEP_2) | instskip(NEXT) | instid1(VALU_DEP_1)
	v_ldexp_f64 v[5:6], v[5:6], 32
	v_add_f64 v[43:44], v[5:6], v[7:8]
	s_branch .LBB12_443
.LBB12_441:
	s_mov_b32 s82, -1
                                        ; implicit-def: $vgpr43_vgpr44
.LBB12_442:
	s_mov_b32 s3, 0
.LBB12_443:
	s_delay_alu instid0(SALU_CYCLE_1)
	s_and_b32 vcc_lo, exec_lo, s3
	s_cbranch_vccz .LBB12_463
; %bb.444:
	v_cmp_gt_i16_e32 vcc_lo, 27, v3
	s_cbranch_vccnz .LBB12_447
; %bb.445:
	v_cmp_lt_i16_e32 vcc_lo, 27, v3
	s_cbranch_vccz .LBB12_448
; %bb.446:
	global_load_b32 v4, v[1:2], off
	s_mov_b32 s2, 0
	s_waitcnt vmcnt(0)
	v_cvt_f64_u32_e32 v[43:44], v4
	s_branch .LBB12_449
.LBB12_447:
	s_mov_b32 s2, -1
                                        ; implicit-def: $vgpr43_vgpr44
	s_branch .LBB12_452
.LBB12_448:
	s_mov_b32 s2, -1
                                        ; implicit-def: $vgpr43_vgpr44
.LBB12_449:
	s_delay_alu instid0(SALU_CYCLE_1)
	s_and_not1_b32 vcc_lo, exec_lo, s2
	s_cbranch_vccnz .LBB12_451
; %bb.450:
	global_load_u16 v4, v[1:2], off
	s_waitcnt vmcnt(0)
	v_cvt_f64_u32_e32 v[43:44], v4
.LBB12_451:
	s_mov_b32 s2, 0
.LBB12_452:
	s_delay_alu instid0(SALU_CYCLE_1)
	s_and_not1_b32 vcc_lo, exec_lo, s2
	s_cbranch_vccnz .LBB12_462
; %bb.453:
	global_load_u8 v4, v[1:2], off
	s_mov_b32 s4, 0
	s_mov_b32 s5, exec_lo
                                        ; implicit-def: $sgpr2_sgpr3
	s_waitcnt vmcnt(0)
	v_cmpx_lt_i16_e32 0x7f, v4
	s_xor_b32 s5, exec_lo, s5
	s_cbranch_execz .LBB12_457
; %bb.454:
	s_mov_b32 s6, -1
	s_mov_b32 s4, exec_lo
                                        ; implicit-def: $sgpr2_sgpr3
	v_cmpx_eq_u16_e32 0x80, v4
; %bb.455:
	s_mov_b32 s3, 0x7ff80000
	s_brev_b32 s2, 4
	s_xor_b32 s6, exec_lo, -1
; %bb.456:
	s_or_b32 exec_lo, exec_lo, s4
	s_delay_alu instid0(SALU_CYCLE_1)
	s_and_b32 s4, s6, exec_lo
.LBB12_457:
	s_or_saveexec_b32 s5, s5
	v_dual_mov_b32 v44, s3 :: v_dual_mov_b32 v43, s2
	s_xor_b32 exec_lo, exec_lo, s5
; %bb.458:
	v_cmp_ne_u16_e32 vcc_lo, 0, v4
	v_mov_b32_e32 v43, 0
	v_mov_b32_e32 v44, 0
	s_and_not1_b32 s2, s4, exec_lo
	s_and_b32 s3, vcc_lo, exec_lo
	s_delay_alu instid0(SALU_CYCLE_1)
	s_or_b32 s4, s2, s3
; %bb.459:
	s_or_b32 exec_lo, exec_lo, s5
	s_and_saveexec_b32 s2, s4
	s_cbranch_execz .LBB12_461
; %bb.460:
	v_and_b32_e32 v5, 0xffff, v4
	v_lshlrev_b32_e32 v4, 24, v4
	s_delay_alu instid0(VALU_DEP_2) | instskip(NEXT) | instid1(VALU_DEP_2)
	v_and_b32_e32 v6, 7, v5
	v_and_b32_e32 v4, 0x80000000, v4
	s_delay_alu instid0(VALU_DEP_2) | instskip(NEXT) | instid1(VALU_DEP_1)
	v_clz_i32_u32_e32 v7, v6
	v_min_u32_e32 v7, 32, v7
	s_delay_alu instid0(VALU_DEP_1) | instskip(SKIP_1) | instid1(VALU_DEP_2)
	v_subrev_nc_u32_e32 v8, 28, v7
	v_sub_nc_u32_e32 v7, 29, v7
	v_lshlrev_b32_e32 v8, v8, v5
	v_bfe_u32 v5, v5, 3, 4
	s_delay_alu instid0(VALU_DEP_2) | instskip(NEXT) | instid1(VALU_DEP_2)
	v_and_b32_e32 v8, 7, v8
	v_cmp_eq_u32_e32 vcc_lo, 0, v5
	s_delay_alu instid0(VALU_DEP_2) | instskip(NEXT) | instid1(VALU_DEP_1)
	v_dual_cndmask_b32 v5, v5, v7 :: v_dual_cndmask_b32 v6, v6, v8
	v_lshl_add_u32 v5, v5, 23, 0x3b800000
	s_delay_alu instid0(VALU_DEP_2) | instskip(NEXT) | instid1(VALU_DEP_1)
	v_lshlrev_b32_e32 v6, 20, v6
	v_or3_b32 v4, v4, v5, v6
	s_delay_alu instid0(VALU_DEP_1)
	v_cvt_f64_f32_e32 v[43:44], v4
.LBB12_461:
	s_or_b32 exec_lo, exec_lo, s2
.LBB12_462:
	s_mov_b32 s2, -1
.LBB12_463:
	s_mov_b32 s3, 0
.LBB12_464:
	s_delay_alu instid0(SALU_CYCLE_1)
	s_and_b32 vcc_lo, exec_lo, s3
	s_cbranch_vccz .LBB12_497
; %bb.465:
	v_cmp_lt_i16_e32 vcc_lo, 22, v3
	s_cbranch_vccz .LBB12_477
; %bb.466:
	v_cmp_gt_i16_e32 vcc_lo, 24, v3
	s_cbranch_vccnz .LBB12_478
; %bb.467:
	v_cmp_lt_i16_e32 vcc_lo, 24, v3
	s_cbranch_vccz .LBB12_479
; %bb.468:
	global_load_u8 v4, v[1:2], off
	s_mov_b32 s4, 0
	s_mov_b32 s5, exec_lo
                                        ; implicit-def: $sgpr2_sgpr3
	s_waitcnt vmcnt(0)
	v_cmpx_lt_i16_e32 0x7f, v4
	s_xor_b32 s5, exec_lo, s5
	s_cbranch_execz .LBB12_472
; %bb.469:
	s_mov_b32 s6, -1
	s_mov_b32 s4, exec_lo
                                        ; implicit-def: $sgpr2_sgpr3
	v_cmpx_eq_u16_e32 0x80, v4
; %bb.470:
	s_mov_b32 s3, 0x7ff80000
	s_brev_b32 s2, 4
	s_xor_b32 s6, exec_lo, -1
; %bb.471:
	s_or_b32 exec_lo, exec_lo, s4
	s_delay_alu instid0(SALU_CYCLE_1)
	s_and_b32 s4, s6, exec_lo
.LBB12_472:
	s_or_saveexec_b32 s5, s5
	v_dual_mov_b32 v44, s3 :: v_dual_mov_b32 v43, s2
	s_xor_b32 exec_lo, exec_lo, s5
; %bb.473:
	v_cmp_ne_u16_e32 vcc_lo, 0, v4
	v_mov_b32_e32 v43, 0
	v_mov_b32_e32 v44, 0
	s_and_not1_b32 s2, s4, exec_lo
	s_and_b32 s3, vcc_lo, exec_lo
	s_delay_alu instid0(SALU_CYCLE_1)
	s_or_b32 s4, s2, s3
; %bb.474:
	s_or_b32 exec_lo, exec_lo, s5
	s_and_saveexec_b32 s2, s4
	s_cbranch_execz .LBB12_476
; %bb.475:
	v_and_b32_e32 v5, 0xffff, v4
	v_lshlrev_b32_e32 v4, 24, v4
	s_delay_alu instid0(VALU_DEP_2) | instskip(NEXT) | instid1(VALU_DEP_2)
	v_and_b32_e32 v6, 3, v5
	v_and_b32_e32 v4, 0x80000000, v4
	s_delay_alu instid0(VALU_DEP_2) | instskip(NEXT) | instid1(VALU_DEP_1)
	v_clz_i32_u32_e32 v7, v6
	v_min_u32_e32 v7, 32, v7
	s_delay_alu instid0(VALU_DEP_1) | instskip(SKIP_1) | instid1(VALU_DEP_2)
	v_subrev_nc_u32_e32 v8, 29, v7
	v_sub_nc_u32_e32 v7, 30, v7
	v_lshlrev_b32_e32 v8, v8, v5
	v_bfe_u32 v5, v5, 2, 5
	s_delay_alu instid0(VALU_DEP_2) | instskip(NEXT) | instid1(VALU_DEP_2)
	v_and_b32_e32 v8, 3, v8
	v_cmp_eq_u32_e32 vcc_lo, 0, v5
	s_delay_alu instid0(VALU_DEP_2) | instskip(NEXT) | instid1(VALU_DEP_1)
	v_dual_cndmask_b32 v5, v5, v7 :: v_dual_cndmask_b32 v6, v6, v8
	v_lshl_add_u32 v5, v5, 23, 0x37800000
	s_delay_alu instid0(VALU_DEP_2) | instskip(NEXT) | instid1(VALU_DEP_1)
	v_lshlrev_b32_e32 v6, 21, v6
	v_or3_b32 v4, v4, v5, v6
	s_delay_alu instid0(VALU_DEP_1)
	v_cvt_f64_f32_e32 v[43:44], v4
.LBB12_476:
	s_or_b32 exec_lo, exec_lo, s2
	s_mov_b32 s2, 0
	s_branch .LBB12_480
.LBB12_477:
	s_mov_b32 s3, -1
                                        ; implicit-def: $vgpr43_vgpr44
	s_branch .LBB12_486
.LBB12_478:
	s_mov_b32 s2, -1
                                        ; implicit-def: $vgpr43_vgpr44
	s_branch .LBB12_483
.LBB12_479:
	s_mov_b32 s2, -1
                                        ; implicit-def: $vgpr43_vgpr44
.LBB12_480:
	s_delay_alu instid0(SALU_CYCLE_1)
	s_and_b32 vcc_lo, exec_lo, s2
	s_cbranch_vccz .LBB12_482
; %bb.481:
	global_load_u8 v4, v[1:2], off
	s_waitcnt vmcnt(0)
	v_lshlrev_b32_e32 v4, 24, v4
	s_delay_alu instid0(VALU_DEP_1) | instskip(NEXT) | instid1(VALU_DEP_1)
	v_and_b32_e32 v5, 0x7f000000, v4
	v_clz_i32_u32_e32 v6, v5
	v_add_nc_u32_e32 v8, 0x1000000, v5
	v_cmp_ne_u32_e32 vcc_lo, 0, v5
	s_delay_alu instid0(VALU_DEP_3) | instskip(NEXT) | instid1(VALU_DEP_1)
	v_min_u32_e32 v6, 32, v6
	v_sub_nc_u32_e64 v6, v6, 4 clamp
	s_delay_alu instid0(VALU_DEP_1) | instskip(SKIP_1) | instid1(VALU_DEP_2)
	v_lshlrev_b32_e32 v7, v6, v5
	v_lshlrev_b32_e32 v6, 23, v6
	v_lshrrev_b32_e32 v7, 4, v7
	s_delay_alu instid0(VALU_DEP_1) | instskip(SKIP_1) | instid1(VALU_DEP_2)
	v_sub_nc_u32_e32 v6, v7, v6
	v_ashrrev_i32_e32 v7, 8, v8
	v_add_nc_u32_e32 v6, 0x3c000000, v6
	s_delay_alu instid0(VALU_DEP_1) | instskip(NEXT) | instid1(VALU_DEP_1)
	v_and_or_b32 v6, 0x7f800000, v7, v6
	v_cndmask_b32_e32 v5, 0, v6, vcc_lo
	s_delay_alu instid0(VALU_DEP_1) | instskip(NEXT) | instid1(VALU_DEP_1)
	v_and_or_b32 v4, 0x80000000, v4, v5
	v_cvt_f64_f32_e32 v[43:44], v4
.LBB12_482:
	s_mov_b32 s2, 0
.LBB12_483:
	s_delay_alu instid0(SALU_CYCLE_1)
	s_and_not1_b32 vcc_lo, exec_lo, s2
	s_cbranch_vccnz .LBB12_485
; %bb.484:
	global_load_u8 v4, v[1:2], off
	s_waitcnt vmcnt(0)
	v_lshlrev_b32_e32 v5, 25, v4
	v_lshlrev_b16 v4, 8, v4
	s_delay_alu instid0(VALU_DEP_2) | instskip(NEXT) | instid1(VALU_DEP_2)
	v_lshrrev_b32_e32 v6, 4, v5
	v_and_or_b32 v7, 0x7f00, v4, 0.5
	v_bfe_i32 v4, v4, 0, 16
	s_delay_alu instid0(VALU_DEP_3) | instskip(NEXT) | instid1(VALU_DEP_1)
	v_or_b32_e32 v6, 0x70000000, v6
	v_dual_add_f32 v7, -0.5, v7 :: v_dual_mul_f32 v6, 0x7800000, v6
	v_cmp_gt_u32_e32 vcc_lo, 0x8000000, v5
	s_delay_alu instid0(VALU_DEP_2) | instskip(NEXT) | instid1(VALU_DEP_1)
	v_cndmask_b32_e32 v5, v6, v7, vcc_lo
	v_and_or_b32 v4, 0x80000000, v4, v5
	s_delay_alu instid0(VALU_DEP_1)
	v_cvt_f64_f32_e32 v[43:44], v4
.LBB12_485:
	s_mov_b32 s3, 0
	s_mov_b32 s2, -1
.LBB12_486:
	s_and_not1_b32 vcc_lo, exec_lo, s3
	s_cbranch_vccnz .LBB12_497
; %bb.487:
	v_cmp_lt_i16_e32 vcc_lo, 14, v3
	s_cbranch_vccz .LBB12_490
; %bb.488:
	v_cmp_eq_u16_e32 vcc_lo, 15, v3
	s_cbranch_vccz .LBB12_491
; %bb.489:
	global_load_u16 v4, v[1:2], off
	s_mov_b32 s2, -1
	s_mov_b32 s82, 0
	s_waitcnt vmcnt(0)
	v_lshlrev_b32_e32 v4, 16, v4
	s_delay_alu instid0(VALU_DEP_1)
	v_cvt_f64_f32_e32 v[43:44], v4
	s_branch .LBB12_492
.LBB12_490:
	s_mov_b32 s3, -1
                                        ; implicit-def: $vgpr43_vgpr44
	s_branch .LBB12_493
.LBB12_491:
	s_mov_b32 s82, -1
                                        ; implicit-def: $vgpr43_vgpr44
.LBB12_492:
	s_mov_b32 s3, 0
.LBB12_493:
	s_delay_alu instid0(SALU_CYCLE_1)
	s_and_b32 vcc_lo, exec_lo, s3
	s_cbranch_vccz .LBB12_497
; %bb.494:
	v_cmp_eq_u16_e32 vcc_lo, 11, v3
	s_cbranch_vccz .LBB12_496
; %bb.495:
	global_load_u8 v4, v[1:2], off
	s_waitcnt vmcnt(1)
	v_mov_b32_e32 v43, 0
	s_mov_b32 s82, 0
	s_mov_b32 s2, -1
	s_waitcnt vmcnt(0)
	v_cmp_ne_u16_e32 vcc_lo, 0, v4
	v_cndmask_b32_e64 v44, 0, 0x3ff00000, vcc_lo
	s_branch .LBB12_497
.LBB12_496:
	s_mov_b32 s82, -1
                                        ; implicit-def: $vgpr43_vgpr44
.LBB12_497:
	s_branch .LBB12_414
.LBB12_498:
	v_cmp_gt_i16_e32 vcc_lo, 5, v3
	s_cbranch_vccnz .LBB12_503
; %bb.499:
	v_cmp_gt_i16_e32 vcc_lo, 8, v3
	s_cbranch_vccnz .LBB12_504
; %bb.500:
	;; [unrolled: 3-line block ×3, first 2 shown]
	v_cmp_lt_i16_e32 vcc_lo, 9, v3
	s_cbranch_vccz .LBB12_506
; %bb.502:
	global_load_b64 v[43:44], v[1:2], off
	s_mov_b32 s2, 0
	s_branch .LBB12_507
.LBB12_503:
	s_mov_b32 s2, -1
                                        ; implicit-def: $vgpr43_vgpr44
	s_branch .LBB12_525
.LBB12_504:
	s_mov_b32 s2, -1
                                        ; implicit-def: $vgpr43_vgpr44
	s_branch .LBB12_513
.LBB12_505:
	s_mov_b32 s2, -1
                                        ; implicit-def: $vgpr43_vgpr44
	s_branch .LBB12_510
.LBB12_506:
	s_mov_b32 s2, -1
                                        ; implicit-def: $vgpr43_vgpr44
.LBB12_507:
	s_delay_alu instid0(SALU_CYCLE_1)
	s_and_not1_b32 vcc_lo, exec_lo, s2
	s_cbranch_vccnz .LBB12_509
; %bb.508:
	global_load_b32 v4, v[1:2], off
	s_waitcnt vmcnt(0)
	v_cvt_f64_f32_e32 v[43:44], v4
.LBB12_509:
	s_mov_b32 s2, 0
.LBB12_510:
	s_delay_alu instid0(SALU_CYCLE_1)
	s_and_not1_b32 vcc_lo, exec_lo, s2
	s_cbranch_vccnz .LBB12_512
; %bb.511:
	global_load_b32 v4, v[1:2], off
	s_waitcnt vmcnt(0)
	v_cvt_f32_f16_e32 v4, v4
	s_delay_alu instid0(VALU_DEP_1)
	v_cvt_f64_f32_e32 v[43:44], v4
.LBB12_512:
	s_mov_b32 s2, 0
.LBB12_513:
	s_delay_alu instid0(SALU_CYCLE_1)
	s_and_not1_b32 vcc_lo, exec_lo, s2
	s_cbranch_vccnz .LBB12_524
; %bb.514:
	v_cmp_gt_i16_e32 vcc_lo, 6, v3
	s_cbranch_vccnz .LBB12_517
; %bb.515:
	v_cmp_lt_i16_e32 vcc_lo, 6, v3
	s_cbranch_vccz .LBB12_518
; %bb.516:
	global_load_b64 v[43:44], v[1:2], off
	s_mov_b32 s2, 0
	s_branch .LBB12_519
.LBB12_517:
	s_mov_b32 s2, -1
                                        ; implicit-def: $vgpr43_vgpr44
	s_branch .LBB12_522
.LBB12_518:
	s_mov_b32 s2, -1
                                        ; implicit-def: $vgpr43_vgpr44
.LBB12_519:
	s_delay_alu instid0(SALU_CYCLE_1)
	s_and_not1_b32 vcc_lo, exec_lo, s2
	s_cbranch_vccnz .LBB12_521
; %bb.520:
	global_load_b32 v4, v[1:2], off
	s_waitcnt vmcnt(0)
	v_cvt_f64_f32_e32 v[43:44], v4
.LBB12_521:
	s_mov_b32 s2, 0
.LBB12_522:
	s_delay_alu instid0(SALU_CYCLE_1)
	s_and_not1_b32 vcc_lo, exec_lo, s2
	s_cbranch_vccnz .LBB12_524
; %bb.523:
	global_load_u16 v4, v[1:2], off
	s_waitcnt vmcnt(0)
	v_cvt_f32_f16_e32 v4, v4
	s_delay_alu instid0(VALU_DEP_1)
	v_cvt_f64_f32_e32 v[43:44], v4
.LBB12_524:
	s_mov_b32 s2, 0
.LBB12_525:
	s_delay_alu instid0(SALU_CYCLE_1)
	s_and_not1_b32 vcc_lo, exec_lo, s2
	s_cbranch_vccnz .LBB12_545
; %bb.526:
	v_cmp_gt_i16_e32 vcc_lo, 2, v3
	s_cbranch_vccnz .LBB12_530
; %bb.527:
	v_cmp_gt_i16_e32 vcc_lo, 3, v3
	s_cbranch_vccnz .LBB12_531
; %bb.528:
	v_cmp_lt_i16_e32 vcc_lo, 3, v3
	s_cbranch_vccz .LBB12_532
; %bb.529:
	global_load_b64 v[4:5], v[1:2], off
	s_mov_b32 s2, 0
	s_waitcnt vmcnt(0)
	v_cvt_f64_i32_e32 v[5:6], v5
	v_cvt_f64_u32_e32 v[7:8], v4
	s_delay_alu instid0(VALU_DEP_2) | instskip(NEXT) | instid1(VALU_DEP_1)
	v_ldexp_f64 v[5:6], v[5:6], 32
	v_add_f64 v[43:44], v[5:6], v[7:8]
	s_branch .LBB12_533
.LBB12_530:
	s_mov_b32 s2, -1
                                        ; implicit-def: $vgpr43_vgpr44
	s_branch .LBB12_539
.LBB12_531:
	s_mov_b32 s2, -1
                                        ; implicit-def: $vgpr43_vgpr44
	s_branch .LBB12_536
.LBB12_532:
	s_mov_b32 s2, -1
                                        ; implicit-def: $vgpr43_vgpr44
.LBB12_533:
	s_delay_alu instid0(SALU_CYCLE_1)
	s_and_not1_b32 vcc_lo, exec_lo, s2
	s_cbranch_vccnz .LBB12_535
; %bb.534:
	global_load_b32 v4, v[1:2], off
	s_waitcnt vmcnt(0)
	v_cvt_f64_i32_e32 v[43:44], v4
.LBB12_535:
	s_mov_b32 s2, 0
.LBB12_536:
	s_delay_alu instid0(SALU_CYCLE_1)
	s_and_not1_b32 vcc_lo, exec_lo, s2
	s_cbranch_vccnz .LBB12_538
; %bb.537:
	global_load_i16 v4, v[1:2], off
	s_waitcnt vmcnt(0)
	v_cvt_f64_i32_e32 v[43:44], v4
.LBB12_538:
	s_mov_b32 s2, 0
.LBB12_539:
	s_delay_alu instid0(SALU_CYCLE_1)
	s_and_not1_b32 vcc_lo, exec_lo, s2
	s_cbranch_vccnz .LBB12_545
; %bb.540:
	v_cmp_lt_i16_e32 vcc_lo, 0, v3
	s_mov_b32 s2, 0
	s_cbranch_vccz .LBB12_542
; %bb.541:
	global_load_i8 v3, v[1:2], off
	s_waitcnt vmcnt(0)
	v_cvt_f64_i32_e32 v[43:44], v3
	s_branch .LBB12_543
.LBB12_542:
	s_mov_b32 s2, -1
                                        ; implicit-def: $vgpr43_vgpr44
.LBB12_543:
	s_delay_alu instid0(SALU_CYCLE_1)
	s_and_not1_b32 vcc_lo, exec_lo, s2
	s_cbranch_vccnz .LBB12_545
; %bb.544:
	global_load_u8 v1, v[1:2], off
	s_waitcnt vmcnt(0)
	v_cvt_f64_u32_e32 v[43:44], v1
.LBB12_545:
	s_branch .LBB12_415
.LBB12_546:
	s_mov_b32 s3, 0
	s_mov_b32 s2, s78
	;; [unrolled: 1-line block ×3, first 2 shown]
	s_branch .LBB12_719
.LBB12_547:
	s_or_saveexec_b32 s5, s5
                                        ; implicit-def: $sgpr6
	s_delay_alu instid0(SALU_CYCLE_1)
	s_xor_b32 exec_lo, exec_lo, s5
	s_cbranch_execz .LBB12_79
.LBB12_548:
	v_add_f32_e64 v3, 0x42800000, |v2|
	s_and_not1_b32 s4, s4, exec_lo
	s_mov_b32 s6, 0
	s_delay_alu instid0(VALU_DEP_1) | instskip(NEXT) | instid1(VALU_DEP_1)
	v_and_b32_e32 v3, 0xff, v3
	v_cmp_ne_u32_e32 vcc_lo, 0, v3
	s_and_b32 s7, vcc_lo, exec_lo
	s_delay_alu instid0(SALU_CYCLE_1)
	s_or_b32 s4, s4, s7
	s_or_b32 exec_lo, exec_lo, s5
	v_mov_b32_e32 v7, s6
	s_and_saveexec_b32 s5, s4
	s_cbranch_execnz .LBB12_80
	s_branch .LBB12_81
.LBB12_549:
	s_mov_b32 s84, -1
	s_mov_b32 s2, 0
.LBB12_550:
                                        ; implicit-def: $vgpr45_vgpr46
.LBB12_551:
	s_and_b32 vcc_lo, exec_lo, s3
	s_cbranch_vccz .LBB12_555
; %bb.552:
	v_cmp_eq_u16_e64 s3, s72, 44
	s_delay_alu instid0(VALU_DEP_1)
	s_and_b32 vcc_lo, exec_lo, s3
	s_cbranch_vccz .LBB12_554
; %bb.553:
	global_load_u8 v4, v[0:1], off
	s_mov_b32 s84, 0
	s_mov_b32 s2, -1
	s_waitcnt vmcnt(0)
	v_cmp_ne_u32_e32 vcc_lo, 0xff, v4
	v_lshlrev_b32_e32 v2, 23, v4
	s_delay_alu instid0(VALU_DEP_1) | instskip(NEXT) | instid1(VALU_DEP_1)
	v_cvt_f64_f32_e32 v[2:3], v2
	v_cndmask_b32_e32 v3, 0x7ff80000, v3, vcc_lo
	s_delay_alu instid0(VALU_DEP_2) | instskip(SKIP_1) | instid1(VALU_DEP_3)
	v_cndmask_b32_e32 v2, 0x20000000, v2, vcc_lo
	v_cmp_ne_u32_e32 vcc_lo, 0, v4
	v_cndmask_b32_e32 v46, 0x38000000, v3, vcc_lo
	s_delay_alu instid0(VALU_DEP_3)
	v_cndmask_b32_e32 v45, 0, v2, vcc_lo
	s_branch .LBB12_555
.LBB12_554:
	s_mov_b32 s84, -1
                                        ; implicit-def: $vgpr45_vgpr46
.LBB12_555:
	s_mov_b32 s3, 0
.LBB12_556:
	s_delay_alu instid0(SALU_CYCLE_1)
	s_and_b32 vcc_lo, exec_lo, s3
	s_cbranch_vccz .LBB12_560
; %bb.557:
	v_cmp_eq_u16_e64 s3, s72, 29
	s_delay_alu instid0(VALU_DEP_1)
	s_and_b32 vcc_lo, exec_lo, s3
	s_cbranch_vccz .LBB12_559
; %bb.558:
	global_load_b64 v[2:3], v[0:1], off
	s_mov_b32 s2, -1
	s_mov_b32 s84, 0
	s_mov_b32 s3, 0
	s_waitcnt vmcnt(0)
	v_cvt_f64_u32_e32 v[3:4], v3
	v_cvt_f64_u32_e32 v[5:6], v2
	s_delay_alu instid0(VALU_DEP_2) | instskip(NEXT) | instid1(VALU_DEP_1)
	v_ldexp_f64 v[3:4], v[3:4], 32
	v_add_f64 v[45:46], v[3:4], v[5:6]
	s_branch .LBB12_561
.LBB12_559:
	s_mov_b32 s84, -1
                                        ; implicit-def: $vgpr45_vgpr46
.LBB12_560:
	s_mov_b32 s3, 0
.LBB12_561:
	s_delay_alu instid0(SALU_CYCLE_1)
	s_and_b32 vcc_lo, exec_lo, s3
	s_cbranch_vccz .LBB12_581
; %bb.562:
	v_cmp_lt_i16_e64 s2, s72, 27
	s_delay_alu instid0(VALU_DEP_1)
	s_and_b32 vcc_lo, exec_lo, s2
	s_cbranch_vccnz .LBB12_565
; %bb.563:
	v_cmp_gt_i16_e64 s2, s72, 27
	s_delay_alu instid0(VALU_DEP_1)
	s_and_b32 vcc_lo, exec_lo, s2
	s_cbranch_vccz .LBB12_566
; %bb.564:
	global_load_b32 v2, v[0:1], off
	s_mov_b32 s2, 0
	s_waitcnt vmcnt(0)
	v_cvt_f64_u32_e32 v[45:46], v2
	s_branch .LBB12_567
.LBB12_565:
	s_mov_b32 s2, -1
                                        ; implicit-def: $vgpr45_vgpr46
	s_branch .LBB12_570
.LBB12_566:
	s_mov_b32 s2, -1
                                        ; implicit-def: $vgpr45_vgpr46
.LBB12_567:
	s_delay_alu instid0(SALU_CYCLE_1)
	s_and_not1_b32 vcc_lo, exec_lo, s2
	s_cbranch_vccnz .LBB12_569
; %bb.568:
	global_load_u16 v2, v[0:1], off
	s_waitcnt vmcnt(0)
	v_cvt_f64_u32_e32 v[45:46], v2
.LBB12_569:
	s_mov_b32 s2, 0
.LBB12_570:
	s_delay_alu instid0(SALU_CYCLE_1)
	s_and_not1_b32 vcc_lo, exec_lo, s2
	s_cbranch_vccnz .LBB12_580
; %bb.571:
	global_load_u8 v2, v[0:1], off
	s_mov_b32 s4, 0
	s_mov_b32 s5, exec_lo
                                        ; implicit-def: $sgpr2_sgpr3
	s_waitcnt vmcnt(0)
	v_cmpx_lt_i16_e32 0x7f, v2
	s_xor_b32 s5, exec_lo, s5
	s_cbranch_execz .LBB12_575
; %bb.572:
	s_mov_b32 s6, -1
	s_mov_b32 s4, exec_lo
                                        ; implicit-def: $sgpr2_sgpr3
	v_cmpx_eq_u16_e32 0x80, v2
; %bb.573:
	s_mov_b32 s3, 0x7ff80000
	s_brev_b32 s2, 4
	s_xor_b32 s6, exec_lo, -1
; %bb.574:
	s_or_b32 exec_lo, exec_lo, s4
	s_delay_alu instid0(SALU_CYCLE_1)
	s_and_b32 s4, s6, exec_lo
.LBB12_575:
	s_or_saveexec_b32 s5, s5
	v_dual_mov_b32 v46, s3 :: v_dual_mov_b32 v45, s2
	s_xor_b32 exec_lo, exec_lo, s5
; %bb.576:
	v_cmp_ne_u16_e32 vcc_lo, 0, v2
	v_mov_b32_e32 v45, 0
	v_mov_b32_e32 v46, 0
	s_and_not1_b32 s2, s4, exec_lo
	s_and_b32 s3, vcc_lo, exec_lo
	s_delay_alu instid0(SALU_CYCLE_1)
	s_or_b32 s4, s2, s3
; %bb.577:
	s_or_b32 exec_lo, exec_lo, s5
	s_and_saveexec_b32 s2, s4
	s_cbranch_execz .LBB12_579
; %bb.578:
	v_and_b32_e32 v3, 0xffff, v2
	v_lshlrev_b32_e32 v2, 24, v2
	s_delay_alu instid0(VALU_DEP_2) | instskip(NEXT) | instid1(VALU_DEP_2)
	v_and_b32_e32 v4, 7, v3
	v_and_b32_e32 v2, 0x80000000, v2
	s_delay_alu instid0(VALU_DEP_2) | instskip(NEXT) | instid1(VALU_DEP_1)
	v_clz_i32_u32_e32 v5, v4
	v_min_u32_e32 v5, 32, v5
	s_delay_alu instid0(VALU_DEP_1) | instskip(SKIP_1) | instid1(VALU_DEP_2)
	v_subrev_nc_u32_e32 v6, 28, v5
	v_sub_nc_u32_e32 v5, 29, v5
	v_lshlrev_b32_e32 v6, v6, v3
	v_bfe_u32 v3, v3, 3, 4
	s_delay_alu instid0(VALU_DEP_2) | instskip(NEXT) | instid1(VALU_DEP_2)
	v_and_b32_e32 v6, 7, v6
	v_cmp_eq_u32_e32 vcc_lo, 0, v3
	s_delay_alu instid0(VALU_DEP_2) | instskip(NEXT) | instid1(VALU_DEP_1)
	v_dual_cndmask_b32 v3, v3, v5 :: v_dual_cndmask_b32 v4, v4, v6
	v_lshl_add_u32 v3, v3, 23, 0x3b800000
	s_delay_alu instid0(VALU_DEP_2) | instskip(NEXT) | instid1(VALU_DEP_1)
	v_lshlrev_b32_e32 v4, 20, v4
	v_or3_b32 v2, v2, v3, v4
	s_delay_alu instid0(VALU_DEP_1)
	v_cvt_f64_f32_e32 v[45:46], v2
.LBB12_579:
	s_or_b32 exec_lo, exec_lo, s2
.LBB12_580:
	s_mov_b32 s2, -1
.LBB12_581:
	s_mov_b32 s3, 0
.LBB12_582:
	s_delay_alu instid0(SALU_CYCLE_1)
	s_and_b32 vcc_lo, exec_lo, s3
	s_cbranch_vccz .LBB12_615
; %bb.583:
	v_cmp_gt_i16_e64 s3, s72, 22
	s_delay_alu instid0(VALU_DEP_1)
	s_and_b32 vcc_lo, exec_lo, s3
	s_cbranch_vccz .LBB12_595
; %bb.584:
	v_cmp_lt_i16_e64 s2, s72, 24
	s_delay_alu instid0(VALU_DEP_1)
	s_and_b32 vcc_lo, exec_lo, s2
	s_cbranch_vccnz .LBB12_596
; %bb.585:
	v_cmp_gt_i16_e64 s2, s72, 24
	s_delay_alu instid0(VALU_DEP_1)
	s_and_b32 vcc_lo, exec_lo, s2
	s_cbranch_vccz .LBB12_597
; %bb.586:
	global_load_u8 v2, v[0:1], off
	s_mov_b32 s4, 0
	s_mov_b32 s5, exec_lo
                                        ; implicit-def: $sgpr2_sgpr3
	s_waitcnt vmcnt(0)
	v_cmpx_lt_i16_e32 0x7f, v2
	s_xor_b32 s5, exec_lo, s5
	s_cbranch_execz .LBB12_590
; %bb.587:
	s_mov_b32 s6, -1
	s_mov_b32 s4, exec_lo
                                        ; implicit-def: $sgpr2_sgpr3
	v_cmpx_eq_u16_e32 0x80, v2
; %bb.588:
	s_mov_b32 s3, 0x7ff80000
	s_brev_b32 s2, 4
	s_xor_b32 s6, exec_lo, -1
; %bb.589:
	s_or_b32 exec_lo, exec_lo, s4
	s_delay_alu instid0(SALU_CYCLE_1)
	s_and_b32 s4, s6, exec_lo
.LBB12_590:
	s_or_saveexec_b32 s5, s5
	v_dual_mov_b32 v46, s3 :: v_dual_mov_b32 v45, s2
	s_xor_b32 exec_lo, exec_lo, s5
; %bb.591:
	v_cmp_ne_u16_e32 vcc_lo, 0, v2
	v_mov_b32_e32 v45, 0
	v_mov_b32_e32 v46, 0
	s_and_not1_b32 s2, s4, exec_lo
	s_and_b32 s3, vcc_lo, exec_lo
	s_delay_alu instid0(SALU_CYCLE_1)
	s_or_b32 s4, s2, s3
; %bb.592:
	s_or_b32 exec_lo, exec_lo, s5
	s_and_saveexec_b32 s2, s4
	s_cbranch_execz .LBB12_594
; %bb.593:
	v_and_b32_e32 v3, 0xffff, v2
	v_lshlrev_b32_e32 v2, 24, v2
	s_delay_alu instid0(VALU_DEP_2) | instskip(NEXT) | instid1(VALU_DEP_2)
	v_and_b32_e32 v4, 3, v3
	v_and_b32_e32 v2, 0x80000000, v2
	s_delay_alu instid0(VALU_DEP_2) | instskip(NEXT) | instid1(VALU_DEP_1)
	v_clz_i32_u32_e32 v5, v4
	v_min_u32_e32 v5, 32, v5
	s_delay_alu instid0(VALU_DEP_1) | instskip(SKIP_1) | instid1(VALU_DEP_2)
	v_subrev_nc_u32_e32 v6, 29, v5
	v_sub_nc_u32_e32 v5, 30, v5
	v_lshlrev_b32_e32 v6, v6, v3
	v_bfe_u32 v3, v3, 2, 5
	s_delay_alu instid0(VALU_DEP_2) | instskip(NEXT) | instid1(VALU_DEP_2)
	v_and_b32_e32 v6, 3, v6
	v_cmp_eq_u32_e32 vcc_lo, 0, v3
	s_delay_alu instid0(VALU_DEP_2) | instskip(NEXT) | instid1(VALU_DEP_1)
	v_dual_cndmask_b32 v3, v3, v5 :: v_dual_cndmask_b32 v4, v4, v6
	v_lshl_add_u32 v3, v3, 23, 0x37800000
	s_delay_alu instid0(VALU_DEP_2) | instskip(NEXT) | instid1(VALU_DEP_1)
	v_lshlrev_b32_e32 v4, 21, v4
	v_or3_b32 v2, v2, v3, v4
	s_delay_alu instid0(VALU_DEP_1)
	v_cvt_f64_f32_e32 v[45:46], v2
.LBB12_594:
	s_or_b32 exec_lo, exec_lo, s2
	s_mov_b32 s2, 0
	s_branch .LBB12_598
.LBB12_595:
	s_mov_b32 s3, -1
                                        ; implicit-def: $vgpr45_vgpr46
	s_branch .LBB12_604
.LBB12_596:
	s_mov_b32 s2, -1
                                        ; implicit-def: $vgpr45_vgpr46
	s_branch .LBB12_601
.LBB12_597:
	s_mov_b32 s2, -1
                                        ; implicit-def: $vgpr45_vgpr46
.LBB12_598:
	s_delay_alu instid0(SALU_CYCLE_1)
	s_and_b32 vcc_lo, exec_lo, s2
	s_cbranch_vccz .LBB12_600
; %bb.599:
	global_load_u8 v2, v[0:1], off
	s_waitcnt vmcnt(0)
	v_lshlrev_b32_e32 v2, 24, v2
	s_delay_alu instid0(VALU_DEP_1) | instskip(NEXT) | instid1(VALU_DEP_1)
	v_and_b32_e32 v3, 0x7f000000, v2
	v_clz_i32_u32_e32 v4, v3
	v_add_nc_u32_e32 v6, 0x1000000, v3
	v_cmp_ne_u32_e32 vcc_lo, 0, v3
	s_delay_alu instid0(VALU_DEP_3) | instskip(NEXT) | instid1(VALU_DEP_1)
	v_min_u32_e32 v4, 32, v4
	v_sub_nc_u32_e64 v4, v4, 4 clamp
	s_delay_alu instid0(VALU_DEP_1) | instskip(SKIP_1) | instid1(VALU_DEP_2)
	v_lshlrev_b32_e32 v5, v4, v3
	v_lshlrev_b32_e32 v4, 23, v4
	v_lshrrev_b32_e32 v5, 4, v5
	s_delay_alu instid0(VALU_DEP_1) | instskip(SKIP_1) | instid1(VALU_DEP_2)
	v_sub_nc_u32_e32 v4, v5, v4
	v_ashrrev_i32_e32 v5, 8, v6
	v_add_nc_u32_e32 v4, 0x3c000000, v4
	s_delay_alu instid0(VALU_DEP_1) | instskip(NEXT) | instid1(VALU_DEP_1)
	v_and_or_b32 v4, 0x7f800000, v5, v4
	v_cndmask_b32_e32 v3, 0, v4, vcc_lo
	s_delay_alu instid0(VALU_DEP_1) | instskip(NEXT) | instid1(VALU_DEP_1)
	v_and_or_b32 v2, 0x80000000, v2, v3
	v_cvt_f64_f32_e32 v[45:46], v2
.LBB12_600:
	s_mov_b32 s2, 0
.LBB12_601:
	s_delay_alu instid0(SALU_CYCLE_1)
	s_and_not1_b32 vcc_lo, exec_lo, s2
	s_cbranch_vccnz .LBB12_603
; %bb.602:
	global_load_u8 v2, v[0:1], off
	s_waitcnt vmcnt(0)
	v_lshlrev_b32_e32 v3, 25, v2
	v_lshlrev_b16 v2, 8, v2
	s_delay_alu instid0(VALU_DEP_2) | instskip(NEXT) | instid1(VALU_DEP_2)
	v_lshrrev_b32_e32 v4, 4, v3
	v_and_or_b32 v5, 0x7f00, v2, 0.5
	v_bfe_i32 v2, v2, 0, 16
	s_delay_alu instid0(VALU_DEP_3) | instskip(NEXT) | instid1(VALU_DEP_1)
	v_or_b32_e32 v4, 0x70000000, v4
	v_dual_add_f32 v5, -0.5, v5 :: v_dual_mul_f32 v4, 0x7800000, v4
	v_cmp_gt_u32_e32 vcc_lo, 0x8000000, v3
	s_delay_alu instid0(VALU_DEP_2) | instskip(NEXT) | instid1(VALU_DEP_1)
	v_cndmask_b32_e32 v3, v4, v5, vcc_lo
	v_and_or_b32 v2, 0x80000000, v2, v3
	s_delay_alu instid0(VALU_DEP_1)
	v_cvt_f64_f32_e32 v[45:46], v2
.LBB12_603:
	s_mov_b32 s3, 0
	s_mov_b32 s2, -1
.LBB12_604:
	s_and_not1_b32 vcc_lo, exec_lo, s3
	s_cbranch_vccnz .LBB12_615
; %bb.605:
	v_cmp_gt_i16_e64 s3, s72, 14
	s_delay_alu instid0(VALU_DEP_1)
	s_and_b32 vcc_lo, exec_lo, s3
	s_cbranch_vccz .LBB12_608
; %bb.606:
	v_cmp_eq_u16_e64 s3, s72, 15
	s_delay_alu instid0(VALU_DEP_1)
	s_and_b32 vcc_lo, exec_lo, s3
	s_cbranch_vccz .LBB12_609
; %bb.607:
	global_load_u16 v2, v[0:1], off
	s_mov_b32 s2, -1
	s_mov_b32 s84, 0
	s_waitcnt vmcnt(0)
	v_lshlrev_b32_e32 v2, 16, v2
	s_delay_alu instid0(VALU_DEP_1)
	v_cvt_f64_f32_e32 v[45:46], v2
	s_branch .LBB12_610
.LBB12_608:
	s_mov_b32 s3, -1
                                        ; implicit-def: $vgpr45_vgpr46
	s_branch .LBB12_611
.LBB12_609:
	s_mov_b32 s84, -1
                                        ; implicit-def: $vgpr45_vgpr46
.LBB12_610:
	s_mov_b32 s3, 0
.LBB12_611:
	s_delay_alu instid0(SALU_CYCLE_1)
	s_and_b32 vcc_lo, exec_lo, s3
	s_cbranch_vccz .LBB12_615
; %bb.612:
	v_cmp_eq_u16_e64 s3, s72, 11
	s_delay_alu instid0(VALU_DEP_1)
	s_and_b32 vcc_lo, exec_lo, s3
	s_cbranch_vccz .LBB12_614
; %bb.613:
	global_load_u8 v2, v[0:1], off
	s_waitcnt vmcnt(1)
	v_mov_b32_e32 v45, 0
	s_mov_b32 s84, 0
	s_mov_b32 s2, -1
	s_waitcnt vmcnt(0)
	v_cmp_ne_u16_e32 vcc_lo, 0, v2
	v_cndmask_b32_e64 v46, 0, 0x3ff00000, vcc_lo
	s_branch .LBB12_615
.LBB12_614:
	s_mov_b32 s84, -1
                                        ; implicit-def: $vgpr45_vgpr46
.LBB12_615:
	s_mov_b32 s3, 0
.LBB12_616:
	s_delay_alu instid0(SALU_CYCLE_1)
	s_and_b32 vcc_lo, exec_lo, s3
	s_cbranch_vccz .LBB12_665
; %bb.617:
	v_cmp_lt_i16_e64 s2, s72, 5
	s_delay_alu instid0(VALU_DEP_1)
	s_and_b32 vcc_lo, exec_lo, s2
	s_cbranch_vccnz .LBB12_622
; %bb.618:
	v_cmp_lt_i16_e64 s2, s72, 8
	s_delay_alu instid0(VALU_DEP_1)
	s_and_b32 vcc_lo, exec_lo, s2
	s_cbranch_vccnz .LBB12_623
	;; [unrolled: 5-line block ×3, first 2 shown]
; %bb.620:
	v_cmp_gt_i16_e64 s2, s72, 9
	s_delay_alu instid0(VALU_DEP_1)
	s_and_b32 vcc_lo, exec_lo, s2
	s_cbranch_vccz .LBB12_625
; %bb.621:
	global_load_b64 v[45:46], v[0:1], off
	s_mov_b32 s2, 0
	s_branch .LBB12_626
.LBB12_622:
	s_mov_b32 s2, -1
                                        ; implicit-def: $vgpr45_vgpr46
	s_branch .LBB12_644
.LBB12_623:
	s_mov_b32 s2, -1
                                        ; implicit-def: $vgpr45_vgpr46
	s_branch .LBB12_632
.LBB12_624:
	s_mov_b32 s2, -1
                                        ; implicit-def: $vgpr45_vgpr46
	s_branch .LBB12_629
.LBB12_625:
	s_mov_b32 s2, -1
                                        ; implicit-def: $vgpr45_vgpr46
.LBB12_626:
	s_delay_alu instid0(SALU_CYCLE_1)
	s_and_not1_b32 vcc_lo, exec_lo, s2
	s_cbranch_vccnz .LBB12_628
; %bb.627:
	global_load_b32 v2, v[0:1], off
	s_waitcnt vmcnt(0)
	v_cvt_f64_f32_e32 v[45:46], v2
.LBB12_628:
	s_mov_b32 s2, 0
.LBB12_629:
	s_delay_alu instid0(SALU_CYCLE_1)
	s_and_not1_b32 vcc_lo, exec_lo, s2
	s_cbranch_vccnz .LBB12_631
; %bb.630:
	global_load_b32 v2, v[0:1], off
	s_waitcnt vmcnt(0)
	v_cvt_f32_f16_e32 v2, v2
	s_delay_alu instid0(VALU_DEP_1)
	v_cvt_f64_f32_e32 v[45:46], v2
.LBB12_631:
	s_mov_b32 s2, 0
.LBB12_632:
	s_delay_alu instid0(SALU_CYCLE_1)
	s_and_not1_b32 vcc_lo, exec_lo, s2
	s_cbranch_vccnz .LBB12_643
; %bb.633:
	v_cmp_lt_i16_e64 s2, s72, 6
	s_delay_alu instid0(VALU_DEP_1)
	s_and_b32 vcc_lo, exec_lo, s2
	s_cbranch_vccnz .LBB12_636
; %bb.634:
	v_cmp_gt_i16_e64 s2, s72, 6
	s_delay_alu instid0(VALU_DEP_1)
	s_and_b32 vcc_lo, exec_lo, s2
	s_cbranch_vccz .LBB12_637
; %bb.635:
	global_load_b64 v[45:46], v[0:1], off
	s_mov_b32 s2, 0
	s_branch .LBB12_638
.LBB12_636:
	s_mov_b32 s2, -1
                                        ; implicit-def: $vgpr45_vgpr46
	s_branch .LBB12_641
.LBB12_637:
	s_mov_b32 s2, -1
                                        ; implicit-def: $vgpr45_vgpr46
.LBB12_638:
	s_delay_alu instid0(SALU_CYCLE_1)
	s_and_not1_b32 vcc_lo, exec_lo, s2
	s_cbranch_vccnz .LBB12_640
; %bb.639:
	global_load_b32 v2, v[0:1], off
	s_waitcnt vmcnt(0)
	v_cvt_f64_f32_e32 v[45:46], v2
.LBB12_640:
	s_mov_b32 s2, 0
.LBB12_641:
	s_delay_alu instid0(SALU_CYCLE_1)
	s_and_not1_b32 vcc_lo, exec_lo, s2
	s_cbranch_vccnz .LBB12_643
; %bb.642:
	global_load_u16 v2, v[0:1], off
	s_waitcnt vmcnt(0)
	v_cvt_f32_f16_e32 v2, v2
	s_delay_alu instid0(VALU_DEP_1)
	v_cvt_f64_f32_e32 v[45:46], v2
.LBB12_643:
	s_mov_b32 s2, 0
.LBB12_644:
	s_delay_alu instid0(SALU_CYCLE_1)
	s_and_not1_b32 vcc_lo, exec_lo, s2
	s_cbranch_vccnz .LBB12_664
; %bb.645:
	v_cmp_lt_i16_e64 s2, s72, 2
	s_delay_alu instid0(VALU_DEP_1)
	s_and_b32 vcc_lo, exec_lo, s2
	s_cbranch_vccnz .LBB12_649
; %bb.646:
	v_cmp_lt_i16_e64 s2, s72, 3
	s_delay_alu instid0(VALU_DEP_1)
	s_and_b32 vcc_lo, exec_lo, s2
	s_cbranch_vccnz .LBB12_650
; %bb.647:
	v_cmp_gt_i16_e64 s2, s72, 3
	s_delay_alu instid0(VALU_DEP_1)
	s_and_b32 vcc_lo, exec_lo, s2
	s_cbranch_vccz .LBB12_651
; %bb.648:
	global_load_b64 v[2:3], v[0:1], off
	s_mov_b32 s2, 0
	s_waitcnt vmcnt(0)
	v_cvt_f64_i32_e32 v[3:4], v3
	v_cvt_f64_u32_e32 v[5:6], v2
	s_delay_alu instid0(VALU_DEP_2) | instskip(NEXT) | instid1(VALU_DEP_1)
	v_ldexp_f64 v[3:4], v[3:4], 32
	v_add_f64 v[45:46], v[3:4], v[5:6]
	s_branch .LBB12_652
.LBB12_649:
	s_mov_b32 s2, -1
                                        ; implicit-def: $vgpr45_vgpr46
	s_branch .LBB12_658
.LBB12_650:
	s_mov_b32 s2, -1
                                        ; implicit-def: $vgpr45_vgpr46
	s_branch .LBB12_655
.LBB12_651:
	s_mov_b32 s2, -1
                                        ; implicit-def: $vgpr45_vgpr46
.LBB12_652:
	s_delay_alu instid0(SALU_CYCLE_1)
	s_and_not1_b32 vcc_lo, exec_lo, s2
	s_cbranch_vccnz .LBB12_654
; %bb.653:
	global_load_b32 v2, v[0:1], off
	s_waitcnt vmcnt(0)
	v_cvt_f64_i32_e32 v[45:46], v2
.LBB12_654:
	s_mov_b32 s2, 0
.LBB12_655:
	s_delay_alu instid0(SALU_CYCLE_1)
	s_and_not1_b32 vcc_lo, exec_lo, s2
	s_cbranch_vccnz .LBB12_657
; %bb.656:
	global_load_i16 v2, v[0:1], off
	s_waitcnt vmcnt(0)
	v_cvt_f64_i32_e32 v[45:46], v2
.LBB12_657:
	s_mov_b32 s2, 0
.LBB12_658:
	s_delay_alu instid0(SALU_CYCLE_1)
	s_and_not1_b32 vcc_lo, exec_lo, s2
	s_cbranch_vccnz .LBB12_664
; %bb.659:
	v_cmp_gt_i16_e64 s2, s72, 0
	s_delay_alu instid0(VALU_DEP_1)
	s_and_b32 vcc_lo, exec_lo, s2
	s_mov_b32 s2, 0
	s_cbranch_vccz .LBB12_661
; %bb.660:
	global_load_i8 v2, v[0:1], off
	s_waitcnt vmcnt(0)
	v_cvt_f64_i32_e32 v[45:46], v2
	s_branch .LBB12_662
.LBB12_661:
	s_mov_b32 s2, -1
                                        ; implicit-def: $vgpr45_vgpr46
.LBB12_662:
	s_delay_alu instid0(SALU_CYCLE_1)
	s_and_not1_b32 vcc_lo, exec_lo, s2
	s_cbranch_vccnz .LBB12_664
; %bb.663:
	global_load_u8 v0, v[0:1], off
	s_waitcnt vmcnt(0)
	v_cvt_f64_u32_e32 v[45:46], v0
.LBB12_664:
	s_mov_b32 s2, -1
.LBB12_665:
	s_delay_alu instid0(SALU_CYCLE_1)
	s_and_not1_b32 vcc_lo, exec_lo, s2
	s_cbranch_vccnz .LBB12_668
; %bb.666:
	s_mov_b64 s[64:65], s[0:1]
	s_and_not1_b32 vcc_lo, exec_lo, s71
	s_cbranch_vccnz .LBB12_669
; %bb.667:
	s_waitcnt vmcnt(0)
	s_delay_alu instid0(VALU_DEP_4) | instskip(NEXT) | instid1(VALU_DEP_2)
	v_dual_mov_b32 v0, v43 :: v_dual_mov_b32 v1, v44
	v_dual_mov_b32 v2, v45 :: v_dual_mov_b32 v3, v46
	s_getpc_b64 s[0:1]
	s_add_u32 s0, s0, _ZN12_GLOBAL__N_111calc_igammaIdEET_S1_S1_@rel32@lo+4
	s_addc_u32 s1, s1, _ZN12_GLOBAL__N_111calc_igammaIdEET_S1_S1_@rel32@hi+12
	s_delay_alu instid0(SALU_CYCLE_1)
	s_swappc_b64 s[30:31], s[0:1]
	s_mov_b32 s0, 0
	s_branch .LBB12_670
.LBB12_668:
	s_mov_b32 s3, 0
	s_mov_b32 s2, s78
	s_branch .LBB12_719
.LBB12_669:
	s_mov_b32 s0, -1
                                        ; implicit-def: $vgpr0_vgpr1
.LBB12_670:
	s_delay_alu instid0(SALU_CYCLE_1)
	s_and_not1_b32 vcc_lo, exec_lo, s0
	s_cbranch_vccnz .LBB12_672
; %bb.671:
	s_waitcnt vmcnt(0)
	s_delay_alu instid0(VALU_DEP_4) | instskip(NEXT) | instid1(VALU_DEP_2)
	v_dual_mov_b32 v0, v43 :: v_dual_mov_b32 v1, v44
	v_dual_mov_b32 v2, v45 :: v_dual_mov_b32 v3, v46
	s_getpc_b64 s[0:1]
	s_add_u32 s0, s0, _ZN12_GLOBAL__N_112calc_igammacIdEET_S1_S1_@rel32@lo+4
	s_addc_u32 s1, s1, _ZN12_GLOBAL__N_112calc_igammacIdEET_S1_S1_@rel32@hi+12
	s_delay_alu instid0(SALU_CYCLE_1)
	s_swappc_b64 s[30:31], s[0:1]
.LBB12_672:
	v_and_b32_e64 v6, 0xff, s70
	v_add_co_u32 v4, s2, s44, v56
	s_delay_alu instid0(VALU_DEP_1) | instskip(NEXT) | instid1(VALU_DEP_3)
	v_add_co_ci_u32_e64 v5, null, s45, 0, s2
	v_cmp_gt_i16_e32 vcc_lo, 11, v6
	s_mov_b64 s[0:1], s[64:65]
	s_mov_b32 s3, 0
	s_mov_b32 s4, -1
	s_mov_b32 s2, s78
	s_cbranch_vccnz .LBB12_679
; %bb.673:
	v_cmp_lt_i16_e32 vcc_lo, 25, v6
	s_cbranch_vccz .LBB12_742
; %bb.674:
	v_cmp_lt_i16_e32 vcc_lo, 28, v6
	s_cbranch_vccz .LBB12_744
	;; [unrolled: 3-line block ×4, first 2 shown]
; %bb.677:
	v_cmp_eq_u16_e32 vcc_lo, 46, v6
	s_mov_b32 s4, 0
	s_mov_b32 s2, -1
	s_cbranch_vccz .LBB12_749
; %bb.678:
	v_cvt_f32_f64_e32 v2, v[0:1]
	s_mov_b32 s3, -1
	s_mov_b32 s2, 0
	s_delay_alu instid0(VALU_DEP_1) | instskip(SKIP_1) | instid1(VALU_DEP_2)
	v_bfe_u32 v3, v2, 16, 1
	v_cmp_o_f32_e32 vcc_lo, v2, v2
	v_add3_u32 v3, v2, v3, 0x7fff
	s_delay_alu instid0(VALU_DEP_1) | instskip(NEXT) | instid1(VALU_DEP_1)
	v_lshrrev_b32_e32 v3, 16, v3
	v_cndmask_b32_e32 v2, 0x7fc0, v3, vcc_lo
	global_store_b32 v[4:5], v2, off
	s_branch .LBB12_749
.LBB12_679:
	s_and_b32 vcc_lo, exec_lo, s4
	s_cbranch_vccz .LBB12_818
; %bb.680:
	v_cmp_gt_i16_e32 vcc_lo, 5, v6
	s_mov_b32 s3, -1
	s_cbranch_vccnz .LBB12_701
; %bb.681:
	v_cmp_gt_i16_e32 vcc_lo, 8, v6
	s_cbranch_vccnz .LBB12_691
; %bb.682:
	v_cmp_gt_i16_e32 vcc_lo, 9, v6
	s_cbranch_vccnz .LBB12_688
; %bb.683:
	v_cmp_lt_i16_e32 vcc_lo, 9, v6
	s_cbranch_vccz .LBB12_685
; %bb.684:
	v_mov_b32_e32 v2, 0
	s_mov_b32 s3, 0
	s_delay_alu instid0(VALU_DEP_1)
	v_mov_b32_e32 v3, v2
	global_store_b128 v[4:5], v[0:3], off
.LBB12_685:
	s_and_not1_b32 vcc_lo, exec_lo, s3
	s_cbranch_vccnz .LBB12_687
; %bb.686:
	v_cvt_f32_f64_e32 v2, v[0:1]
	v_mov_b32_e32 v3, 0
	global_store_b64 v[4:5], v[2:3], off
.LBB12_687:
	s_mov_b32 s3, 0
.LBB12_688:
	s_delay_alu instid0(SALU_CYCLE_1)
	s_and_not1_b32 vcc_lo, exec_lo, s3
	s_cbranch_vccnz .LBB12_690
; %bb.689:
	v_cvt_f32_f64_e32 v2, v[0:1]
	s_delay_alu instid0(VALU_DEP_1) | instskip(NEXT) | instid1(VALU_DEP_1)
	v_cvt_f16_f32_e32 v2, v2
	v_and_b32_e32 v2, 0xffff, v2
	global_store_b32 v[4:5], v2, off
.LBB12_690:
	s_mov_b32 s3, 0
.LBB12_691:
	s_delay_alu instid0(SALU_CYCLE_1)
	s_and_not1_b32 vcc_lo, exec_lo, s3
	s_cbranch_vccnz .LBB12_700
; %bb.692:
	v_cmp_gt_i16_e32 vcc_lo, 6, v6
	s_mov_b32 s3, -1
	s_cbranch_vccnz .LBB12_698
; %bb.693:
	v_cmp_lt_i16_e32 vcc_lo, 6, v6
	s_cbranch_vccz .LBB12_695
; %bb.694:
	s_mov_b32 s3, 0
	global_store_b64 v[4:5], v[0:1], off
.LBB12_695:
	s_and_not1_b32 vcc_lo, exec_lo, s3
	s_cbranch_vccnz .LBB12_697
; %bb.696:
	v_cvt_f32_f64_e32 v2, v[0:1]
	global_store_b32 v[4:5], v2, off
.LBB12_697:
	s_mov_b32 s3, 0
.LBB12_698:
	s_delay_alu instid0(SALU_CYCLE_1)
	s_and_not1_b32 vcc_lo, exec_lo, s3
	s_cbranch_vccnz .LBB12_700
; %bb.699:
	v_cvt_f32_f64_e32 v2, v[0:1]
	s_delay_alu instid0(VALU_DEP_1)
	v_cvt_f16_f32_e32 v2, v2
	global_store_b16 v[4:5], v2, off
.LBB12_700:
	s_mov_b32 s3, 0
.LBB12_701:
	s_delay_alu instid0(SALU_CYCLE_1)
	s_and_not1_b32 vcc_lo, exec_lo, s3
	s_cbranch_vccnz .LBB12_717
; %bb.702:
	v_cmp_gt_i16_e32 vcc_lo, 2, v6
	s_mov_b32 s3, -1
	s_cbranch_vccnz .LBB12_712
; %bb.703:
	v_cmp_gt_i16_e32 vcc_lo, 3, v6
	s_cbranch_vccnz .LBB12_709
; %bb.704:
	v_cmp_lt_i16_e32 vcc_lo, 3, v6
	s_cbranch_vccz .LBB12_706
; %bb.705:
	v_trunc_f64_e32 v[2:3], v[0:1]
	s_mov_b32 s3, 0
	s_delay_alu instid0(VALU_DEP_1) | instskip(NEXT) | instid1(VALU_DEP_1)
	v_ldexp_f64 v[7:8], v[2:3], 0xffffffe0
	v_floor_f64_e32 v[7:8], v[7:8]
	s_delay_alu instid0(VALU_DEP_1) | instskip(SKIP_1) | instid1(VALU_DEP_2)
	v_fma_f64 v[2:3], 0xc1f00000, v[7:8], v[2:3]
	v_cvt_i32_f64_e32 v8, v[7:8]
	v_cvt_u32_f64_e32 v7, v[2:3]
	global_store_b64 v[4:5], v[7:8], off
.LBB12_706:
	s_and_not1_b32 vcc_lo, exec_lo, s3
	s_cbranch_vccnz .LBB12_708
; %bb.707:
	v_cvt_i32_f64_e32 v2, v[0:1]
	global_store_b32 v[4:5], v2, off
.LBB12_708:
	s_mov_b32 s3, 0
.LBB12_709:
	s_delay_alu instid0(SALU_CYCLE_1)
	s_and_not1_b32 vcc_lo, exec_lo, s3
	s_cbranch_vccnz .LBB12_711
; %bb.710:
	v_cvt_i32_f64_e32 v2, v[0:1]
	global_store_b16 v[4:5], v2, off
.LBB12_711:
	s_mov_b32 s3, 0
.LBB12_712:
	s_delay_alu instid0(SALU_CYCLE_1)
	s_and_not1_b32 vcc_lo, exec_lo, s3
	s_cbranch_vccnz .LBB12_717
; %bb.713:
	v_cmp_lt_i16_e32 vcc_lo, 0, v6
	s_mov_b32 s3, -1
	s_cbranch_vccz .LBB12_715
; %bb.714:
	v_cvt_i32_f64_e32 v2, v[0:1]
	s_mov_b32 s3, 0
	global_store_b8 v[4:5], v2, off
.LBB12_715:
	s_and_not1_b32 vcc_lo, exec_lo, s3
	s_cbranch_vccnz .LBB12_717
; %bb.716:
	v_trunc_f64_e32 v[0:1], v[0:1]
	s_delay_alu instid0(VALU_DEP_1) | instskip(NEXT) | instid1(VALU_DEP_1)
	v_ldexp_f64 v[2:3], v[0:1], 0xffffffe0
	v_floor_f64_e32 v[2:3], v[2:3]
	s_delay_alu instid0(VALU_DEP_1) | instskip(NEXT) | instid1(VALU_DEP_1)
	v_fma_f64 v[0:1], 0xc1f00000, v[2:3], v[0:1]
	v_cvt_u32_f64_e32 v0, v[0:1]
	global_store_b8 v[4:5], v0, off
.LBB12_717:
	s_branch .LBB12_819
.LBB12_718:
	s_mov_b32 s3, 0
.LBB12_719:
                                        ; implicit-def: $vgpr47
.LBB12_720:
	s_and_not1_b32 s4, s78, exec_lo
	s_and_b32 s2, s2, exec_lo
	s_and_not1_b32 s5, s80, exec_lo
	s_or_b32 s83, s4, s2
	s_and_not1_b32 s2, s79, exec_lo
	s_and_b32 s4, s84, exec_lo
	s_and_b32 s6, s82, exec_lo
	s_or_b32 s84, s2, s4
	s_or_b32 s82, s5, s6
	s_or_not1_b32 s4, s3, exec_lo
.LBB12_721:
	s_or_b32 exec_lo, exec_lo, s85
	s_mov_b32 s3, 0
	s_mov_b32 s5, 0
	;; [unrolled: 1-line block ×3, first 2 shown]
                                        ; implicit-def: $vgpr3
                                        ; implicit-def: $vgpr1_vgpr2
                                        ; implicit-def: $vgpr56
                                        ; implicit-def: $vgpr0
                                        ; implicit-def: $vgpr43_vgpr44
	s_and_saveexec_b32 s85, s4
	s_cbranch_execz .LBB12_1295
; %bb.722:
	s_mov_b32 s9, -1
	s_mov_b32 s4, s82
	s_mov_b32 s6, s84
	;; [unrolled: 1-line block ×3, first 2 shown]
	s_mov_b32 s86, exec_lo
	v_cmpx_gt_i32_e64 s76, v47
	s_cbranch_execz .LBB12_1126
; %bb.723:
	s_and_not1_b32 vcc_lo, exec_lo, s68
	s_cbranch_vccnz .LBB12_729
; %bb.724:
	v_dual_mov_b32 v56, 0 :: v_dual_mov_b32 v1, 0
	v_mov_b32_e32 v0, 0
	s_and_not1_b32 vcc_lo, exec_lo, s77
	s_mov_b32 s4, 0
	s_cbranch_vccnz .LBB12_730
; %bb.725:
	s_add_i32 s2, s75, 1
	v_dual_mov_b32 v0, 0 :: v_dual_mov_b32 v1, 0
	v_mov_b32_e32 v56, 0
	v_mov_b32_e32 v2, v47
	s_and_b32 s5, s2, 30
	s_add_u32 s2, s56, 0xffffffec
	s_addc_u32 s3, s57, -1
	s_set_inst_prefetch_distance 0x1
	.p2align	6
.LBB12_726:                             ; =>This Inner Loop Header: Depth=1
	s_clause 0x2
	s_load_b128 s[8:11], s[2:3], 0x18
	s_load_b64 s[6:7], s[2:3], 0x28
	s_load_b128 s[12:15], s[2:3], 0xd8
	s_waitcnt lgkmcnt(0)
	v_mul_hi_u32 v3, s9, v2
	s_delay_alu instid0(VALU_DEP_1) | instskip(NEXT) | instid1(VALU_DEP_1)
	v_add_nc_u32_e32 v3, v2, v3
	v_lshrrev_b32_e32 v3, s10, v3
	s_delay_alu instid0(VALU_DEP_1)
	v_mul_hi_u32 v4, s6, v3
	v_mul_lo_u32 v5, v3, s8
	s_load_b64 s[8:9], s[2:3], 0xe8
	s_add_u32 s2, s2, 24
	s_addc_u32 s3, s3, 0
	s_add_i32 s5, s5, -2
	s_delay_alu instid0(SALU_CYCLE_1) | instskip(NEXT) | instid1(VALU_DEP_2)
	s_cmp_eq_u32 s5, 0
	v_add_nc_u32_e32 v4, v3, v4
	s_delay_alu instid0(VALU_DEP_2) | instskip(NEXT) | instid1(VALU_DEP_2)
	v_sub_nc_u32_e32 v5, v2, v5
	v_lshrrev_b32_e32 v2, s7, v4
	s_delay_alu instid0(VALU_DEP_2) | instskip(NEXT) | instid1(VALU_DEP_2)
	v_mul_lo_u32 v6, v5, s12
	v_mul_lo_u32 v4, v2, s11
	s_delay_alu instid0(VALU_DEP_1) | instskip(SKIP_2) | instid1(VALU_DEP_3)
	v_sub_nc_u32_e32 v3, v3, v4
	v_mul_lo_u32 v4, v5, s13
	v_mul_lo_u32 v5, v5, s14
	;; [unrolled: 1-line block ×3, first 2 shown]
	s_waitcnt lgkmcnt(0)
	v_mul_lo_u32 v8, v3, s8
	v_mul_lo_u32 v3, v3, s9
	s_delay_alu instid0(VALU_DEP_3) | instskip(NEXT) | instid1(VALU_DEP_3)
	v_add3_u32 v56, v6, v56, v7
	v_add3_u32 v1, v4, v1, v8
	s_delay_alu instid0(VALU_DEP_3)
	v_add3_u32 v0, v5, v0, v3
	s_cbranch_scc0 .LBB12_726
; %bb.727:
	s_set_inst_prefetch_distance 0x2
	s_bitcmp1_b32 s75, 0
	s_cselect_b32 s5, -1, 0
	s_delay_alu instid0(SALU_CYCLE_1)
	s_and_b32 vcc_lo, exec_lo, s5
	s_cbranch_vccnz .LBB12_730
; %bb.728:
	s_clause 0x3
	s_load_b64 s[6:7], s[2:3], 0x18
	s_load_b32 s5, s[2:3], 0x20
	s_load_b64 s[8:9], s[2:3], 0xd8
	s_load_b32 s2, s[2:3], 0xe0
	s_waitcnt lgkmcnt(0)
	v_mul_hi_u32 v3, s7, v2
	s_delay_alu instid0(VALU_DEP_1) | instskip(NEXT) | instid1(VALU_DEP_1)
	v_add_nc_u32_e32 v3, v2, v3
	v_lshrrev_b32_e32 v3, s5, v3
	s_delay_alu instid0(VALU_DEP_1) | instskip(NEXT) | instid1(VALU_DEP_1)
	v_mul_lo_u32 v3, v3, s6
	v_sub_nc_u32_e32 v6, v2, v3
	s_delay_alu instid0(VALU_DEP_1) | instskip(NEXT) | instid1(VALU_DEP_1)
	v_mad_u64_u32 v[2:3], null, v6, s8, v[56:57]
	v_mad_u64_u32 v[3:4], null, v6, s9, v[1:2]
	;; [unrolled: 1-line block ×3, first 2 shown]
	s_delay_alu instid0(VALU_DEP_2) | instskip(NEXT) | instid1(VALU_DEP_2)
	v_dual_mov_b32 v56, v2 :: v_dual_mov_b32 v1, v3
	v_mov_b32_e32 v0, v4
	s_branch .LBB12_730
.LBB12_729:
	s_mov_b32 s4, -1
                                        ; implicit-def: $vgpr56
                                        ; implicit-def: $vgpr1
                                        ; implicit-def: $vgpr0
.LBB12_730:
	s_delay_alu instid0(SALU_CYCLE_1)
	s_and_not1_b32 vcc_lo, exec_lo, s4
	s_cbranch_vccnz .LBB12_733
; %bb.731:
	v_mul_hi_u32 v0, s53, v47
	s_and_not1_b32 vcc_lo, exec_lo, s74
	s_delay_alu instid0(VALU_DEP_1) | instskip(NEXT) | instid1(VALU_DEP_1)
	v_add_nc_u32_e32 v0, v47, v0
	v_lshrrev_b32_e32 v2, s54, v0
	s_delay_alu instid0(VALU_DEP_1) | instskip(NEXT) | instid1(VALU_DEP_1)
	v_mul_lo_u32 v0, v2, s52
	v_sub_nc_u32_e32 v0, v47, v0
	s_delay_alu instid0(VALU_DEP_1)
	v_mul_lo_u32 v56, v0, s48
	v_mul_lo_u32 v1, v0, s49
	;; [unrolled: 1-line block ×3, first 2 shown]
	s_cbranch_vccnz .LBB12_733
; %bb.732:
	v_mul_hi_u32 v3, s62, v2
	s_delay_alu instid0(VALU_DEP_1) | instskip(NEXT) | instid1(VALU_DEP_1)
	v_add_nc_u32_e32 v3, v2, v3
	v_lshrrev_b32_e32 v3, s63, v3
	s_delay_alu instid0(VALU_DEP_1) | instskip(NEXT) | instid1(VALU_DEP_1)
	v_mul_lo_u32 v3, v3, s55
	v_sub_nc_u32_e32 v6, v2, v3
	s_delay_alu instid0(VALU_DEP_1) | instskip(NEXT) | instid1(VALU_DEP_1)
	v_mad_u64_u32 v[2:3], null, v6, s51, v[56:57]
	v_mad_u64_u32 v[3:4], null, v6, s60, v[1:2]
	;; [unrolled: 1-line block ×3, first 2 shown]
	s_delay_alu instid0(VALU_DEP_2) | instskip(NEXT) | instid1(VALU_DEP_2)
	v_dual_mov_b32 v56, v2 :: v_dual_mov_b32 v1, v3
	v_mov_b32_e32 v0, v4
.LBB12_733:
	v_and_b32_e64 v3, 0xff, s73
	s_delay_alu instid0(VALU_DEP_3) | instskip(NEXT) | instid1(VALU_DEP_1)
	v_add_co_u32 v1, s2, s46, v1
	v_add_co_ci_u32_e64 v2, null, s47, 0, s2
	s_delay_alu instid0(VALU_DEP_3)
	v_cmp_gt_i16_e32 vcc_lo, 11, v3
	s_mov_b32 s2, 0
	s_cbranch_vccnz .LBB12_740
; %bb.734:
	v_cmp_lt_i16_e32 vcc_lo, 25, v3
	s_cbranch_vccz .LBB12_741
; %bb.735:
	v_cmp_lt_i16_e32 vcc_lo, 28, v3
	s_cbranch_vccz .LBB12_743
	;; [unrolled: 3-line block ×4, first 2 shown]
; %bb.738:
	v_cmp_eq_u16_e32 vcc_lo, 46, v3
	s_mov_b32 s3, 0
	s_cbranch_vccz .LBB12_820
; %bb.739:
	global_load_b32 v4, v[1:2], off
	s_mov_b32 s2, -1
	s_mov_b32 s87, 0
	s_waitcnt vmcnt(0)
	v_lshlrev_b32_e32 v4, 16, v4
	s_delay_alu instid0(VALU_DEP_1)
	v_cvt_f64_f32_e32 v[43:44], v4
	s_branch .LBB12_822
.LBB12_740:
	s_mov_b32 s3, -1
	s_mov_b32 s87, s82
                                        ; implicit-def: $vgpr43_vgpr44
	s_branch .LBB12_889
.LBB12_741:
	s_mov_b32 s3, -1
	s_mov_b32 s87, s82
                                        ; implicit-def: $vgpr43_vgpr44
	s_branch .LBB12_855
.LBB12_742:
	s_mov_b32 s2, s78
	s_branch .LBB12_776
.LBB12_743:
	s_mov_b32 s3, -1
	s_mov_b32 s87, s82
                                        ; implicit-def: $vgpr43_vgpr44
	s_branch .LBB12_834
.LBB12_744:
	s_mov_b32 s2, s78
	s_branch .LBB12_759
.LBB12_745:
	s_mov_b32 s3, -1
	s_mov_b32 s87, s82
                                        ; implicit-def: $vgpr43_vgpr44
	s_branch .LBB12_829
.LBB12_746:
	s_mov_b32 s2, s78
	s_branch .LBB12_755
.LBB12_747:
	s_mov_b32 s3, -1
	s_mov_b32 s87, s82
	s_branch .LBB12_821
.LBB12_748:
	s_mov_b32 s2, s78
.LBB12_749:
	s_and_b32 vcc_lo, exec_lo, s4
	s_cbranch_vccz .LBB12_754
; %bb.750:
	v_cmp_eq_u16_e32 vcc_lo, 44, v6
	s_mov_b32 s2, -1
	s_cbranch_vccz .LBB12_754
; %bb.751:
	v_cvt_f32_f64_e32 v2, v[0:1]
	v_mov_b32_e32 v3, 0xff
	s_mov_b32 s3, exec_lo
	s_delay_alu instid0(VALU_DEP_2) | instskip(NEXT) | instid1(VALU_DEP_1)
	v_bfe_u32 v7, v2, 23, 8
	v_cmpx_ne_u32_e32 0xff, v7
; %bb.752:
	v_and_b32_e32 v3, 0x400000, v2
	v_and_or_b32 v7, 0x3fffff, v2, v7
	v_lshrrev_b32_e32 v2, 23, v2
	s_delay_alu instid0(VALU_DEP_3) | instskip(NEXT) | instid1(VALU_DEP_3)
	v_cmp_ne_u32_e32 vcc_lo, 0, v3
	v_cmp_ne_u32_e64 s2, 0, v7
	s_delay_alu instid0(VALU_DEP_1) | instskip(NEXT) | instid1(SALU_CYCLE_1)
	s_and_b32 s2, vcc_lo, s2
	v_cndmask_b32_e64 v3, 0, 1, s2
	s_delay_alu instid0(VALU_DEP_1)
	v_add_nc_u32_e32 v3, v2, v3
; %bb.753:
	s_or_b32 exec_lo, exec_lo, s3
	s_mov_b32 s3, -1
	s_mov_b32 s2, 0
	global_store_b8 v[4:5], v3, off
.LBB12_754:
	s_mov_b32 s4, 0
.LBB12_755:
	s_delay_alu instid0(SALU_CYCLE_1)
	s_and_b32 vcc_lo, exec_lo, s4
	s_cbranch_vccz .LBB12_758
; %bb.756:
	v_cmp_eq_u16_e32 vcc_lo, 29, v6
	s_mov_b32 s2, -1
	s_cbranch_vccz .LBB12_758
; %bb.757:
	v_trunc_f64_e32 v[2:3], v[0:1]
	s_mov_b32 s3, -1
	s_mov_b32 s2, 0
	s_mov_b32 s4, 0
	s_delay_alu instid0(VALU_DEP_1) | instskip(NEXT) | instid1(VALU_DEP_1)
	v_ldexp_f64 v[7:8], v[2:3], 0xffffffe0
	v_floor_f64_e32 v[7:8], v[7:8]
	s_delay_alu instid0(VALU_DEP_1) | instskip(SKIP_1) | instid1(VALU_DEP_2)
	v_fma_f64 v[2:3], 0xc1f00000, v[7:8], v[2:3]
	v_cvt_u32_f64_e32 v8, v[7:8]
	v_cvt_u32_f64_e32 v7, v[2:3]
	global_store_b64 v[4:5], v[7:8], off
	s_branch .LBB12_759
.LBB12_758:
	s_mov_b32 s4, 0
.LBB12_759:
	s_delay_alu instid0(SALU_CYCLE_1)
	s_and_b32 vcc_lo, exec_lo, s4
	s_cbranch_vccz .LBB12_775
; %bb.760:
	v_cmp_gt_i16_e32 vcc_lo, 27, v6
	s_mov_b32 s3, -1
	s_cbranch_vccnz .LBB12_766
; %bb.761:
	v_cmp_lt_i16_e32 vcc_lo, 27, v6
	s_cbranch_vccz .LBB12_763
; %bb.762:
	v_cvt_u32_f64_e32 v2, v[0:1]
	s_mov_b32 s3, 0
	global_store_b32 v[4:5], v2, off
.LBB12_763:
	s_and_not1_b32 vcc_lo, exec_lo, s3
	s_cbranch_vccnz .LBB12_765
; %bb.764:
	v_cvt_u32_f64_e32 v2, v[0:1]
	global_store_b16 v[4:5], v2, off
.LBB12_765:
	s_mov_b32 s3, 0
.LBB12_766:
	s_delay_alu instid0(SALU_CYCLE_1)
	s_and_not1_b32 vcc_lo, exec_lo, s3
	s_cbranch_vccnz .LBB12_774
; %bb.767:
	v_cvt_f32_f64_e32 v2, v[0:1]
	v_mov_b32_e32 v7, 0x80
	s_mov_b32 s3, exec_lo
	s_delay_alu instid0(VALU_DEP_2) | instskip(NEXT) | instid1(VALU_DEP_1)
	v_and_b32_e32 v3, 0x7fffffff, v2
	v_cmpx_gt_u32_e32 0x43800000, v3
	s_cbranch_execz .LBB12_773
; %bb.768:
	v_cmp_lt_u32_e32 vcc_lo, 0x3bffffff, v3
	s_mov_b32 s4, 0
                                        ; implicit-def: $vgpr3
	s_and_saveexec_b32 s5, vcc_lo
	s_delay_alu instid0(SALU_CYCLE_1)
	s_xor_b32 s5, exec_lo, s5
	s_cbranch_execz .LBB12_825
; %bb.769:
	v_bfe_u32 v3, v2, 20, 1
	s_mov_b32 s4, exec_lo
	s_delay_alu instid0(VALU_DEP_1) | instskip(NEXT) | instid1(VALU_DEP_1)
	v_add3_u32 v3, v2, v3, 0x487ffff
	v_lshrrev_b32_e32 v3, 20, v3
	s_or_saveexec_b32 s5, s5
                                        ; implicit-def: $sgpr6
	s_delay_alu instid0(SALU_CYCLE_1)
	s_xor_b32 exec_lo, exec_lo, s5
	s_cbranch_execnz .LBB12_826
.LBB12_770:
	s_or_b32 exec_lo, exec_lo, s5
	v_mov_b32_e32 v7, s6
	s_and_saveexec_b32 s5, s4
.LBB12_771:
	v_lshrrev_b32_e32 v2, 24, v2
	s_delay_alu instid0(VALU_DEP_1)
	v_and_or_b32 v7, 0x80, v2, v3
.LBB12_772:
	s_or_b32 exec_lo, exec_lo, s5
.LBB12_773:
	s_delay_alu instid0(SALU_CYCLE_1)
	s_or_b32 exec_lo, exec_lo, s3
	global_store_b8 v[4:5], v7, off
.LBB12_774:
	s_mov_b32 s3, -1
.LBB12_775:
	s_mov_b32 s4, 0
.LBB12_776:
	s_delay_alu instid0(SALU_CYCLE_1)
	s_and_b32 vcc_lo, exec_lo, s4
	s_cbranch_vccz .LBB12_817
; %bb.777:
	v_cmp_lt_i16_e32 vcc_lo, 22, v6
	s_mov_b32 s4, -1
	s_cbranch_vccz .LBB12_809
; %bb.778:
	v_cmp_gt_i16_e32 vcc_lo, 24, v6
	s_mov_b32 s3, -1
	s_cbranch_vccnz .LBB12_798
; %bb.779:
	v_cmp_lt_i16_e32 vcc_lo, 24, v6
	s_cbranch_vccz .LBB12_787
; %bb.780:
	v_cvt_f32_f64_e32 v2, v[0:1]
	v_mov_b32_e32 v7, 0x80
	s_mov_b32 s3, exec_lo
	s_delay_alu instid0(VALU_DEP_2) | instskip(NEXT) | instid1(VALU_DEP_1)
	v_and_b32_e32 v3, 0x7fffffff, v2
	v_cmpx_gt_u32_e32 0x47800000, v3
	s_cbranch_execz .LBB12_786
; %bb.781:
	v_cmp_lt_u32_e32 vcc_lo, 0x37ffffff, v3
	s_mov_b32 s4, 0
                                        ; implicit-def: $vgpr3
	s_and_saveexec_b32 s5, vcc_lo
	s_delay_alu instid0(SALU_CYCLE_1)
	s_xor_b32 s5, exec_lo, s5
	s_cbranch_execz .LBB12_952
; %bb.782:
	v_bfe_u32 v3, v2, 21, 1
	s_mov_b32 s4, exec_lo
	s_delay_alu instid0(VALU_DEP_1) | instskip(NEXT) | instid1(VALU_DEP_1)
	v_add3_u32 v3, v2, v3, 0x88fffff
	v_lshrrev_b32_e32 v3, 21, v3
	s_or_saveexec_b32 s5, s5
                                        ; implicit-def: $sgpr6
	s_delay_alu instid0(SALU_CYCLE_1)
	s_xor_b32 exec_lo, exec_lo, s5
	s_cbranch_execnz .LBB12_953
.LBB12_783:
	s_or_b32 exec_lo, exec_lo, s5
	v_mov_b32_e32 v7, s6
	s_and_saveexec_b32 s5, s4
.LBB12_784:
	v_lshrrev_b32_e32 v2, 24, v2
	s_delay_alu instid0(VALU_DEP_1)
	v_and_or_b32 v7, 0x80, v2, v3
.LBB12_785:
	s_or_b32 exec_lo, exec_lo, s5
.LBB12_786:
	s_delay_alu instid0(SALU_CYCLE_1)
	s_or_b32 exec_lo, exec_lo, s3
	s_mov_b32 s3, 0
	global_store_b8 v[4:5], v7, off
.LBB12_787:
	s_and_b32 vcc_lo, exec_lo, s3
	s_cbranch_vccz .LBB12_797
; %bb.788:
	v_cvt_f32_f64_e32 v2, v[0:1]
	s_mov_b32 s3, exec_lo
                                        ; implicit-def: $vgpr3
	s_delay_alu instid0(VALU_DEP_1) | instskip(NEXT) | instid1(VALU_DEP_1)
	v_and_b32_e32 v7, 0x7fffffff, v2
	v_cmpx_gt_u32_e32 0x43f00000, v7
	s_xor_b32 s3, exec_lo, s3
	s_cbranch_execz .LBB12_794
; %bb.789:
	s_mov_b32 s4, exec_lo
                                        ; implicit-def: $vgpr3
	v_cmpx_lt_u32_e32 0x3c7fffff, v7
	s_xor_b32 s4, exec_lo, s4
; %bb.790:
	v_bfe_u32 v3, v2, 20, 1
	s_delay_alu instid0(VALU_DEP_1) | instskip(NEXT) | instid1(VALU_DEP_1)
	v_add3_u32 v3, v2, v3, 0x407ffff
	v_and_b32_e32 v7, 0xff00000, v3
	v_lshrrev_b32_e32 v3, 20, v3
	s_delay_alu instid0(VALU_DEP_2) | instskip(NEXT) | instid1(VALU_DEP_2)
	v_cmp_ne_u32_e32 vcc_lo, 0x7f00000, v7
	v_cndmask_b32_e32 v3, 0x7e, v3, vcc_lo
; %bb.791:
	s_and_not1_saveexec_b32 s4, s4
; %bb.792:
	v_add_f32_e64 v3, 0x46800000, |v2|
; %bb.793:
	s_or_b32 exec_lo, exec_lo, s4
                                        ; implicit-def: $vgpr7
.LBB12_794:
	s_and_not1_saveexec_b32 s3, s3
; %bb.795:
	v_mov_b32_e32 v3, 0x7f
	v_cmp_lt_u32_e32 vcc_lo, 0x7f800000, v7
	s_delay_alu instid0(VALU_DEP_2)
	v_cndmask_b32_e32 v3, 0x7e, v3, vcc_lo
; %bb.796:
	s_or_b32 exec_lo, exec_lo, s3
	v_lshrrev_b32_e32 v2, 24, v2
	s_delay_alu instid0(VALU_DEP_1)
	v_and_or_b32 v2, 0x80, v2, v3
	global_store_b8 v[4:5], v2, off
.LBB12_797:
	s_mov_b32 s3, 0
.LBB12_798:
	s_delay_alu instid0(SALU_CYCLE_1)
	s_and_not1_b32 vcc_lo, exec_lo, s3
	s_cbranch_vccnz .LBB12_808
; %bb.799:
	v_cvt_f32_f64_e32 v2, v[0:1]
	s_mov_b32 s3, exec_lo
                                        ; implicit-def: $vgpr3
	s_delay_alu instid0(VALU_DEP_1) | instskip(NEXT) | instid1(VALU_DEP_1)
	v_and_b32_e32 v7, 0x7fffffff, v2
	v_cmpx_gt_u32_e32 0x47800000, v7
	s_xor_b32 s3, exec_lo, s3
	s_cbranch_execz .LBB12_805
; %bb.800:
	s_mov_b32 s4, exec_lo
                                        ; implicit-def: $vgpr3
	v_cmpx_lt_u32_e32 0x387fffff, v7
	s_xor_b32 s4, exec_lo, s4
; %bb.801:
	v_bfe_u32 v3, v2, 21, 1
	s_delay_alu instid0(VALU_DEP_1) | instskip(NEXT) | instid1(VALU_DEP_1)
	v_add3_u32 v3, v2, v3, 0x80fffff
	v_lshrrev_b32_e32 v3, 21, v3
; %bb.802:
	s_and_not1_saveexec_b32 s4, s4
; %bb.803:
	v_add_f32_e64 v3, 0x43000000, |v2|
; %bb.804:
	s_or_b32 exec_lo, exec_lo, s4
                                        ; implicit-def: $vgpr7
.LBB12_805:
	s_and_not1_saveexec_b32 s3, s3
; %bb.806:
	v_mov_b32_e32 v3, 0x7f
	v_cmp_lt_u32_e32 vcc_lo, 0x7f800000, v7
	s_delay_alu instid0(VALU_DEP_2)
	v_cndmask_b32_e32 v3, 0x7c, v3, vcc_lo
; %bb.807:
	s_or_b32 exec_lo, exec_lo, s3
	v_lshrrev_b32_e32 v2, 24, v2
	s_delay_alu instid0(VALU_DEP_1)
	v_and_or_b32 v2, 0x80, v2, v3
	global_store_b8 v[4:5], v2, off
.LBB12_808:
	s_mov_b32 s4, 0
	s_mov_b32 s3, -1
.LBB12_809:
	s_and_not1_b32 vcc_lo, exec_lo, s4
	s_cbranch_vccnz .LBB12_817
; %bb.810:
	v_cmp_lt_i16_e32 vcc_lo, 14, v6
	s_mov_b32 s4, -1
	s_cbranch_vccz .LBB12_814
; %bb.811:
	v_cmp_eq_u16_e32 vcc_lo, 15, v6
	s_mov_b32 s2, -1
	s_cbranch_vccz .LBB12_813
; %bb.812:
	v_cvt_f32_f64_e32 v2, v[0:1]
	s_mov_b32 s3, -1
	s_mov_b32 s2, 0
	s_delay_alu instid0(VALU_DEP_1) | instskip(SKIP_1) | instid1(VALU_DEP_2)
	v_bfe_u32 v3, v2, 16, 1
	v_cmp_o_f32_e32 vcc_lo, v2, v2
	v_add3_u32 v3, v2, v3, 0x7fff
	s_delay_alu instid0(VALU_DEP_1) | instskip(NEXT) | instid1(VALU_DEP_1)
	v_lshrrev_b32_e32 v3, 16, v3
	v_cndmask_b32_e32 v2, 0x7fc0, v3, vcc_lo
	global_store_b16 v[4:5], v2, off
.LBB12_813:
	s_mov_b32 s4, 0
.LBB12_814:
	s_delay_alu instid0(SALU_CYCLE_1)
	s_and_b32 vcc_lo, exec_lo, s4
	s_cbranch_vccz .LBB12_817
; %bb.815:
	v_cmp_eq_u16_e32 vcc_lo, 11, v6
	s_mov_b32 s2, -1
	s_cbranch_vccz .LBB12_817
; %bb.816:
	v_cmp_neq_f64_e32 vcc_lo, 0, v[0:1]
	s_mov_b32 s3, -1
	s_mov_b32 s2, 0
	v_cndmask_b32_e64 v2, 0, 1, vcc_lo
	global_store_b8 v[4:5], v2, off
.LBB12_817:
.LBB12_818:
	s_and_not1_b32 vcc_lo, exec_lo, s3
	s_cbranch_vccnz .LBB12_718
.LBB12_819:
	v_add_nc_u32_e32 v47, 0x80, v47
	s_mov_b32 s3, -1
	s_branch .LBB12_720
.LBB12_820:
	s_mov_b32 s87, -1
.LBB12_821:
                                        ; implicit-def: $vgpr43_vgpr44
.LBB12_822:
	s_and_b32 vcc_lo, exec_lo, s3
	s_cbranch_vccz .LBB12_828
; %bb.823:
	v_cmp_eq_u16_e32 vcc_lo, 44, v3
	s_cbranch_vccz .LBB12_827
; %bb.824:
	global_load_u8 v6, v[1:2], off
	s_mov_b32 s87, 0
	s_mov_b32 s2, -1
	s_waitcnt vmcnt(0)
	v_cmp_ne_u32_e32 vcc_lo, 0xff, v6
	v_lshlrev_b32_e32 v4, 23, v6
	s_delay_alu instid0(VALU_DEP_1) | instskip(NEXT) | instid1(VALU_DEP_1)
	v_cvt_f64_f32_e32 v[4:5], v4
	v_cndmask_b32_e32 v5, 0x7ff80000, v5, vcc_lo
	s_delay_alu instid0(VALU_DEP_2) | instskip(SKIP_1) | instid1(VALU_DEP_3)
	v_cndmask_b32_e32 v4, 0x20000000, v4, vcc_lo
	v_cmp_ne_u32_e32 vcc_lo, 0, v6
	v_cndmask_b32_e32 v44, 0x38000000, v5, vcc_lo
	s_delay_alu instid0(VALU_DEP_3)
	v_cndmask_b32_e32 v43, 0, v4, vcc_lo
	s_branch .LBB12_828
.LBB12_825:
	s_or_saveexec_b32 s5, s5
                                        ; implicit-def: $sgpr6
	s_delay_alu instid0(SALU_CYCLE_1)
	s_xor_b32 exec_lo, exec_lo, s5
	s_cbranch_execz .LBB12_770
.LBB12_826:
	v_add_f32_e64 v3, 0x46000000, |v2|
	s_and_not1_b32 s4, s4, exec_lo
	s_mov_b32 s6, 0
	s_delay_alu instid0(VALU_DEP_1) | instskip(NEXT) | instid1(VALU_DEP_1)
	v_and_b32_e32 v3, 0xff, v3
	v_cmp_ne_u32_e32 vcc_lo, 0, v3
	s_and_b32 s7, vcc_lo, exec_lo
	s_delay_alu instid0(SALU_CYCLE_1)
	s_or_b32 s4, s4, s7
	s_or_b32 exec_lo, exec_lo, s5
	v_mov_b32_e32 v7, s6
	s_and_saveexec_b32 s5, s4
	s_cbranch_execnz .LBB12_771
	s_branch .LBB12_772
.LBB12_827:
	s_mov_b32 s87, -1
                                        ; implicit-def: $vgpr43_vgpr44
.LBB12_828:
	s_mov_b32 s3, 0
.LBB12_829:
	s_delay_alu instid0(SALU_CYCLE_1)
	s_and_b32 vcc_lo, exec_lo, s3
	s_cbranch_vccz .LBB12_833
; %bb.830:
	v_cmp_eq_u16_e32 vcc_lo, 29, v3
	s_cbranch_vccz .LBB12_832
; %bb.831:
	global_load_b64 v[4:5], v[1:2], off
	s_mov_b32 s2, -1
	s_mov_b32 s87, 0
	s_mov_b32 s3, 0
	s_waitcnt vmcnt(0)
	v_cvt_f64_u32_e32 v[5:6], v5
	v_cvt_f64_u32_e32 v[7:8], v4
	s_delay_alu instid0(VALU_DEP_2) | instskip(NEXT) | instid1(VALU_DEP_1)
	v_ldexp_f64 v[5:6], v[5:6], 32
	v_add_f64 v[43:44], v[5:6], v[7:8]
	s_branch .LBB12_834
.LBB12_832:
	s_mov_b32 s87, -1
                                        ; implicit-def: $vgpr43_vgpr44
.LBB12_833:
	s_mov_b32 s3, 0
.LBB12_834:
	s_delay_alu instid0(SALU_CYCLE_1)
	s_and_b32 vcc_lo, exec_lo, s3
	s_cbranch_vccz .LBB12_854
; %bb.835:
	v_cmp_gt_i16_e32 vcc_lo, 27, v3
	s_cbranch_vccnz .LBB12_838
; %bb.836:
	v_cmp_lt_i16_e32 vcc_lo, 27, v3
	s_cbranch_vccz .LBB12_839
; %bb.837:
	global_load_b32 v4, v[1:2], off
	s_mov_b32 s2, 0
	s_waitcnt vmcnt(0)
	v_cvt_f64_u32_e32 v[43:44], v4
	s_branch .LBB12_840
.LBB12_838:
	s_mov_b32 s2, -1
                                        ; implicit-def: $vgpr43_vgpr44
	s_branch .LBB12_843
.LBB12_839:
	s_mov_b32 s2, -1
                                        ; implicit-def: $vgpr43_vgpr44
.LBB12_840:
	s_delay_alu instid0(SALU_CYCLE_1)
	s_and_not1_b32 vcc_lo, exec_lo, s2
	s_cbranch_vccnz .LBB12_842
; %bb.841:
	global_load_u16 v4, v[1:2], off
	s_waitcnt vmcnt(0)
	v_cvt_f64_u32_e32 v[43:44], v4
.LBB12_842:
	s_mov_b32 s2, 0
.LBB12_843:
	s_delay_alu instid0(SALU_CYCLE_1)
	s_and_not1_b32 vcc_lo, exec_lo, s2
	s_cbranch_vccnz .LBB12_853
; %bb.844:
	global_load_u8 v4, v[1:2], off
	s_mov_b32 s4, 0
	s_mov_b32 s5, exec_lo
                                        ; implicit-def: $sgpr2_sgpr3
	s_waitcnt vmcnt(0)
	v_cmpx_lt_i16_e32 0x7f, v4
	s_xor_b32 s5, exec_lo, s5
	s_cbranch_execz .LBB12_848
; %bb.845:
	s_mov_b32 s6, -1
	s_mov_b32 s4, exec_lo
                                        ; implicit-def: $sgpr2_sgpr3
	v_cmpx_eq_u16_e32 0x80, v4
; %bb.846:
	s_mov_b32 s3, 0x7ff80000
	s_brev_b32 s2, 4
	s_xor_b32 s6, exec_lo, -1
; %bb.847:
	s_or_b32 exec_lo, exec_lo, s4
	s_delay_alu instid0(SALU_CYCLE_1)
	s_and_b32 s4, s6, exec_lo
.LBB12_848:
	s_or_saveexec_b32 s5, s5
	v_dual_mov_b32 v44, s3 :: v_dual_mov_b32 v43, s2
	s_xor_b32 exec_lo, exec_lo, s5
; %bb.849:
	v_cmp_ne_u16_e32 vcc_lo, 0, v4
	v_mov_b32_e32 v43, 0
	v_mov_b32_e32 v44, 0
	s_and_not1_b32 s2, s4, exec_lo
	s_and_b32 s3, vcc_lo, exec_lo
	s_delay_alu instid0(SALU_CYCLE_1)
	s_or_b32 s4, s2, s3
; %bb.850:
	s_or_b32 exec_lo, exec_lo, s5
	s_and_saveexec_b32 s2, s4
	s_cbranch_execz .LBB12_852
; %bb.851:
	v_and_b32_e32 v5, 0xffff, v4
	v_lshlrev_b32_e32 v4, 24, v4
	s_delay_alu instid0(VALU_DEP_2) | instskip(NEXT) | instid1(VALU_DEP_2)
	v_and_b32_e32 v6, 7, v5
	v_and_b32_e32 v4, 0x80000000, v4
	s_delay_alu instid0(VALU_DEP_2) | instskip(NEXT) | instid1(VALU_DEP_1)
	v_clz_i32_u32_e32 v7, v6
	v_min_u32_e32 v7, 32, v7
	s_delay_alu instid0(VALU_DEP_1) | instskip(SKIP_1) | instid1(VALU_DEP_2)
	v_subrev_nc_u32_e32 v8, 28, v7
	v_sub_nc_u32_e32 v7, 29, v7
	v_lshlrev_b32_e32 v8, v8, v5
	v_bfe_u32 v5, v5, 3, 4
	s_delay_alu instid0(VALU_DEP_2) | instskip(NEXT) | instid1(VALU_DEP_2)
	v_and_b32_e32 v8, 7, v8
	v_cmp_eq_u32_e32 vcc_lo, 0, v5
	s_delay_alu instid0(VALU_DEP_2) | instskip(NEXT) | instid1(VALU_DEP_1)
	v_dual_cndmask_b32 v5, v5, v7 :: v_dual_cndmask_b32 v6, v6, v8
	v_lshl_add_u32 v5, v5, 23, 0x3b800000
	s_delay_alu instid0(VALU_DEP_2) | instskip(NEXT) | instid1(VALU_DEP_1)
	v_lshlrev_b32_e32 v6, 20, v6
	v_or3_b32 v4, v4, v5, v6
	s_delay_alu instid0(VALU_DEP_1)
	v_cvt_f64_f32_e32 v[43:44], v4
.LBB12_852:
	s_or_b32 exec_lo, exec_lo, s2
.LBB12_853:
	s_mov_b32 s2, -1
.LBB12_854:
	s_mov_b32 s3, 0
.LBB12_855:
	s_delay_alu instid0(SALU_CYCLE_1)
	s_and_b32 vcc_lo, exec_lo, s3
	s_cbranch_vccz .LBB12_888
; %bb.856:
	v_cmp_lt_i16_e32 vcc_lo, 22, v3
	s_cbranch_vccz .LBB12_868
; %bb.857:
	v_cmp_gt_i16_e32 vcc_lo, 24, v3
	s_cbranch_vccnz .LBB12_869
; %bb.858:
	v_cmp_lt_i16_e32 vcc_lo, 24, v3
	s_cbranch_vccz .LBB12_870
; %bb.859:
	global_load_u8 v4, v[1:2], off
	s_mov_b32 s4, 0
	s_mov_b32 s5, exec_lo
                                        ; implicit-def: $sgpr2_sgpr3
	s_waitcnt vmcnt(0)
	v_cmpx_lt_i16_e32 0x7f, v4
	s_xor_b32 s5, exec_lo, s5
	s_cbranch_execz .LBB12_863
; %bb.860:
	s_mov_b32 s6, -1
	s_mov_b32 s4, exec_lo
                                        ; implicit-def: $sgpr2_sgpr3
	v_cmpx_eq_u16_e32 0x80, v4
; %bb.861:
	s_mov_b32 s3, 0x7ff80000
	s_brev_b32 s2, 4
	s_xor_b32 s6, exec_lo, -1
; %bb.862:
	s_or_b32 exec_lo, exec_lo, s4
	s_delay_alu instid0(SALU_CYCLE_1)
	s_and_b32 s4, s6, exec_lo
.LBB12_863:
	s_or_saveexec_b32 s5, s5
	v_dual_mov_b32 v44, s3 :: v_dual_mov_b32 v43, s2
	s_xor_b32 exec_lo, exec_lo, s5
; %bb.864:
	v_cmp_ne_u16_e32 vcc_lo, 0, v4
	v_mov_b32_e32 v43, 0
	v_mov_b32_e32 v44, 0
	s_and_not1_b32 s2, s4, exec_lo
	s_and_b32 s3, vcc_lo, exec_lo
	s_delay_alu instid0(SALU_CYCLE_1)
	s_or_b32 s4, s2, s3
; %bb.865:
	s_or_b32 exec_lo, exec_lo, s5
	s_and_saveexec_b32 s2, s4
	s_cbranch_execz .LBB12_867
; %bb.866:
	v_and_b32_e32 v5, 0xffff, v4
	v_lshlrev_b32_e32 v4, 24, v4
	s_delay_alu instid0(VALU_DEP_2) | instskip(NEXT) | instid1(VALU_DEP_2)
	v_and_b32_e32 v6, 3, v5
	v_and_b32_e32 v4, 0x80000000, v4
	s_delay_alu instid0(VALU_DEP_2) | instskip(NEXT) | instid1(VALU_DEP_1)
	v_clz_i32_u32_e32 v7, v6
	v_min_u32_e32 v7, 32, v7
	s_delay_alu instid0(VALU_DEP_1) | instskip(SKIP_1) | instid1(VALU_DEP_2)
	v_subrev_nc_u32_e32 v8, 29, v7
	v_sub_nc_u32_e32 v7, 30, v7
	v_lshlrev_b32_e32 v8, v8, v5
	v_bfe_u32 v5, v5, 2, 5
	s_delay_alu instid0(VALU_DEP_2) | instskip(NEXT) | instid1(VALU_DEP_2)
	v_and_b32_e32 v8, 3, v8
	v_cmp_eq_u32_e32 vcc_lo, 0, v5
	s_delay_alu instid0(VALU_DEP_2) | instskip(NEXT) | instid1(VALU_DEP_1)
	v_dual_cndmask_b32 v5, v5, v7 :: v_dual_cndmask_b32 v6, v6, v8
	v_lshl_add_u32 v5, v5, 23, 0x37800000
	s_delay_alu instid0(VALU_DEP_2) | instskip(NEXT) | instid1(VALU_DEP_1)
	v_lshlrev_b32_e32 v6, 21, v6
	v_or3_b32 v4, v4, v5, v6
	s_delay_alu instid0(VALU_DEP_1)
	v_cvt_f64_f32_e32 v[43:44], v4
.LBB12_867:
	s_or_b32 exec_lo, exec_lo, s2
	s_mov_b32 s2, 0
	s_branch .LBB12_871
.LBB12_868:
	s_mov_b32 s3, -1
                                        ; implicit-def: $vgpr43_vgpr44
	s_branch .LBB12_877
.LBB12_869:
	s_mov_b32 s2, -1
                                        ; implicit-def: $vgpr43_vgpr44
	s_branch .LBB12_874
.LBB12_870:
	s_mov_b32 s2, -1
                                        ; implicit-def: $vgpr43_vgpr44
.LBB12_871:
	s_delay_alu instid0(SALU_CYCLE_1)
	s_and_b32 vcc_lo, exec_lo, s2
	s_cbranch_vccz .LBB12_873
; %bb.872:
	global_load_u8 v4, v[1:2], off
	s_waitcnt vmcnt(0)
	v_lshlrev_b32_e32 v4, 24, v4
	s_delay_alu instid0(VALU_DEP_1) | instskip(NEXT) | instid1(VALU_DEP_1)
	v_and_b32_e32 v5, 0x7f000000, v4
	v_clz_i32_u32_e32 v6, v5
	v_add_nc_u32_e32 v8, 0x1000000, v5
	v_cmp_ne_u32_e32 vcc_lo, 0, v5
	s_delay_alu instid0(VALU_DEP_3) | instskip(NEXT) | instid1(VALU_DEP_1)
	v_min_u32_e32 v6, 32, v6
	v_sub_nc_u32_e64 v6, v6, 4 clamp
	s_delay_alu instid0(VALU_DEP_1) | instskip(SKIP_1) | instid1(VALU_DEP_2)
	v_lshlrev_b32_e32 v7, v6, v5
	v_lshlrev_b32_e32 v6, 23, v6
	v_lshrrev_b32_e32 v7, 4, v7
	s_delay_alu instid0(VALU_DEP_1) | instskip(SKIP_1) | instid1(VALU_DEP_2)
	v_sub_nc_u32_e32 v6, v7, v6
	v_ashrrev_i32_e32 v7, 8, v8
	v_add_nc_u32_e32 v6, 0x3c000000, v6
	s_delay_alu instid0(VALU_DEP_1) | instskip(NEXT) | instid1(VALU_DEP_1)
	v_and_or_b32 v6, 0x7f800000, v7, v6
	v_cndmask_b32_e32 v5, 0, v6, vcc_lo
	s_delay_alu instid0(VALU_DEP_1) | instskip(NEXT) | instid1(VALU_DEP_1)
	v_and_or_b32 v4, 0x80000000, v4, v5
	v_cvt_f64_f32_e32 v[43:44], v4
.LBB12_873:
	s_mov_b32 s2, 0
.LBB12_874:
	s_delay_alu instid0(SALU_CYCLE_1)
	s_and_not1_b32 vcc_lo, exec_lo, s2
	s_cbranch_vccnz .LBB12_876
; %bb.875:
	global_load_u8 v4, v[1:2], off
	s_waitcnt vmcnt(0)
	v_lshlrev_b32_e32 v5, 25, v4
	v_lshlrev_b16 v4, 8, v4
	s_delay_alu instid0(VALU_DEP_2) | instskip(NEXT) | instid1(VALU_DEP_2)
	v_lshrrev_b32_e32 v6, 4, v5
	v_and_or_b32 v7, 0x7f00, v4, 0.5
	v_bfe_i32 v4, v4, 0, 16
	s_delay_alu instid0(VALU_DEP_3) | instskip(NEXT) | instid1(VALU_DEP_1)
	v_or_b32_e32 v6, 0x70000000, v6
	v_dual_add_f32 v7, -0.5, v7 :: v_dual_mul_f32 v6, 0x7800000, v6
	v_cmp_gt_u32_e32 vcc_lo, 0x8000000, v5
	s_delay_alu instid0(VALU_DEP_2) | instskip(NEXT) | instid1(VALU_DEP_1)
	v_cndmask_b32_e32 v5, v6, v7, vcc_lo
	v_and_or_b32 v4, 0x80000000, v4, v5
	s_delay_alu instid0(VALU_DEP_1)
	v_cvt_f64_f32_e32 v[43:44], v4
.LBB12_876:
	s_mov_b32 s3, 0
	s_mov_b32 s2, -1
.LBB12_877:
	s_and_not1_b32 vcc_lo, exec_lo, s3
	s_cbranch_vccnz .LBB12_888
; %bb.878:
	v_cmp_lt_i16_e32 vcc_lo, 14, v3
	s_cbranch_vccz .LBB12_881
; %bb.879:
	v_cmp_eq_u16_e32 vcc_lo, 15, v3
	s_cbranch_vccz .LBB12_882
; %bb.880:
	global_load_u16 v4, v[1:2], off
	s_mov_b32 s2, -1
	s_mov_b32 s87, 0
	s_waitcnt vmcnt(0)
	v_lshlrev_b32_e32 v4, 16, v4
	s_delay_alu instid0(VALU_DEP_1)
	v_cvt_f64_f32_e32 v[43:44], v4
	s_branch .LBB12_883
.LBB12_881:
	s_mov_b32 s3, -1
                                        ; implicit-def: $vgpr43_vgpr44
	s_branch .LBB12_884
.LBB12_882:
	s_mov_b32 s87, -1
                                        ; implicit-def: $vgpr43_vgpr44
.LBB12_883:
	s_mov_b32 s3, 0
.LBB12_884:
	s_delay_alu instid0(SALU_CYCLE_1)
	s_and_b32 vcc_lo, exec_lo, s3
	s_cbranch_vccz .LBB12_888
; %bb.885:
	v_cmp_eq_u16_e32 vcc_lo, 11, v3
	s_cbranch_vccz .LBB12_887
; %bb.886:
	global_load_u8 v4, v[1:2], off
	s_waitcnt vmcnt(1)
	v_mov_b32_e32 v43, 0
	s_mov_b32 s87, 0
	s_mov_b32 s2, -1
	s_waitcnt vmcnt(0)
	v_cmp_ne_u16_e32 vcc_lo, 0, v4
	v_cndmask_b32_e64 v44, 0, 0x3ff00000, vcc_lo
	s_branch .LBB12_888
.LBB12_887:
	s_mov_b32 s87, -1
                                        ; implicit-def: $vgpr43_vgpr44
.LBB12_888:
	s_mov_b32 s3, 0
.LBB12_889:
	s_delay_alu instid0(SALU_CYCLE_1)
	s_and_b32 vcc_lo, exec_lo, s3
	s_cbranch_vccz .LBB12_938
; %bb.890:
	v_cmp_gt_i16_e32 vcc_lo, 5, v3
	s_cbranch_vccnz .LBB12_895
; %bb.891:
	v_cmp_gt_i16_e32 vcc_lo, 8, v3
	s_cbranch_vccnz .LBB12_896
	;; [unrolled: 3-line block ×3, first 2 shown]
; %bb.893:
	v_cmp_lt_i16_e32 vcc_lo, 9, v3
	s_cbranch_vccz .LBB12_898
; %bb.894:
	global_load_b64 v[43:44], v[1:2], off
	s_mov_b32 s2, 0
	s_branch .LBB12_899
.LBB12_895:
	s_mov_b32 s2, -1
                                        ; implicit-def: $vgpr43_vgpr44
	s_branch .LBB12_917
.LBB12_896:
	s_mov_b32 s2, -1
                                        ; implicit-def: $vgpr43_vgpr44
	s_branch .LBB12_905
.LBB12_897:
	s_mov_b32 s2, -1
                                        ; implicit-def: $vgpr43_vgpr44
	s_branch .LBB12_902
.LBB12_898:
	s_mov_b32 s2, -1
                                        ; implicit-def: $vgpr43_vgpr44
.LBB12_899:
	s_delay_alu instid0(SALU_CYCLE_1)
	s_and_not1_b32 vcc_lo, exec_lo, s2
	s_cbranch_vccnz .LBB12_901
; %bb.900:
	global_load_b32 v4, v[1:2], off
	s_waitcnt vmcnt(0)
	v_cvt_f64_f32_e32 v[43:44], v4
.LBB12_901:
	s_mov_b32 s2, 0
.LBB12_902:
	s_delay_alu instid0(SALU_CYCLE_1)
	s_and_not1_b32 vcc_lo, exec_lo, s2
	s_cbranch_vccnz .LBB12_904
; %bb.903:
	global_load_b32 v4, v[1:2], off
	s_waitcnt vmcnt(0)
	v_cvt_f32_f16_e32 v4, v4
	s_delay_alu instid0(VALU_DEP_1)
	v_cvt_f64_f32_e32 v[43:44], v4
.LBB12_904:
	s_mov_b32 s2, 0
.LBB12_905:
	s_delay_alu instid0(SALU_CYCLE_1)
	s_and_not1_b32 vcc_lo, exec_lo, s2
	s_cbranch_vccnz .LBB12_916
; %bb.906:
	v_cmp_gt_i16_e32 vcc_lo, 6, v3
	s_cbranch_vccnz .LBB12_909
; %bb.907:
	v_cmp_lt_i16_e32 vcc_lo, 6, v3
	s_cbranch_vccz .LBB12_910
; %bb.908:
	global_load_b64 v[43:44], v[1:2], off
	s_mov_b32 s2, 0
	s_branch .LBB12_911
.LBB12_909:
	s_mov_b32 s2, -1
                                        ; implicit-def: $vgpr43_vgpr44
	s_branch .LBB12_914
.LBB12_910:
	s_mov_b32 s2, -1
                                        ; implicit-def: $vgpr43_vgpr44
.LBB12_911:
	s_delay_alu instid0(SALU_CYCLE_1)
	s_and_not1_b32 vcc_lo, exec_lo, s2
	s_cbranch_vccnz .LBB12_913
; %bb.912:
	global_load_b32 v4, v[1:2], off
	s_waitcnt vmcnt(0)
	v_cvt_f64_f32_e32 v[43:44], v4
.LBB12_913:
	s_mov_b32 s2, 0
.LBB12_914:
	s_delay_alu instid0(SALU_CYCLE_1)
	s_and_not1_b32 vcc_lo, exec_lo, s2
	s_cbranch_vccnz .LBB12_916
; %bb.915:
	global_load_u16 v4, v[1:2], off
	s_waitcnt vmcnt(0)
	v_cvt_f32_f16_e32 v4, v4
	s_delay_alu instid0(VALU_DEP_1)
	v_cvt_f64_f32_e32 v[43:44], v4
.LBB12_916:
	s_mov_b32 s2, 0
.LBB12_917:
	s_delay_alu instid0(SALU_CYCLE_1)
	s_and_not1_b32 vcc_lo, exec_lo, s2
	s_cbranch_vccnz .LBB12_937
; %bb.918:
	v_cmp_gt_i16_e32 vcc_lo, 2, v3
	s_cbranch_vccnz .LBB12_922
; %bb.919:
	v_cmp_gt_i16_e32 vcc_lo, 3, v3
	s_cbranch_vccnz .LBB12_923
; %bb.920:
	v_cmp_lt_i16_e32 vcc_lo, 3, v3
	s_cbranch_vccz .LBB12_924
; %bb.921:
	global_load_b64 v[4:5], v[1:2], off
	s_mov_b32 s2, 0
	s_waitcnt vmcnt(0)
	v_cvt_f64_i32_e32 v[5:6], v5
	v_cvt_f64_u32_e32 v[7:8], v4
	s_delay_alu instid0(VALU_DEP_2) | instskip(NEXT) | instid1(VALU_DEP_1)
	v_ldexp_f64 v[5:6], v[5:6], 32
	v_add_f64 v[43:44], v[5:6], v[7:8]
	s_branch .LBB12_925
.LBB12_922:
	s_mov_b32 s2, -1
                                        ; implicit-def: $vgpr43_vgpr44
	s_branch .LBB12_931
.LBB12_923:
	s_mov_b32 s2, -1
                                        ; implicit-def: $vgpr43_vgpr44
	s_branch .LBB12_928
.LBB12_924:
	s_mov_b32 s2, -1
                                        ; implicit-def: $vgpr43_vgpr44
.LBB12_925:
	s_delay_alu instid0(SALU_CYCLE_1)
	s_and_not1_b32 vcc_lo, exec_lo, s2
	s_cbranch_vccnz .LBB12_927
; %bb.926:
	global_load_b32 v4, v[1:2], off
	s_waitcnt vmcnt(0)
	v_cvt_f64_i32_e32 v[43:44], v4
.LBB12_927:
	s_mov_b32 s2, 0
.LBB12_928:
	s_delay_alu instid0(SALU_CYCLE_1)
	s_and_not1_b32 vcc_lo, exec_lo, s2
	s_cbranch_vccnz .LBB12_930
; %bb.929:
	global_load_i16 v4, v[1:2], off
	s_waitcnt vmcnt(0)
	v_cvt_f64_i32_e32 v[43:44], v4
.LBB12_930:
	s_mov_b32 s2, 0
.LBB12_931:
	s_delay_alu instid0(SALU_CYCLE_1)
	s_and_not1_b32 vcc_lo, exec_lo, s2
	s_cbranch_vccnz .LBB12_937
; %bb.932:
	v_cmp_lt_i16_e32 vcc_lo, 0, v3
	s_mov_b32 s2, 0
	s_cbranch_vccz .LBB12_934
; %bb.933:
	global_load_i8 v3, v[1:2], off
	s_waitcnt vmcnt(0)
	v_cvt_f64_i32_e32 v[43:44], v3
	s_branch .LBB12_935
.LBB12_934:
	s_mov_b32 s2, -1
                                        ; implicit-def: $vgpr43_vgpr44
.LBB12_935:
	s_delay_alu instid0(SALU_CYCLE_1)
	s_and_not1_b32 vcc_lo, exec_lo, s2
	s_cbranch_vccnz .LBB12_937
; %bb.936:
	global_load_u8 v1, v[1:2], off
	s_waitcnt vmcnt(0)
	v_cvt_f64_u32_e32 v[43:44], v1
.LBB12_937:
	s_mov_b32 s2, -1
.LBB12_938:
	s_delay_alu instid0(SALU_CYCLE_1)
	s_and_not1_b32 vcc_lo, exec_lo, s2
	s_cbranch_vccnz .LBB12_946
; %bb.939:
	v_cmp_lt_i16_e64 s2, s72, 11
	v_add_co_u32 v0, s3, s58, v0
	s_delay_alu instid0(VALU_DEP_1) | instskip(NEXT) | instid1(VALU_DEP_3)
	v_add_co_ci_u32_e64 v1, null, s59, 0, s3
	s_and_b32 vcc_lo, exec_lo, s2
	s_mov_b32 s2, 0
	s_cbranch_vccnz .LBB12_947
; %bb.940:
	v_cmp_gt_i16_e64 s2, s72, 25
	s_delay_alu instid0(VALU_DEP_1)
	s_and_b32 vcc_lo, exec_lo, s2
	s_cbranch_vccz .LBB12_948
; %bb.941:
	v_cmp_gt_i16_e64 s2, s72, 28
	s_delay_alu instid0(VALU_DEP_1)
	s_and_b32 vcc_lo, exec_lo, s2
	s_cbranch_vccz .LBB12_949
	;; [unrolled: 5-line block ×4, first 2 shown]
; %bb.944:
	v_cmp_eq_u16_e64 s2, s72, 46
	s_mov_b32 s3, 0
	s_delay_alu instid0(VALU_DEP_1)
	s_and_b32 vcc_lo, exec_lo, s2
	s_cbranch_vccz .LBB12_954
; %bb.945:
	global_load_b32 v2, v[0:1], off
	s_mov_b32 s2, -1
	s_mov_b32 s88, 0
	s_waitcnt vmcnt(0)
	v_lshlrev_b32_e32 v2, 16, v2
	s_delay_alu instid0(VALU_DEP_1)
	v_cvt_f64_f32_e32 v[45:46], v2
	s_branch .LBB12_956
.LBB12_946:
	s_mov_b32 s3, 0
	s_mov_b32 s2, s83
	;; [unrolled: 1-line block ×3, first 2 shown]
	s_branch .LBB12_1124
.LBB12_947:
	s_mov_b32 s3, -1
	s_mov_b32 s88, s84
                                        ; implicit-def: $vgpr45_vgpr46
	s_branch .LBB12_1021
.LBB12_948:
	s_mov_b32 s3, -1
	s_mov_b32 s2, 0
	s_mov_b32 s88, s84
                                        ; implicit-def: $vgpr45_vgpr46
	s_branch .LBB12_987
.LBB12_949:
	s_mov_b32 s3, -1
	s_mov_b32 s2, 0
	s_mov_b32 s88, s84
                                        ; implicit-def: $vgpr45_vgpr46
	s_branch .LBB12_966
.LBB12_950:
	s_mov_b32 s3, -1
	s_mov_b32 s2, 0
	s_mov_b32 s88, s84
                                        ; implicit-def: $vgpr45_vgpr46
	s_branch .LBB12_961
.LBB12_951:
	s_mov_b32 s3, -1
	s_mov_b32 s2, 0
	s_mov_b32 s88, s84
	s_branch .LBB12_955
.LBB12_952:
	s_or_saveexec_b32 s5, s5
                                        ; implicit-def: $sgpr6
	s_delay_alu instid0(SALU_CYCLE_1)
	s_xor_b32 exec_lo, exec_lo, s5
	s_cbranch_execz .LBB12_783
.LBB12_953:
	v_add_f32_e64 v3, 0x42800000, |v2|
	s_and_not1_b32 s4, s4, exec_lo
	s_mov_b32 s6, 0
	s_delay_alu instid0(VALU_DEP_1) | instskip(NEXT) | instid1(VALU_DEP_1)
	v_and_b32_e32 v3, 0xff, v3
	v_cmp_ne_u32_e32 vcc_lo, 0, v3
	s_and_b32 s7, vcc_lo, exec_lo
	s_delay_alu instid0(SALU_CYCLE_1)
	s_or_b32 s4, s4, s7
	s_or_b32 exec_lo, exec_lo, s5
	v_mov_b32_e32 v7, s6
	s_and_saveexec_b32 s5, s4
	s_cbranch_execnz .LBB12_784
	s_branch .LBB12_785
.LBB12_954:
	s_mov_b32 s88, -1
	s_mov_b32 s2, 0
.LBB12_955:
                                        ; implicit-def: $vgpr45_vgpr46
.LBB12_956:
	s_and_b32 vcc_lo, exec_lo, s3
	s_cbranch_vccz .LBB12_960
; %bb.957:
	v_cmp_eq_u16_e64 s3, s72, 44
	s_delay_alu instid0(VALU_DEP_1)
	s_and_b32 vcc_lo, exec_lo, s3
	s_cbranch_vccz .LBB12_959
; %bb.958:
	global_load_u8 v4, v[0:1], off
	s_mov_b32 s88, 0
	s_mov_b32 s2, -1
	s_waitcnt vmcnt(0)
	v_cmp_ne_u32_e32 vcc_lo, 0xff, v4
	v_lshlrev_b32_e32 v2, 23, v4
	s_delay_alu instid0(VALU_DEP_1) | instskip(NEXT) | instid1(VALU_DEP_1)
	v_cvt_f64_f32_e32 v[2:3], v2
	v_cndmask_b32_e32 v3, 0x7ff80000, v3, vcc_lo
	s_delay_alu instid0(VALU_DEP_2) | instskip(SKIP_1) | instid1(VALU_DEP_3)
	v_cndmask_b32_e32 v2, 0x20000000, v2, vcc_lo
	v_cmp_ne_u32_e32 vcc_lo, 0, v4
	v_cndmask_b32_e32 v46, 0x38000000, v3, vcc_lo
	s_delay_alu instid0(VALU_DEP_3)
	v_cndmask_b32_e32 v45, 0, v2, vcc_lo
	s_branch .LBB12_960
.LBB12_959:
	s_mov_b32 s88, -1
                                        ; implicit-def: $vgpr45_vgpr46
.LBB12_960:
	s_mov_b32 s3, 0
.LBB12_961:
	s_delay_alu instid0(SALU_CYCLE_1)
	s_and_b32 vcc_lo, exec_lo, s3
	s_cbranch_vccz .LBB12_965
; %bb.962:
	v_cmp_eq_u16_e64 s3, s72, 29
	s_delay_alu instid0(VALU_DEP_1)
	s_and_b32 vcc_lo, exec_lo, s3
	s_cbranch_vccz .LBB12_964
; %bb.963:
	global_load_b64 v[2:3], v[0:1], off
	s_mov_b32 s2, -1
	s_mov_b32 s88, 0
	s_mov_b32 s3, 0
	s_waitcnt vmcnt(0)
	v_cvt_f64_u32_e32 v[3:4], v3
	v_cvt_f64_u32_e32 v[5:6], v2
	s_delay_alu instid0(VALU_DEP_2) | instskip(NEXT) | instid1(VALU_DEP_1)
	v_ldexp_f64 v[3:4], v[3:4], 32
	v_add_f64 v[45:46], v[3:4], v[5:6]
	s_branch .LBB12_966
.LBB12_964:
	s_mov_b32 s88, -1
                                        ; implicit-def: $vgpr45_vgpr46
.LBB12_965:
	s_mov_b32 s3, 0
.LBB12_966:
	s_delay_alu instid0(SALU_CYCLE_1)
	s_and_b32 vcc_lo, exec_lo, s3
	s_cbranch_vccz .LBB12_986
; %bb.967:
	v_cmp_lt_i16_e64 s2, s72, 27
	s_delay_alu instid0(VALU_DEP_1)
	s_and_b32 vcc_lo, exec_lo, s2
	s_cbranch_vccnz .LBB12_970
; %bb.968:
	v_cmp_gt_i16_e64 s2, s72, 27
	s_delay_alu instid0(VALU_DEP_1)
	s_and_b32 vcc_lo, exec_lo, s2
	s_cbranch_vccz .LBB12_971
; %bb.969:
	global_load_b32 v2, v[0:1], off
	s_mov_b32 s2, 0
	s_waitcnt vmcnt(0)
	v_cvt_f64_u32_e32 v[45:46], v2
	s_branch .LBB12_972
.LBB12_970:
	s_mov_b32 s2, -1
                                        ; implicit-def: $vgpr45_vgpr46
	s_branch .LBB12_975
.LBB12_971:
	s_mov_b32 s2, -1
                                        ; implicit-def: $vgpr45_vgpr46
.LBB12_972:
	s_delay_alu instid0(SALU_CYCLE_1)
	s_and_not1_b32 vcc_lo, exec_lo, s2
	s_cbranch_vccnz .LBB12_974
; %bb.973:
	global_load_u16 v2, v[0:1], off
	s_waitcnt vmcnt(0)
	v_cvt_f64_u32_e32 v[45:46], v2
.LBB12_974:
	s_mov_b32 s2, 0
.LBB12_975:
	s_delay_alu instid0(SALU_CYCLE_1)
	s_and_not1_b32 vcc_lo, exec_lo, s2
	s_cbranch_vccnz .LBB12_985
; %bb.976:
	global_load_u8 v2, v[0:1], off
	s_mov_b32 s4, 0
	s_mov_b32 s5, exec_lo
                                        ; implicit-def: $sgpr2_sgpr3
	s_waitcnt vmcnt(0)
	v_cmpx_lt_i16_e32 0x7f, v2
	s_xor_b32 s5, exec_lo, s5
	s_cbranch_execz .LBB12_980
; %bb.977:
	s_mov_b32 s6, -1
	s_mov_b32 s4, exec_lo
                                        ; implicit-def: $sgpr2_sgpr3
	v_cmpx_eq_u16_e32 0x80, v2
; %bb.978:
	s_mov_b32 s3, 0x7ff80000
	s_brev_b32 s2, 4
	s_xor_b32 s6, exec_lo, -1
; %bb.979:
	s_or_b32 exec_lo, exec_lo, s4
	s_delay_alu instid0(SALU_CYCLE_1)
	s_and_b32 s4, s6, exec_lo
.LBB12_980:
	s_or_saveexec_b32 s5, s5
	v_dual_mov_b32 v46, s3 :: v_dual_mov_b32 v45, s2
	s_xor_b32 exec_lo, exec_lo, s5
; %bb.981:
	v_cmp_ne_u16_e32 vcc_lo, 0, v2
	v_mov_b32_e32 v45, 0
	v_mov_b32_e32 v46, 0
	s_and_not1_b32 s2, s4, exec_lo
	s_and_b32 s3, vcc_lo, exec_lo
	s_delay_alu instid0(SALU_CYCLE_1)
	s_or_b32 s4, s2, s3
; %bb.982:
	s_or_b32 exec_lo, exec_lo, s5
	s_and_saveexec_b32 s2, s4
	s_cbranch_execz .LBB12_984
; %bb.983:
	v_and_b32_e32 v3, 0xffff, v2
	v_lshlrev_b32_e32 v2, 24, v2
	s_delay_alu instid0(VALU_DEP_2) | instskip(NEXT) | instid1(VALU_DEP_2)
	v_and_b32_e32 v4, 7, v3
	v_and_b32_e32 v2, 0x80000000, v2
	s_delay_alu instid0(VALU_DEP_2) | instskip(NEXT) | instid1(VALU_DEP_1)
	v_clz_i32_u32_e32 v5, v4
	v_min_u32_e32 v5, 32, v5
	s_delay_alu instid0(VALU_DEP_1) | instskip(SKIP_1) | instid1(VALU_DEP_2)
	v_subrev_nc_u32_e32 v6, 28, v5
	v_sub_nc_u32_e32 v5, 29, v5
	v_lshlrev_b32_e32 v6, v6, v3
	v_bfe_u32 v3, v3, 3, 4
	s_delay_alu instid0(VALU_DEP_2) | instskip(NEXT) | instid1(VALU_DEP_2)
	v_and_b32_e32 v6, 7, v6
	v_cmp_eq_u32_e32 vcc_lo, 0, v3
	s_delay_alu instid0(VALU_DEP_2) | instskip(NEXT) | instid1(VALU_DEP_1)
	v_dual_cndmask_b32 v3, v3, v5 :: v_dual_cndmask_b32 v4, v4, v6
	v_lshl_add_u32 v3, v3, 23, 0x3b800000
	s_delay_alu instid0(VALU_DEP_2) | instskip(NEXT) | instid1(VALU_DEP_1)
	v_lshlrev_b32_e32 v4, 20, v4
	v_or3_b32 v2, v2, v3, v4
	s_delay_alu instid0(VALU_DEP_1)
	v_cvt_f64_f32_e32 v[45:46], v2
.LBB12_984:
	s_or_b32 exec_lo, exec_lo, s2
.LBB12_985:
	s_mov_b32 s2, -1
.LBB12_986:
	s_mov_b32 s3, 0
.LBB12_987:
	s_delay_alu instid0(SALU_CYCLE_1)
	s_and_b32 vcc_lo, exec_lo, s3
	s_cbranch_vccz .LBB12_1020
; %bb.988:
	v_cmp_gt_i16_e64 s3, s72, 22
	s_delay_alu instid0(VALU_DEP_1)
	s_and_b32 vcc_lo, exec_lo, s3
	s_cbranch_vccz .LBB12_1000
; %bb.989:
	v_cmp_lt_i16_e64 s2, s72, 24
	s_delay_alu instid0(VALU_DEP_1)
	s_and_b32 vcc_lo, exec_lo, s2
	s_cbranch_vccnz .LBB12_1001
; %bb.990:
	v_cmp_gt_i16_e64 s2, s72, 24
	s_delay_alu instid0(VALU_DEP_1)
	s_and_b32 vcc_lo, exec_lo, s2
	s_cbranch_vccz .LBB12_1002
; %bb.991:
	global_load_u8 v2, v[0:1], off
	s_mov_b32 s4, 0
	s_mov_b32 s5, exec_lo
                                        ; implicit-def: $sgpr2_sgpr3
	s_waitcnt vmcnt(0)
	v_cmpx_lt_i16_e32 0x7f, v2
	s_xor_b32 s5, exec_lo, s5
	s_cbranch_execz .LBB12_995
; %bb.992:
	s_mov_b32 s6, -1
	s_mov_b32 s4, exec_lo
                                        ; implicit-def: $sgpr2_sgpr3
	v_cmpx_eq_u16_e32 0x80, v2
; %bb.993:
	s_mov_b32 s3, 0x7ff80000
	s_brev_b32 s2, 4
	s_xor_b32 s6, exec_lo, -1
; %bb.994:
	s_or_b32 exec_lo, exec_lo, s4
	s_delay_alu instid0(SALU_CYCLE_1)
	s_and_b32 s4, s6, exec_lo
.LBB12_995:
	s_or_saveexec_b32 s5, s5
	v_dual_mov_b32 v46, s3 :: v_dual_mov_b32 v45, s2
	s_xor_b32 exec_lo, exec_lo, s5
; %bb.996:
	v_cmp_ne_u16_e32 vcc_lo, 0, v2
	v_mov_b32_e32 v45, 0
	v_mov_b32_e32 v46, 0
	s_and_not1_b32 s2, s4, exec_lo
	s_and_b32 s3, vcc_lo, exec_lo
	s_delay_alu instid0(SALU_CYCLE_1)
	s_or_b32 s4, s2, s3
; %bb.997:
	s_or_b32 exec_lo, exec_lo, s5
	s_and_saveexec_b32 s2, s4
	s_cbranch_execz .LBB12_999
; %bb.998:
	v_and_b32_e32 v3, 0xffff, v2
	v_lshlrev_b32_e32 v2, 24, v2
	s_delay_alu instid0(VALU_DEP_2) | instskip(NEXT) | instid1(VALU_DEP_2)
	v_and_b32_e32 v4, 3, v3
	v_and_b32_e32 v2, 0x80000000, v2
	s_delay_alu instid0(VALU_DEP_2) | instskip(NEXT) | instid1(VALU_DEP_1)
	v_clz_i32_u32_e32 v5, v4
	v_min_u32_e32 v5, 32, v5
	s_delay_alu instid0(VALU_DEP_1) | instskip(SKIP_1) | instid1(VALU_DEP_2)
	v_subrev_nc_u32_e32 v6, 29, v5
	v_sub_nc_u32_e32 v5, 30, v5
	v_lshlrev_b32_e32 v6, v6, v3
	v_bfe_u32 v3, v3, 2, 5
	s_delay_alu instid0(VALU_DEP_2) | instskip(NEXT) | instid1(VALU_DEP_2)
	v_and_b32_e32 v6, 3, v6
	v_cmp_eq_u32_e32 vcc_lo, 0, v3
	s_delay_alu instid0(VALU_DEP_2) | instskip(NEXT) | instid1(VALU_DEP_1)
	v_dual_cndmask_b32 v3, v3, v5 :: v_dual_cndmask_b32 v4, v4, v6
	v_lshl_add_u32 v3, v3, 23, 0x37800000
	s_delay_alu instid0(VALU_DEP_2) | instskip(NEXT) | instid1(VALU_DEP_1)
	v_lshlrev_b32_e32 v4, 21, v4
	v_or3_b32 v2, v2, v3, v4
	s_delay_alu instid0(VALU_DEP_1)
	v_cvt_f64_f32_e32 v[45:46], v2
.LBB12_999:
	s_or_b32 exec_lo, exec_lo, s2
	s_mov_b32 s2, 0
	s_branch .LBB12_1003
.LBB12_1000:
	s_mov_b32 s3, -1
                                        ; implicit-def: $vgpr45_vgpr46
	s_branch .LBB12_1009
.LBB12_1001:
	s_mov_b32 s2, -1
                                        ; implicit-def: $vgpr45_vgpr46
	s_branch .LBB12_1006
.LBB12_1002:
	s_mov_b32 s2, -1
                                        ; implicit-def: $vgpr45_vgpr46
.LBB12_1003:
	s_delay_alu instid0(SALU_CYCLE_1)
	s_and_b32 vcc_lo, exec_lo, s2
	s_cbranch_vccz .LBB12_1005
; %bb.1004:
	global_load_u8 v2, v[0:1], off
	s_waitcnt vmcnt(0)
	v_lshlrev_b32_e32 v2, 24, v2
	s_delay_alu instid0(VALU_DEP_1) | instskip(NEXT) | instid1(VALU_DEP_1)
	v_and_b32_e32 v3, 0x7f000000, v2
	v_clz_i32_u32_e32 v4, v3
	v_add_nc_u32_e32 v6, 0x1000000, v3
	v_cmp_ne_u32_e32 vcc_lo, 0, v3
	s_delay_alu instid0(VALU_DEP_3) | instskip(NEXT) | instid1(VALU_DEP_1)
	v_min_u32_e32 v4, 32, v4
	v_sub_nc_u32_e64 v4, v4, 4 clamp
	s_delay_alu instid0(VALU_DEP_1) | instskip(SKIP_1) | instid1(VALU_DEP_2)
	v_lshlrev_b32_e32 v5, v4, v3
	v_lshlrev_b32_e32 v4, 23, v4
	v_lshrrev_b32_e32 v5, 4, v5
	s_delay_alu instid0(VALU_DEP_1) | instskip(SKIP_1) | instid1(VALU_DEP_2)
	v_sub_nc_u32_e32 v4, v5, v4
	v_ashrrev_i32_e32 v5, 8, v6
	v_add_nc_u32_e32 v4, 0x3c000000, v4
	s_delay_alu instid0(VALU_DEP_1) | instskip(NEXT) | instid1(VALU_DEP_1)
	v_and_or_b32 v4, 0x7f800000, v5, v4
	v_cndmask_b32_e32 v3, 0, v4, vcc_lo
	s_delay_alu instid0(VALU_DEP_1) | instskip(NEXT) | instid1(VALU_DEP_1)
	v_and_or_b32 v2, 0x80000000, v2, v3
	v_cvt_f64_f32_e32 v[45:46], v2
.LBB12_1005:
	s_mov_b32 s2, 0
.LBB12_1006:
	s_delay_alu instid0(SALU_CYCLE_1)
	s_and_not1_b32 vcc_lo, exec_lo, s2
	s_cbranch_vccnz .LBB12_1008
; %bb.1007:
	global_load_u8 v2, v[0:1], off
	s_waitcnt vmcnt(0)
	v_lshlrev_b32_e32 v3, 25, v2
	v_lshlrev_b16 v2, 8, v2
	s_delay_alu instid0(VALU_DEP_2) | instskip(NEXT) | instid1(VALU_DEP_2)
	v_lshrrev_b32_e32 v4, 4, v3
	v_and_or_b32 v5, 0x7f00, v2, 0.5
	v_bfe_i32 v2, v2, 0, 16
	s_delay_alu instid0(VALU_DEP_3) | instskip(NEXT) | instid1(VALU_DEP_1)
	v_or_b32_e32 v4, 0x70000000, v4
	v_dual_add_f32 v5, -0.5, v5 :: v_dual_mul_f32 v4, 0x7800000, v4
	v_cmp_gt_u32_e32 vcc_lo, 0x8000000, v3
	s_delay_alu instid0(VALU_DEP_2) | instskip(NEXT) | instid1(VALU_DEP_1)
	v_cndmask_b32_e32 v3, v4, v5, vcc_lo
	v_and_or_b32 v2, 0x80000000, v2, v3
	s_delay_alu instid0(VALU_DEP_1)
	v_cvt_f64_f32_e32 v[45:46], v2
.LBB12_1008:
	s_mov_b32 s3, 0
	s_mov_b32 s2, -1
.LBB12_1009:
	s_and_not1_b32 vcc_lo, exec_lo, s3
	s_cbranch_vccnz .LBB12_1020
; %bb.1010:
	v_cmp_gt_i16_e64 s3, s72, 14
	s_delay_alu instid0(VALU_DEP_1)
	s_and_b32 vcc_lo, exec_lo, s3
	s_cbranch_vccz .LBB12_1013
; %bb.1011:
	v_cmp_eq_u16_e64 s3, s72, 15
	s_delay_alu instid0(VALU_DEP_1)
	s_and_b32 vcc_lo, exec_lo, s3
	s_cbranch_vccz .LBB12_1014
; %bb.1012:
	global_load_u16 v2, v[0:1], off
	s_mov_b32 s2, -1
	s_mov_b32 s88, 0
	s_waitcnt vmcnt(0)
	v_lshlrev_b32_e32 v2, 16, v2
	s_delay_alu instid0(VALU_DEP_1)
	v_cvt_f64_f32_e32 v[45:46], v2
	s_branch .LBB12_1015
.LBB12_1013:
	s_mov_b32 s3, -1
                                        ; implicit-def: $vgpr45_vgpr46
	s_branch .LBB12_1016
.LBB12_1014:
	s_mov_b32 s88, -1
                                        ; implicit-def: $vgpr45_vgpr46
.LBB12_1015:
	s_mov_b32 s3, 0
.LBB12_1016:
	s_delay_alu instid0(SALU_CYCLE_1)
	s_and_b32 vcc_lo, exec_lo, s3
	s_cbranch_vccz .LBB12_1020
; %bb.1017:
	v_cmp_eq_u16_e64 s3, s72, 11
	s_delay_alu instid0(VALU_DEP_1)
	s_and_b32 vcc_lo, exec_lo, s3
	s_cbranch_vccz .LBB12_1019
; %bb.1018:
	global_load_u8 v2, v[0:1], off
	s_waitcnt vmcnt(1)
	v_mov_b32_e32 v45, 0
	s_mov_b32 s88, 0
	s_mov_b32 s2, -1
	s_waitcnt vmcnt(0)
	v_cmp_ne_u16_e32 vcc_lo, 0, v2
	v_cndmask_b32_e64 v46, 0, 0x3ff00000, vcc_lo
	s_branch .LBB12_1020
.LBB12_1019:
	s_mov_b32 s88, -1
                                        ; implicit-def: $vgpr45_vgpr46
.LBB12_1020:
	s_mov_b32 s3, 0
.LBB12_1021:
	s_delay_alu instid0(SALU_CYCLE_1)
	s_and_b32 vcc_lo, exec_lo, s3
	s_cbranch_vccz .LBB12_1070
; %bb.1022:
	v_cmp_lt_i16_e64 s2, s72, 5
	s_delay_alu instid0(VALU_DEP_1)
	s_and_b32 vcc_lo, exec_lo, s2
	s_cbranch_vccnz .LBB12_1027
; %bb.1023:
	v_cmp_lt_i16_e64 s2, s72, 8
	s_delay_alu instid0(VALU_DEP_1)
	s_and_b32 vcc_lo, exec_lo, s2
	s_cbranch_vccnz .LBB12_1028
	;; [unrolled: 5-line block ×3, first 2 shown]
; %bb.1025:
	v_cmp_gt_i16_e64 s2, s72, 9
	s_delay_alu instid0(VALU_DEP_1)
	s_and_b32 vcc_lo, exec_lo, s2
	s_cbranch_vccz .LBB12_1030
; %bb.1026:
	global_load_b64 v[45:46], v[0:1], off
	s_mov_b32 s2, 0
	s_branch .LBB12_1031
.LBB12_1027:
	s_mov_b32 s2, -1
                                        ; implicit-def: $vgpr45_vgpr46
	s_branch .LBB12_1049
.LBB12_1028:
	s_mov_b32 s2, -1
                                        ; implicit-def: $vgpr45_vgpr46
	s_branch .LBB12_1037
.LBB12_1029:
	s_mov_b32 s2, -1
                                        ; implicit-def: $vgpr45_vgpr46
	s_branch .LBB12_1034
.LBB12_1030:
	s_mov_b32 s2, -1
                                        ; implicit-def: $vgpr45_vgpr46
.LBB12_1031:
	s_delay_alu instid0(SALU_CYCLE_1)
	s_and_not1_b32 vcc_lo, exec_lo, s2
	s_cbranch_vccnz .LBB12_1033
; %bb.1032:
	global_load_b32 v2, v[0:1], off
	s_waitcnt vmcnt(0)
	v_cvt_f64_f32_e32 v[45:46], v2
.LBB12_1033:
	s_mov_b32 s2, 0
.LBB12_1034:
	s_delay_alu instid0(SALU_CYCLE_1)
	s_and_not1_b32 vcc_lo, exec_lo, s2
	s_cbranch_vccnz .LBB12_1036
; %bb.1035:
	global_load_b32 v2, v[0:1], off
	s_waitcnt vmcnt(0)
	v_cvt_f32_f16_e32 v2, v2
	s_delay_alu instid0(VALU_DEP_1)
	v_cvt_f64_f32_e32 v[45:46], v2
.LBB12_1036:
	s_mov_b32 s2, 0
.LBB12_1037:
	s_delay_alu instid0(SALU_CYCLE_1)
	s_and_not1_b32 vcc_lo, exec_lo, s2
	s_cbranch_vccnz .LBB12_1048
; %bb.1038:
	v_cmp_lt_i16_e64 s2, s72, 6
	s_delay_alu instid0(VALU_DEP_1)
	s_and_b32 vcc_lo, exec_lo, s2
	s_cbranch_vccnz .LBB12_1041
; %bb.1039:
	v_cmp_gt_i16_e64 s2, s72, 6
	s_delay_alu instid0(VALU_DEP_1)
	s_and_b32 vcc_lo, exec_lo, s2
	s_cbranch_vccz .LBB12_1042
; %bb.1040:
	global_load_b64 v[45:46], v[0:1], off
	s_mov_b32 s2, 0
	s_branch .LBB12_1043
.LBB12_1041:
	s_mov_b32 s2, -1
                                        ; implicit-def: $vgpr45_vgpr46
	s_branch .LBB12_1046
.LBB12_1042:
	s_mov_b32 s2, -1
                                        ; implicit-def: $vgpr45_vgpr46
.LBB12_1043:
	s_delay_alu instid0(SALU_CYCLE_1)
	s_and_not1_b32 vcc_lo, exec_lo, s2
	s_cbranch_vccnz .LBB12_1045
; %bb.1044:
	global_load_b32 v2, v[0:1], off
	s_waitcnt vmcnt(0)
	v_cvt_f64_f32_e32 v[45:46], v2
.LBB12_1045:
	s_mov_b32 s2, 0
.LBB12_1046:
	s_delay_alu instid0(SALU_CYCLE_1)
	s_and_not1_b32 vcc_lo, exec_lo, s2
	s_cbranch_vccnz .LBB12_1048
; %bb.1047:
	global_load_u16 v2, v[0:1], off
	s_waitcnt vmcnt(0)
	v_cvt_f32_f16_e32 v2, v2
	s_delay_alu instid0(VALU_DEP_1)
	v_cvt_f64_f32_e32 v[45:46], v2
.LBB12_1048:
	s_mov_b32 s2, 0
.LBB12_1049:
	s_delay_alu instid0(SALU_CYCLE_1)
	s_and_not1_b32 vcc_lo, exec_lo, s2
	s_cbranch_vccnz .LBB12_1069
; %bb.1050:
	v_cmp_lt_i16_e64 s2, s72, 2
	s_delay_alu instid0(VALU_DEP_1)
	s_and_b32 vcc_lo, exec_lo, s2
	s_cbranch_vccnz .LBB12_1054
; %bb.1051:
	v_cmp_lt_i16_e64 s2, s72, 3
	s_delay_alu instid0(VALU_DEP_1)
	s_and_b32 vcc_lo, exec_lo, s2
	s_cbranch_vccnz .LBB12_1055
; %bb.1052:
	v_cmp_gt_i16_e64 s2, s72, 3
	s_delay_alu instid0(VALU_DEP_1)
	s_and_b32 vcc_lo, exec_lo, s2
	s_cbranch_vccz .LBB12_1056
; %bb.1053:
	global_load_b64 v[2:3], v[0:1], off
	s_mov_b32 s2, 0
	s_waitcnt vmcnt(0)
	v_cvt_f64_i32_e32 v[3:4], v3
	v_cvt_f64_u32_e32 v[5:6], v2
	s_delay_alu instid0(VALU_DEP_2) | instskip(NEXT) | instid1(VALU_DEP_1)
	v_ldexp_f64 v[3:4], v[3:4], 32
	v_add_f64 v[45:46], v[3:4], v[5:6]
	s_branch .LBB12_1057
.LBB12_1054:
	s_mov_b32 s2, -1
                                        ; implicit-def: $vgpr45_vgpr46
	s_branch .LBB12_1063
.LBB12_1055:
	s_mov_b32 s2, -1
                                        ; implicit-def: $vgpr45_vgpr46
	s_branch .LBB12_1060
.LBB12_1056:
	s_mov_b32 s2, -1
                                        ; implicit-def: $vgpr45_vgpr46
.LBB12_1057:
	s_delay_alu instid0(SALU_CYCLE_1)
	s_and_not1_b32 vcc_lo, exec_lo, s2
	s_cbranch_vccnz .LBB12_1059
; %bb.1058:
	global_load_b32 v2, v[0:1], off
	s_waitcnt vmcnt(0)
	v_cvt_f64_i32_e32 v[45:46], v2
.LBB12_1059:
	s_mov_b32 s2, 0
.LBB12_1060:
	s_delay_alu instid0(SALU_CYCLE_1)
	s_and_not1_b32 vcc_lo, exec_lo, s2
	s_cbranch_vccnz .LBB12_1062
; %bb.1061:
	global_load_i16 v2, v[0:1], off
	s_waitcnt vmcnt(0)
	v_cvt_f64_i32_e32 v[45:46], v2
.LBB12_1062:
	s_mov_b32 s2, 0
.LBB12_1063:
	s_delay_alu instid0(SALU_CYCLE_1)
	s_and_not1_b32 vcc_lo, exec_lo, s2
	s_cbranch_vccnz .LBB12_1069
; %bb.1064:
	v_cmp_gt_i16_e64 s2, s72, 0
	s_delay_alu instid0(VALU_DEP_1)
	s_and_b32 vcc_lo, exec_lo, s2
	s_mov_b32 s2, 0
	s_cbranch_vccz .LBB12_1066
; %bb.1065:
	global_load_i8 v2, v[0:1], off
	s_waitcnt vmcnt(0)
	v_cvt_f64_i32_e32 v[45:46], v2
	s_branch .LBB12_1067
.LBB12_1066:
	s_mov_b32 s2, -1
                                        ; implicit-def: $vgpr45_vgpr46
.LBB12_1067:
	s_delay_alu instid0(SALU_CYCLE_1)
	s_and_not1_b32 vcc_lo, exec_lo, s2
	s_cbranch_vccnz .LBB12_1069
; %bb.1068:
	global_load_u8 v0, v[0:1], off
	s_waitcnt vmcnt(0)
	v_cvt_f64_u32_e32 v[45:46], v0
.LBB12_1069:
	s_mov_b32 s2, -1
.LBB12_1070:
	s_delay_alu instid0(SALU_CYCLE_1)
	s_and_not1_b32 vcc_lo, exec_lo, s2
	s_cbranch_vccnz .LBB12_1073
; %bb.1071:
	s_mov_b64 s[64:65], s[0:1]
	s_and_not1_b32 vcc_lo, exec_lo, s71
	s_cbranch_vccnz .LBB12_1074
; %bb.1072:
	s_waitcnt vmcnt(0)
	s_delay_alu instid0(VALU_DEP_4) | instskip(NEXT) | instid1(VALU_DEP_2)
	v_dual_mov_b32 v0, v43 :: v_dual_mov_b32 v1, v44
	v_dual_mov_b32 v2, v45 :: v_dual_mov_b32 v3, v46
	s_getpc_b64 s[0:1]
	s_add_u32 s0, s0, _ZN12_GLOBAL__N_111calc_igammaIdEET_S1_S1_@rel32@lo+4
	s_addc_u32 s1, s1, _ZN12_GLOBAL__N_111calc_igammaIdEET_S1_S1_@rel32@hi+12
	s_delay_alu instid0(SALU_CYCLE_1)
	s_swappc_b64 s[30:31], s[0:1]
	s_mov_b32 s0, 0
	s_branch .LBB12_1075
.LBB12_1073:
	s_mov_b32 s3, 0
	s_mov_b32 s2, s83
	s_branch .LBB12_1124
.LBB12_1074:
	s_mov_b32 s0, -1
                                        ; implicit-def: $vgpr0_vgpr1
.LBB12_1075:
	s_delay_alu instid0(SALU_CYCLE_1)
	s_and_not1_b32 vcc_lo, exec_lo, s0
	s_cbranch_vccnz .LBB12_1077
; %bb.1076:
	s_waitcnt vmcnt(0)
	s_delay_alu instid0(VALU_DEP_4) | instskip(NEXT) | instid1(VALU_DEP_2)
	v_dual_mov_b32 v0, v43 :: v_dual_mov_b32 v1, v44
	v_dual_mov_b32 v2, v45 :: v_dual_mov_b32 v3, v46
	s_getpc_b64 s[0:1]
	s_add_u32 s0, s0, _ZN12_GLOBAL__N_112calc_igammacIdEET_S1_S1_@rel32@lo+4
	s_addc_u32 s1, s1, _ZN12_GLOBAL__N_112calc_igammacIdEET_S1_S1_@rel32@hi+12
	s_delay_alu instid0(SALU_CYCLE_1)
	s_swappc_b64 s[30:31], s[0:1]
.LBB12_1077:
	v_and_b32_e64 v6, 0xff, s70
	v_add_co_u32 v4, s2, s44, v56
	s_delay_alu instid0(VALU_DEP_1) | instskip(NEXT) | instid1(VALU_DEP_3)
	v_add_co_ci_u32_e64 v5, null, s45, 0, s2
	v_cmp_gt_i16_e32 vcc_lo, 11, v6
	s_mov_b64 s[0:1], s[64:65]
	s_mov_b32 s3, 0
	s_mov_b32 s4, -1
	s_mov_b32 s2, s83
	s_cbranch_vccnz .LBB12_1084
; %bb.1078:
	v_cmp_lt_i16_e32 vcc_lo, 25, v6
	s_cbranch_vccz .LBB12_1147
; %bb.1079:
	v_cmp_lt_i16_e32 vcc_lo, 28, v6
	s_cbranch_vccz .LBB12_1149
	;; [unrolled: 3-line block ×4, first 2 shown]
; %bb.1082:
	v_cmp_eq_u16_e32 vcc_lo, 46, v6
	s_mov_b32 s4, 0
	s_mov_b32 s2, -1
	s_cbranch_vccz .LBB12_1154
; %bb.1083:
	v_cvt_f32_f64_e32 v2, v[0:1]
	s_mov_b32 s3, -1
	s_mov_b32 s2, 0
	s_delay_alu instid0(VALU_DEP_1) | instskip(SKIP_1) | instid1(VALU_DEP_2)
	v_bfe_u32 v3, v2, 16, 1
	v_cmp_o_f32_e32 vcc_lo, v2, v2
	v_add3_u32 v3, v2, v3, 0x7fff
	s_delay_alu instid0(VALU_DEP_1) | instskip(NEXT) | instid1(VALU_DEP_1)
	v_lshrrev_b32_e32 v3, 16, v3
	v_cndmask_b32_e32 v2, 0x7fc0, v3, vcc_lo
	global_store_b32 v[4:5], v2, off
	s_branch .LBB12_1154
.LBB12_1084:
	s_and_b32 vcc_lo, exec_lo, s4
	s_cbranch_vccz .LBB12_1223
; %bb.1085:
	v_cmp_gt_i16_e32 vcc_lo, 5, v6
	s_mov_b32 s3, -1
	s_cbranch_vccnz .LBB12_1106
; %bb.1086:
	v_cmp_gt_i16_e32 vcc_lo, 8, v6
	s_cbranch_vccnz .LBB12_1096
; %bb.1087:
	v_cmp_gt_i16_e32 vcc_lo, 9, v6
	s_cbranch_vccnz .LBB12_1093
; %bb.1088:
	v_cmp_lt_i16_e32 vcc_lo, 9, v6
	s_cbranch_vccz .LBB12_1090
; %bb.1089:
	v_mov_b32_e32 v2, 0
	s_mov_b32 s3, 0
	s_delay_alu instid0(VALU_DEP_1)
	v_mov_b32_e32 v3, v2
	global_store_b128 v[4:5], v[0:3], off
.LBB12_1090:
	s_and_not1_b32 vcc_lo, exec_lo, s3
	s_cbranch_vccnz .LBB12_1092
; %bb.1091:
	v_cvt_f32_f64_e32 v2, v[0:1]
	v_mov_b32_e32 v3, 0
	global_store_b64 v[4:5], v[2:3], off
.LBB12_1092:
	s_mov_b32 s3, 0
.LBB12_1093:
	s_delay_alu instid0(SALU_CYCLE_1)
	s_and_not1_b32 vcc_lo, exec_lo, s3
	s_cbranch_vccnz .LBB12_1095
; %bb.1094:
	v_cvt_f32_f64_e32 v2, v[0:1]
	s_delay_alu instid0(VALU_DEP_1) | instskip(NEXT) | instid1(VALU_DEP_1)
	v_cvt_f16_f32_e32 v2, v2
	v_and_b32_e32 v2, 0xffff, v2
	global_store_b32 v[4:5], v2, off
.LBB12_1095:
	s_mov_b32 s3, 0
.LBB12_1096:
	s_delay_alu instid0(SALU_CYCLE_1)
	s_and_not1_b32 vcc_lo, exec_lo, s3
	s_cbranch_vccnz .LBB12_1105
; %bb.1097:
	v_cmp_gt_i16_e32 vcc_lo, 6, v6
	s_mov_b32 s3, -1
	s_cbranch_vccnz .LBB12_1103
; %bb.1098:
	v_cmp_lt_i16_e32 vcc_lo, 6, v6
	s_cbranch_vccz .LBB12_1100
; %bb.1099:
	s_mov_b32 s3, 0
	global_store_b64 v[4:5], v[0:1], off
.LBB12_1100:
	s_and_not1_b32 vcc_lo, exec_lo, s3
	s_cbranch_vccnz .LBB12_1102
; %bb.1101:
	v_cvt_f32_f64_e32 v2, v[0:1]
	global_store_b32 v[4:5], v2, off
.LBB12_1102:
	s_mov_b32 s3, 0
.LBB12_1103:
	s_delay_alu instid0(SALU_CYCLE_1)
	s_and_not1_b32 vcc_lo, exec_lo, s3
	s_cbranch_vccnz .LBB12_1105
; %bb.1104:
	v_cvt_f32_f64_e32 v2, v[0:1]
	s_delay_alu instid0(VALU_DEP_1)
	v_cvt_f16_f32_e32 v2, v2
	global_store_b16 v[4:5], v2, off
.LBB12_1105:
	s_mov_b32 s3, 0
.LBB12_1106:
	s_delay_alu instid0(SALU_CYCLE_1)
	s_and_not1_b32 vcc_lo, exec_lo, s3
	s_cbranch_vccnz .LBB12_1122
; %bb.1107:
	v_cmp_gt_i16_e32 vcc_lo, 2, v6
	s_mov_b32 s3, -1
	s_cbranch_vccnz .LBB12_1117
; %bb.1108:
	v_cmp_gt_i16_e32 vcc_lo, 3, v6
	s_cbranch_vccnz .LBB12_1114
; %bb.1109:
	v_cmp_lt_i16_e32 vcc_lo, 3, v6
	s_cbranch_vccz .LBB12_1111
; %bb.1110:
	v_trunc_f64_e32 v[2:3], v[0:1]
	s_mov_b32 s3, 0
	s_delay_alu instid0(VALU_DEP_1) | instskip(NEXT) | instid1(VALU_DEP_1)
	v_ldexp_f64 v[7:8], v[2:3], 0xffffffe0
	v_floor_f64_e32 v[7:8], v[7:8]
	s_delay_alu instid0(VALU_DEP_1) | instskip(SKIP_1) | instid1(VALU_DEP_2)
	v_fma_f64 v[2:3], 0xc1f00000, v[7:8], v[2:3]
	v_cvt_i32_f64_e32 v8, v[7:8]
	v_cvt_u32_f64_e32 v7, v[2:3]
	global_store_b64 v[4:5], v[7:8], off
.LBB12_1111:
	s_and_not1_b32 vcc_lo, exec_lo, s3
	s_cbranch_vccnz .LBB12_1113
; %bb.1112:
	v_cvt_i32_f64_e32 v2, v[0:1]
	global_store_b32 v[4:5], v2, off
.LBB12_1113:
	s_mov_b32 s3, 0
.LBB12_1114:
	s_delay_alu instid0(SALU_CYCLE_1)
	s_and_not1_b32 vcc_lo, exec_lo, s3
	s_cbranch_vccnz .LBB12_1116
; %bb.1115:
	v_cvt_i32_f64_e32 v2, v[0:1]
	global_store_b16 v[4:5], v2, off
.LBB12_1116:
	s_mov_b32 s3, 0
.LBB12_1117:
	s_delay_alu instid0(SALU_CYCLE_1)
	s_and_not1_b32 vcc_lo, exec_lo, s3
	s_cbranch_vccnz .LBB12_1122
; %bb.1118:
	v_cmp_lt_i16_e32 vcc_lo, 0, v6
	s_mov_b32 s3, -1
	s_cbranch_vccz .LBB12_1120
; %bb.1119:
	v_cvt_i32_f64_e32 v2, v[0:1]
	s_mov_b32 s3, 0
	global_store_b8 v[4:5], v2, off
.LBB12_1120:
	s_and_not1_b32 vcc_lo, exec_lo, s3
	s_cbranch_vccnz .LBB12_1122
; %bb.1121:
	v_trunc_f64_e32 v[0:1], v[0:1]
	s_delay_alu instid0(VALU_DEP_1) | instskip(NEXT) | instid1(VALU_DEP_1)
	v_ldexp_f64 v[2:3], v[0:1], 0xffffffe0
	v_floor_f64_e32 v[2:3], v[2:3]
	s_delay_alu instid0(VALU_DEP_1) | instskip(NEXT) | instid1(VALU_DEP_1)
	v_fma_f64 v[0:1], 0xc1f00000, v[2:3], v[0:1]
	v_cvt_u32_f64_e32 v0, v[0:1]
	global_store_b8 v[4:5], v0, off
.LBB12_1122:
	s_branch .LBB12_1224
.LBB12_1123:
	s_mov_b32 s3, 0
.LBB12_1124:
                                        ; implicit-def: $vgpr47
.LBB12_1125:
	s_and_not1_b32 s4, s83, exec_lo
	s_and_b32 s2, s2, exec_lo
	s_and_not1_b32 s7, s82, exec_lo
	s_or_b32 s5, s4, s2
	s_and_not1_b32 s2, s84, exec_lo
	s_and_b32 s4, s88, exec_lo
	s_and_b32 s8, s87, exec_lo
	s_or_b32 s6, s2, s4
	s_or_b32 s4, s7, s8
	s_or_not1_b32 s9, s3, exec_lo
.LBB12_1126:
	s_or_b32 exec_lo, exec_lo, s86
	s_mov_b32 s3, 0
	s_mov_b32 s8, 0
	;; [unrolled: 1-line block ×3, first 2 shown]
                                        ; implicit-def: $vgpr3
                                        ; implicit-def: $vgpr1_vgpr2
                                        ; implicit-def: $vgpr56
                                        ; implicit-def: $vgpr0
                                        ; implicit-def: $vgpr43_vgpr44
	s_and_saveexec_b32 s7, s9
	s_cbranch_execz .LBB12_1294
; %bb.1127:
	s_mov_b32 s9, s4
	s_mov_b32 s11, 0
	s_mov_b32 s8, exec_lo
                                        ; implicit-def: $vgpr3
                                        ; implicit-def: $vgpr1_vgpr2
                                        ; implicit-def: $vgpr56
                                        ; implicit-def: $vgpr0
                                        ; implicit-def: $vgpr43_vgpr44
	v_cmpx_gt_i32_e64 s76, v47
	s_cbranch_execz .LBB12_1293
; %bb.1128:
	s_and_not1_b32 vcc_lo, exec_lo, s68
	s_cbranch_vccnz .LBB12_1134
; %bb.1129:
	v_dual_mov_b32 v56, 0 :: v_dual_mov_b32 v1, 0
	v_mov_b32_e32 v0, 0
	s_and_not1_b32 vcc_lo, exec_lo, s77
	s_mov_b32 s9, 0
	s_cbranch_vccnz .LBB12_1135
; %bb.1130:
	s_add_i32 s2, s75, 1
	v_dual_mov_b32 v0, 0 :: v_dual_mov_b32 v1, 0
	v_mov_b32_e32 v56, 0
	v_mov_b32_e32 v2, v47
	s_and_b32 s10, s2, 30
	s_add_u32 s2, s56, 0xffffffec
	s_addc_u32 s3, s57, -1
	s_set_inst_prefetch_distance 0x1
	.p2align	6
.LBB12_1131:                            ; =>This Inner Loop Header: Depth=1
	s_clause 0x2
	s_load_b128 s[12:15], s[2:3], 0x18
	s_load_b64 s[20:21], s[2:3], 0x28
	s_load_b128 s[16:19], s[2:3], 0xd8
	s_waitcnt lgkmcnt(0)
	v_mul_hi_u32 v3, s13, v2
	s_delay_alu instid0(VALU_DEP_1) | instskip(NEXT) | instid1(VALU_DEP_1)
	v_add_nc_u32_e32 v3, v2, v3
	v_lshrrev_b32_e32 v3, s14, v3
	s_delay_alu instid0(VALU_DEP_1)
	v_mul_hi_u32 v4, s20, v3
	v_mul_lo_u32 v5, v3, s12
	s_load_b64 s[12:13], s[2:3], 0xe8
	s_add_u32 s2, s2, 24
	s_addc_u32 s3, s3, 0
	s_add_i32 s10, s10, -2
	s_delay_alu instid0(SALU_CYCLE_1) | instskip(NEXT) | instid1(VALU_DEP_2)
	s_cmp_eq_u32 s10, 0
	v_add_nc_u32_e32 v4, v3, v4
	s_delay_alu instid0(VALU_DEP_2) | instskip(NEXT) | instid1(VALU_DEP_2)
	v_sub_nc_u32_e32 v5, v2, v5
	v_lshrrev_b32_e32 v2, s21, v4
	s_delay_alu instid0(VALU_DEP_2) | instskip(NEXT) | instid1(VALU_DEP_2)
	v_mul_lo_u32 v6, v5, s16
	v_mul_lo_u32 v4, v2, s15
	s_delay_alu instid0(VALU_DEP_1) | instskip(SKIP_2) | instid1(VALU_DEP_3)
	v_sub_nc_u32_e32 v3, v3, v4
	v_mul_lo_u32 v4, v5, s17
	v_mul_lo_u32 v5, v5, s18
	;; [unrolled: 1-line block ×3, first 2 shown]
	s_waitcnt lgkmcnt(0)
	v_mul_lo_u32 v8, v3, s12
	v_mul_lo_u32 v3, v3, s13
	s_delay_alu instid0(VALU_DEP_3) | instskip(NEXT) | instid1(VALU_DEP_3)
	v_add3_u32 v56, v6, v56, v7
	v_add3_u32 v1, v4, v1, v8
	s_delay_alu instid0(VALU_DEP_3)
	v_add3_u32 v0, v5, v0, v3
	s_cbranch_scc0 .LBB12_1131
; %bb.1132:
	s_set_inst_prefetch_distance 0x2
	s_bitcmp1_b32 s75, 0
	s_cselect_b32 s10, -1, 0
	s_delay_alu instid0(SALU_CYCLE_1)
	s_and_b32 vcc_lo, exec_lo, s10
	s_cbranch_vccnz .LBB12_1135
; %bb.1133:
	s_clause 0x3
	s_load_b64 s[10:11], s[2:3], 0x18
	s_load_b32 s14, s[2:3], 0x20
	s_load_b64 s[12:13], s[2:3], 0xd8
	s_load_b32 s2, s[2:3], 0xe0
	s_waitcnt lgkmcnt(0)
	v_mul_hi_u32 v3, s11, v2
	s_delay_alu instid0(VALU_DEP_1) | instskip(NEXT) | instid1(VALU_DEP_1)
	v_add_nc_u32_e32 v3, v2, v3
	v_lshrrev_b32_e32 v3, s14, v3
	s_delay_alu instid0(VALU_DEP_1) | instskip(NEXT) | instid1(VALU_DEP_1)
	v_mul_lo_u32 v3, v3, s10
	v_sub_nc_u32_e32 v6, v2, v3
	s_delay_alu instid0(VALU_DEP_1) | instskip(NEXT) | instid1(VALU_DEP_1)
	v_mad_u64_u32 v[2:3], null, v6, s12, v[56:57]
	v_mad_u64_u32 v[3:4], null, v6, s13, v[1:2]
	;; [unrolled: 1-line block ×3, first 2 shown]
	s_delay_alu instid0(VALU_DEP_2) | instskip(NEXT) | instid1(VALU_DEP_2)
	v_dual_mov_b32 v56, v2 :: v_dual_mov_b32 v1, v3
	v_mov_b32_e32 v0, v4
	s_branch .LBB12_1135
.LBB12_1134:
	s_mov_b32 s9, -1
                                        ; implicit-def: $vgpr56
                                        ; implicit-def: $vgpr1
                                        ; implicit-def: $vgpr0
.LBB12_1135:
	s_delay_alu instid0(SALU_CYCLE_1)
	s_and_not1_b32 vcc_lo, exec_lo, s9
	s_cbranch_vccnz .LBB12_1138
; %bb.1136:
	v_mul_hi_u32 v0, s53, v47
	s_and_not1_b32 vcc_lo, exec_lo, s74
	s_delay_alu instid0(VALU_DEP_1) | instskip(NEXT) | instid1(VALU_DEP_1)
	v_add_nc_u32_e32 v0, v47, v0
	v_lshrrev_b32_e32 v2, s54, v0
	s_delay_alu instid0(VALU_DEP_1) | instskip(NEXT) | instid1(VALU_DEP_1)
	v_mul_lo_u32 v0, v2, s52
	v_sub_nc_u32_e32 v0, v47, v0
	s_delay_alu instid0(VALU_DEP_1)
	v_mul_lo_u32 v56, v0, s48
	v_mul_lo_u32 v1, v0, s49
	;; [unrolled: 1-line block ×3, first 2 shown]
	s_cbranch_vccnz .LBB12_1138
; %bb.1137:
	v_mul_hi_u32 v3, s62, v2
	s_delay_alu instid0(VALU_DEP_1) | instskip(NEXT) | instid1(VALU_DEP_1)
	v_add_nc_u32_e32 v3, v2, v3
	v_lshrrev_b32_e32 v3, s63, v3
	s_delay_alu instid0(VALU_DEP_1) | instskip(NEXT) | instid1(VALU_DEP_1)
	v_mul_lo_u32 v3, v3, s55
	v_sub_nc_u32_e32 v6, v2, v3
	s_delay_alu instid0(VALU_DEP_1) | instskip(NEXT) | instid1(VALU_DEP_1)
	v_mad_u64_u32 v[2:3], null, v6, s51, v[56:57]
	v_mad_u64_u32 v[3:4], null, v6, s60, v[1:2]
	;; [unrolled: 1-line block ×3, first 2 shown]
	s_delay_alu instid0(VALU_DEP_2) | instskip(NEXT) | instid1(VALU_DEP_2)
	v_dual_mov_b32 v56, v2 :: v_dual_mov_b32 v1, v3
	v_mov_b32_e32 v0, v4
.LBB12_1138:
	v_and_b32_e64 v3, 0xff, s73
	s_delay_alu instid0(VALU_DEP_3) | instskip(NEXT) | instid1(VALU_DEP_1)
	v_add_co_u32 v1, s2, s46, v1
	v_add_co_ci_u32_e64 v2, null, s47, 0, s2
	s_delay_alu instid0(VALU_DEP_3)
	v_cmp_gt_i16_e32 vcc_lo, 11, v3
	s_mov_b32 s2, 0
	s_cbranch_vccnz .LBB12_1145
; %bb.1139:
	v_cmp_lt_i16_e32 vcc_lo, 25, v3
	s_mov_b32 s10, 0
	s_cbranch_vccz .LBB12_1146
; %bb.1140:
	v_cmp_lt_i16_e32 vcc_lo, 28, v3
	s_cbranch_vccz .LBB12_1148
; %bb.1141:
	v_cmp_lt_i16_e32 vcc_lo, 43, v3
	s_cbranch_vccz .LBB12_1150
; %bb.1142:
	v_cmp_lt_i16_e32 vcc_lo, 45, v3
	s_cbranch_vccz .LBB12_1152
; %bb.1143:
	v_cmp_eq_u16_e32 vcc_lo, 46, v3
	s_mov_b32 s3, 0
	s_cbranch_vccz .LBB12_1225
; %bb.1144:
	global_load_b32 v4, v[1:2], off
	s_mov_b32 s9, 0
	s_mov_b32 s2, -1
	s_waitcnt vmcnt(0)
	v_lshlrev_b32_e32 v4, 16, v4
	s_delay_alu instid0(VALU_DEP_1)
	v_cvt_f64_f32_e32 v[43:44], v4
	s_branch .LBB12_1227
.LBB12_1145:
	s_mov_b32 s3, -1
	s_mov_b32 s10, 0
	s_mov_b32 s9, s4
                                        ; implicit-def: $vgpr43_vgpr44
	s_branch .LBB12_1292
.LBB12_1146:
	s_mov_b32 s3, -1
	s_mov_b32 s9, s4
                                        ; implicit-def: $vgpr43_vgpr44
	s_branch .LBB12_1260
.LBB12_1147:
	s_mov_b32 s2, s83
	s_branch .LBB12_1181
.LBB12_1148:
	s_mov_b32 s3, -1
	s_mov_b32 s9, s4
                                        ; implicit-def: $vgpr43_vgpr44
	s_branch .LBB12_1239
.LBB12_1149:
	s_mov_b32 s2, s83
	s_branch .LBB12_1164
.LBB12_1150:
	s_mov_b32 s3, -1
	s_mov_b32 s9, s4
                                        ; implicit-def: $vgpr43_vgpr44
	s_branch .LBB12_1234
.LBB12_1151:
	s_mov_b32 s2, s83
	s_branch .LBB12_1160
.LBB12_1152:
	s_mov_b32 s3, -1
	s_mov_b32 s9, s4
	s_branch .LBB12_1226
.LBB12_1153:
	s_mov_b32 s2, s83
.LBB12_1154:
	s_and_b32 vcc_lo, exec_lo, s4
	s_cbranch_vccz .LBB12_1159
; %bb.1155:
	v_cmp_eq_u16_e32 vcc_lo, 44, v6
	s_mov_b32 s2, -1
	s_cbranch_vccz .LBB12_1159
; %bb.1156:
	v_cvt_f32_f64_e32 v2, v[0:1]
	v_mov_b32_e32 v3, 0xff
	s_mov_b32 s3, exec_lo
	s_delay_alu instid0(VALU_DEP_2) | instskip(NEXT) | instid1(VALU_DEP_1)
	v_bfe_u32 v7, v2, 23, 8
	v_cmpx_ne_u32_e32 0xff, v7
; %bb.1157:
	v_and_b32_e32 v3, 0x400000, v2
	v_and_or_b32 v7, 0x3fffff, v2, v7
	v_lshrrev_b32_e32 v2, 23, v2
	s_delay_alu instid0(VALU_DEP_3) | instskip(NEXT) | instid1(VALU_DEP_3)
	v_cmp_ne_u32_e32 vcc_lo, 0, v3
	v_cmp_ne_u32_e64 s2, 0, v7
	s_delay_alu instid0(VALU_DEP_1) | instskip(NEXT) | instid1(SALU_CYCLE_1)
	s_and_b32 s2, vcc_lo, s2
	v_cndmask_b32_e64 v3, 0, 1, s2
	s_delay_alu instid0(VALU_DEP_1)
	v_add_nc_u32_e32 v3, v2, v3
; %bb.1158:
	s_or_b32 exec_lo, exec_lo, s3
	s_mov_b32 s3, -1
	s_mov_b32 s2, 0
	global_store_b8 v[4:5], v3, off
.LBB12_1159:
	s_mov_b32 s4, 0
.LBB12_1160:
	s_delay_alu instid0(SALU_CYCLE_1)
	s_and_b32 vcc_lo, exec_lo, s4
	s_cbranch_vccz .LBB12_1163
; %bb.1161:
	v_cmp_eq_u16_e32 vcc_lo, 29, v6
	s_mov_b32 s2, -1
	s_cbranch_vccz .LBB12_1163
; %bb.1162:
	v_trunc_f64_e32 v[2:3], v[0:1]
	s_mov_b32 s3, -1
	s_mov_b32 s2, 0
	s_mov_b32 s4, 0
	s_delay_alu instid0(VALU_DEP_1) | instskip(NEXT) | instid1(VALU_DEP_1)
	v_ldexp_f64 v[7:8], v[2:3], 0xffffffe0
	v_floor_f64_e32 v[7:8], v[7:8]
	s_delay_alu instid0(VALU_DEP_1) | instskip(SKIP_1) | instid1(VALU_DEP_2)
	v_fma_f64 v[2:3], 0xc1f00000, v[7:8], v[2:3]
	v_cvt_u32_f64_e32 v8, v[7:8]
	v_cvt_u32_f64_e32 v7, v[2:3]
	global_store_b64 v[4:5], v[7:8], off
	s_branch .LBB12_1164
.LBB12_1163:
	s_mov_b32 s4, 0
.LBB12_1164:
	s_delay_alu instid0(SALU_CYCLE_1)
	s_and_b32 vcc_lo, exec_lo, s4
	s_cbranch_vccz .LBB12_1180
; %bb.1165:
	v_cmp_gt_i16_e32 vcc_lo, 27, v6
	s_mov_b32 s3, -1
	s_cbranch_vccnz .LBB12_1171
; %bb.1166:
	v_cvt_u32_f64_e32 v2, v[0:1]
	v_cmp_lt_i16_e32 vcc_lo, 27, v6
	s_cbranch_vccz .LBB12_1168
; %bb.1167:
	s_mov_b32 s3, 0
	global_store_b32 v[4:5], v2, off
.LBB12_1168:
	s_and_not1_b32 vcc_lo, exec_lo, s3
	s_cbranch_vccnz .LBB12_1170
; %bb.1169:
	global_store_b16 v[4:5], v2, off
.LBB12_1170:
	s_mov_b32 s3, 0
.LBB12_1171:
	s_delay_alu instid0(SALU_CYCLE_1)
	s_and_not1_b32 vcc_lo, exec_lo, s3
	s_cbranch_vccnz .LBB12_1179
; %bb.1172:
	v_cvt_f32_f64_e32 v2, v[0:1]
	v_mov_b32_e32 v7, 0x80
	s_mov_b32 s3, exec_lo
	s_delay_alu instid0(VALU_DEP_2) | instskip(NEXT) | instid1(VALU_DEP_1)
	v_and_b32_e32 v3, 0x7fffffff, v2
	v_cmpx_gt_u32_e32 0x43800000, v3
	s_cbranch_execz .LBB12_1178
; %bb.1173:
	v_cmp_lt_u32_e32 vcc_lo, 0x3bffffff, v3
	s_mov_b32 s4, 0
                                        ; implicit-def: $vgpr3
	s_and_saveexec_b32 s5, vcc_lo
	s_delay_alu instid0(SALU_CYCLE_1)
	s_xor_b32 s5, exec_lo, s5
	s_cbranch_execz .LBB12_1230
; %bb.1174:
	v_bfe_u32 v3, v2, 20, 1
	s_mov_b32 s4, exec_lo
	s_delay_alu instid0(VALU_DEP_1) | instskip(NEXT) | instid1(VALU_DEP_1)
	v_add3_u32 v3, v2, v3, 0x487ffff
	v_lshrrev_b32_e32 v3, 20, v3
	s_or_saveexec_b32 s5, s5
                                        ; implicit-def: $sgpr6
	s_delay_alu instid0(SALU_CYCLE_1)
	s_xor_b32 exec_lo, exec_lo, s5
	s_cbranch_execnz .LBB12_1231
.LBB12_1175:
	s_or_b32 exec_lo, exec_lo, s5
	v_mov_b32_e32 v7, s6
	s_and_saveexec_b32 s5, s4
.LBB12_1176:
	v_lshrrev_b32_e32 v2, 24, v2
	s_delay_alu instid0(VALU_DEP_1)
	v_and_or_b32 v7, 0x80, v2, v3
.LBB12_1177:
	s_or_b32 exec_lo, exec_lo, s5
.LBB12_1178:
	s_delay_alu instid0(SALU_CYCLE_1)
	s_or_b32 exec_lo, exec_lo, s3
	global_store_b8 v[4:5], v7, off
.LBB12_1179:
	s_mov_b32 s3, -1
.LBB12_1180:
	s_mov_b32 s4, 0
.LBB12_1181:
	s_delay_alu instid0(SALU_CYCLE_1)
	s_and_b32 vcc_lo, exec_lo, s4
	s_cbranch_vccz .LBB12_1222
; %bb.1182:
	v_cmp_lt_i16_e32 vcc_lo, 22, v6
	s_mov_b32 s4, -1
	s_cbranch_vccz .LBB12_1214
; %bb.1183:
	v_cmp_gt_i16_e32 vcc_lo, 24, v6
	s_mov_b32 s3, -1
	s_cbranch_vccnz .LBB12_1203
; %bb.1184:
	v_cmp_lt_i16_e32 vcc_lo, 24, v6
	s_cbranch_vccz .LBB12_1192
; %bb.1185:
	v_cvt_f32_f64_e32 v2, v[0:1]
	v_mov_b32_e32 v7, 0x80
	s_mov_b32 s3, exec_lo
	s_delay_alu instid0(VALU_DEP_2) | instskip(NEXT) | instid1(VALU_DEP_1)
	v_and_b32_e32 v3, 0x7fffffff, v2
	v_cmpx_gt_u32_e32 0x47800000, v3
	s_cbranch_execz .LBB12_1191
; %bb.1186:
	v_cmp_lt_u32_e32 vcc_lo, 0x37ffffff, v3
	s_mov_b32 s4, 0
                                        ; implicit-def: $vgpr3
	s_and_saveexec_b32 s5, vcc_lo
	s_delay_alu instid0(SALU_CYCLE_1)
	s_xor_b32 s5, exec_lo, s5
	s_cbranch_execz .LBB12_2332
; %bb.1187:
	v_bfe_u32 v3, v2, 21, 1
	s_mov_b32 s4, exec_lo
	s_delay_alu instid0(VALU_DEP_1) | instskip(NEXT) | instid1(VALU_DEP_1)
	v_add3_u32 v3, v2, v3, 0x88fffff
	v_lshrrev_b32_e32 v3, 21, v3
	s_or_saveexec_b32 s5, s5
                                        ; implicit-def: $sgpr6
	s_delay_alu instid0(SALU_CYCLE_1)
	s_xor_b32 exec_lo, exec_lo, s5
	s_cbranch_execnz .LBB12_2333
.LBB12_1188:
	s_or_b32 exec_lo, exec_lo, s5
	v_mov_b32_e32 v7, s6
	s_and_saveexec_b32 s5, s4
.LBB12_1189:
	v_lshrrev_b32_e32 v2, 24, v2
	s_delay_alu instid0(VALU_DEP_1)
	v_and_or_b32 v7, 0x80, v2, v3
.LBB12_1190:
	s_or_b32 exec_lo, exec_lo, s5
.LBB12_1191:
	s_delay_alu instid0(SALU_CYCLE_1)
	s_or_b32 exec_lo, exec_lo, s3
	s_mov_b32 s3, 0
	global_store_b8 v[4:5], v7, off
.LBB12_1192:
	s_and_b32 vcc_lo, exec_lo, s3
	s_cbranch_vccz .LBB12_1202
; %bb.1193:
	v_cvt_f32_f64_e32 v2, v[0:1]
	s_mov_b32 s3, exec_lo
                                        ; implicit-def: $vgpr3
	s_delay_alu instid0(VALU_DEP_1) | instskip(NEXT) | instid1(VALU_DEP_1)
	v_and_b32_e32 v7, 0x7fffffff, v2
	v_cmpx_gt_u32_e32 0x43f00000, v7
	s_xor_b32 s3, exec_lo, s3
	s_cbranch_execz .LBB12_1199
; %bb.1194:
	s_mov_b32 s4, exec_lo
                                        ; implicit-def: $vgpr3
	v_cmpx_lt_u32_e32 0x3c7fffff, v7
	s_xor_b32 s4, exec_lo, s4
; %bb.1195:
	v_bfe_u32 v3, v2, 20, 1
	s_delay_alu instid0(VALU_DEP_1) | instskip(NEXT) | instid1(VALU_DEP_1)
	v_add3_u32 v3, v2, v3, 0x407ffff
	v_and_b32_e32 v7, 0xff00000, v3
	v_lshrrev_b32_e32 v3, 20, v3
	s_delay_alu instid0(VALU_DEP_2) | instskip(NEXT) | instid1(VALU_DEP_2)
	v_cmp_ne_u32_e32 vcc_lo, 0x7f00000, v7
	v_cndmask_b32_e32 v3, 0x7e, v3, vcc_lo
; %bb.1196:
	s_and_not1_saveexec_b32 s4, s4
; %bb.1197:
	v_add_f32_e64 v3, 0x46800000, |v2|
; %bb.1198:
	s_or_b32 exec_lo, exec_lo, s4
                                        ; implicit-def: $vgpr7
.LBB12_1199:
	s_and_not1_saveexec_b32 s3, s3
; %bb.1200:
	v_mov_b32_e32 v3, 0x7f
	v_cmp_lt_u32_e32 vcc_lo, 0x7f800000, v7
	s_delay_alu instid0(VALU_DEP_2)
	v_cndmask_b32_e32 v3, 0x7e, v3, vcc_lo
; %bb.1201:
	s_or_b32 exec_lo, exec_lo, s3
	v_lshrrev_b32_e32 v2, 24, v2
	s_delay_alu instid0(VALU_DEP_1)
	v_and_or_b32 v2, 0x80, v2, v3
	global_store_b8 v[4:5], v2, off
.LBB12_1202:
	s_mov_b32 s3, 0
.LBB12_1203:
	s_delay_alu instid0(SALU_CYCLE_1)
	s_and_not1_b32 vcc_lo, exec_lo, s3
	s_cbranch_vccnz .LBB12_1213
; %bb.1204:
	v_cvt_f32_f64_e32 v2, v[0:1]
	s_mov_b32 s3, exec_lo
                                        ; implicit-def: $vgpr3
	s_delay_alu instid0(VALU_DEP_1) | instskip(NEXT) | instid1(VALU_DEP_1)
	v_and_b32_e32 v7, 0x7fffffff, v2
	v_cmpx_gt_u32_e32 0x47800000, v7
	s_xor_b32 s3, exec_lo, s3
	s_cbranch_execz .LBB12_1210
; %bb.1205:
	s_mov_b32 s4, exec_lo
                                        ; implicit-def: $vgpr3
	v_cmpx_lt_u32_e32 0x387fffff, v7
	s_xor_b32 s4, exec_lo, s4
; %bb.1206:
	v_bfe_u32 v3, v2, 21, 1
	s_delay_alu instid0(VALU_DEP_1) | instskip(NEXT) | instid1(VALU_DEP_1)
	v_add3_u32 v3, v2, v3, 0x80fffff
	v_lshrrev_b32_e32 v3, 21, v3
; %bb.1207:
	s_and_not1_saveexec_b32 s4, s4
; %bb.1208:
	v_add_f32_e64 v3, 0x43000000, |v2|
; %bb.1209:
	s_or_b32 exec_lo, exec_lo, s4
                                        ; implicit-def: $vgpr7
.LBB12_1210:
	s_and_not1_saveexec_b32 s3, s3
; %bb.1211:
	v_mov_b32_e32 v3, 0x7f
	v_cmp_lt_u32_e32 vcc_lo, 0x7f800000, v7
	s_delay_alu instid0(VALU_DEP_2)
	v_cndmask_b32_e32 v3, 0x7c, v3, vcc_lo
; %bb.1212:
	s_or_b32 exec_lo, exec_lo, s3
	v_lshrrev_b32_e32 v2, 24, v2
	s_delay_alu instid0(VALU_DEP_1)
	v_and_or_b32 v2, 0x80, v2, v3
	global_store_b8 v[4:5], v2, off
.LBB12_1213:
	s_mov_b32 s4, 0
	s_mov_b32 s3, -1
.LBB12_1214:
	s_and_not1_b32 vcc_lo, exec_lo, s4
	s_cbranch_vccnz .LBB12_1222
; %bb.1215:
	v_cmp_lt_i16_e32 vcc_lo, 14, v6
	s_mov_b32 s4, -1
	s_cbranch_vccz .LBB12_1219
; %bb.1216:
	v_cmp_eq_u16_e32 vcc_lo, 15, v6
	s_mov_b32 s2, -1
	s_cbranch_vccz .LBB12_1218
; %bb.1217:
	v_cvt_f32_f64_e32 v2, v[0:1]
	s_mov_b32 s3, -1
	s_mov_b32 s2, 0
	s_delay_alu instid0(VALU_DEP_1) | instskip(SKIP_1) | instid1(VALU_DEP_2)
	v_bfe_u32 v3, v2, 16, 1
	v_cmp_o_f32_e32 vcc_lo, v2, v2
	v_add3_u32 v3, v2, v3, 0x7fff
	s_delay_alu instid0(VALU_DEP_1) | instskip(NEXT) | instid1(VALU_DEP_1)
	v_lshrrev_b32_e32 v3, 16, v3
	v_cndmask_b32_e32 v2, 0x7fc0, v3, vcc_lo
	global_store_b16 v[4:5], v2, off
.LBB12_1218:
	s_mov_b32 s4, 0
.LBB12_1219:
	s_delay_alu instid0(SALU_CYCLE_1)
	s_and_b32 vcc_lo, exec_lo, s4
	s_cbranch_vccz .LBB12_1222
; %bb.1220:
	v_cmp_eq_u16_e32 vcc_lo, 11, v6
	s_mov_b32 s2, -1
	s_cbranch_vccz .LBB12_1222
; %bb.1221:
	v_cmp_neq_f64_e32 vcc_lo, 0, v[0:1]
	s_mov_b32 s3, -1
	s_mov_b32 s2, 0
	v_cndmask_b32_e64 v2, 0, 1, vcc_lo
	global_store_b8 v[4:5], v2, off
.LBB12_1222:
.LBB12_1223:
	s_and_not1_b32 vcc_lo, exec_lo, s3
	s_cbranch_vccnz .LBB12_1123
.LBB12_1224:
	v_add_nc_u32_e32 v47, 0x80, v47
	s_mov_b32 s3, -1
	s_branch .LBB12_1125
.LBB12_1225:
	s_mov_b32 s9, -1
.LBB12_1226:
                                        ; implicit-def: $vgpr43_vgpr44
.LBB12_1227:
	s_and_b32 vcc_lo, exec_lo, s3
	s_cbranch_vccz .LBB12_1233
; %bb.1228:
	v_cmp_eq_u16_e32 vcc_lo, 44, v3
	s_cbranch_vccz .LBB12_1232
; %bb.1229:
	global_load_u8 v6, v[1:2], off
	s_mov_b32 s9, 0
	s_mov_b32 s2, -1
	s_waitcnt vmcnt(0)
	v_cmp_ne_u32_e32 vcc_lo, 0xff, v6
	v_lshlrev_b32_e32 v4, 23, v6
	s_delay_alu instid0(VALU_DEP_1) | instskip(NEXT) | instid1(VALU_DEP_1)
	v_cvt_f64_f32_e32 v[4:5], v4
	v_cndmask_b32_e32 v5, 0x7ff80000, v5, vcc_lo
	s_delay_alu instid0(VALU_DEP_2) | instskip(SKIP_1) | instid1(VALU_DEP_3)
	v_cndmask_b32_e32 v4, 0x20000000, v4, vcc_lo
	v_cmp_ne_u32_e32 vcc_lo, 0, v6
	v_cndmask_b32_e32 v44, 0x38000000, v5, vcc_lo
	s_delay_alu instid0(VALU_DEP_3)
	v_cndmask_b32_e32 v43, 0, v4, vcc_lo
	s_branch .LBB12_1233
.LBB12_1230:
	s_or_saveexec_b32 s5, s5
                                        ; implicit-def: $sgpr6
	s_delay_alu instid0(SALU_CYCLE_1)
	s_xor_b32 exec_lo, exec_lo, s5
	s_cbranch_execz .LBB12_1175
.LBB12_1231:
	v_add_f32_e64 v3, 0x46000000, |v2|
	s_and_not1_b32 s4, s4, exec_lo
	s_mov_b32 s6, 0
	s_delay_alu instid0(VALU_DEP_1) | instskip(NEXT) | instid1(VALU_DEP_1)
	v_and_b32_e32 v3, 0xff, v3
	v_cmp_ne_u32_e32 vcc_lo, 0, v3
	s_and_b32 s7, vcc_lo, exec_lo
	s_delay_alu instid0(SALU_CYCLE_1)
	s_or_b32 s4, s4, s7
	s_or_b32 exec_lo, exec_lo, s5
	v_mov_b32_e32 v7, s6
	s_and_saveexec_b32 s5, s4
	s_cbranch_execnz .LBB12_1176
	s_branch .LBB12_1177
.LBB12_1232:
	s_mov_b32 s9, -1
                                        ; implicit-def: $vgpr43_vgpr44
.LBB12_1233:
	s_mov_b32 s3, 0
.LBB12_1234:
	s_delay_alu instid0(SALU_CYCLE_1)
	s_and_b32 vcc_lo, exec_lo, s3
	s_cbranch_vccz .LBB12_1238
; %bb.1235:
	v_cmp_eq_u16_e32 vcc_lo, 29, v3
	s_cbranch_vccz .LBB12_1237
; %bb.1236:
	global_load_b64 v[4:5], v[1:2], off
	s_mov_b32 s9, 0
	s_mov_b32 s2, -1
	s_mov_b32 s3, 0
	s_waitcnt vmcnt(0)
	v_cvt_f64_u32_e32 v[5:6], v5
	v_cvt_f64_u32_e32 v[7:8], v4
	s_delay_alu instid0(VALU_DEP_2) | instskip(NEXT) | instid1(VALU_DEP_1)
	v_ldexp_f64 v[5:6], v[5:6], 32
	v_add_f64 v[43:44], v[5:6], v[7:8]
	s_branch .LBB12_1239
.LBB12_1237:
	s_mov_b32 s9, -1
                                        ; implicit-def: $vgpr43_vgpr44
.LBB12_1238:
	s_mov_b32 s3, 0
.LBB12_1239:
	s_delay_alu instid0(SALU_CYCLE_1)
	s_and_b32 vcc_lo, exec_lo, s3
	s_cbranch_vccz .LBB12_1259
; %bb.1240:
	v_cmp_gt_i16_e32 vcc_lo, 27, v3
	s_cbranch_vccnz .LBB12_1243
; %bb.1241:
	v_cmp_lt_i16_e32 vcc_lo, 27, v3
	s_cbranch_vccz .LBB12_1244
; %bb.1242:
	global_load_b32 v4, v[1:2], off
	s_mov_b32 s2, 0
	s_waitcnt vmcnt(0)
	v_cvt_f64_u32_e32 v[43:44], v4
	s_branch .LBB12_1245
.LBB12_1243:
	s_mov_b32 s2, -1
                                        ; implicit-def: $vgpr43_vgpr44
	s_branch .LBB12_1248
.LBB12_1244:
	s_mov_b32 s2, -1
                                        ; implicit-def: $vgpr43_vgpr44
.LBB12_1245:
	s_delay_alu instid0(SALU_CYCLE_1)
	s_and_not1_b32 vcc_lo, exec_lo, s2
	s_cbranch_vccnz .LBB12_1247
; %bb.1246:
	global_load_u16 v4, v[1:2], off
	s_waitcnt vmcnt(0)
	v_cvt_f64_u32_e32 v[43:44], v4
.LBB12_1247:
	s_mov_b32 s2, 0
.LBB12_1248:
	s_delay_alu instid0(SALU_CYCLE_1)
	s_and_not1_b32 vcc_lo, exec_lo, s2
	s_cbranch_vccnz .LBB12_1258
; %bb.1249:
	global_load_u8 v4, v[1:2], off
	s_mov_b32 s11, 0
	s_mov_b32 s12, exec_lo
                                        ; implicit-def: $sgpr2_sgpr3
	s_waitcnt vmcnt(0)
	v_cmpx_lt_i16_e32 0x7f, v4
	s_xor_b32 s12, exec_lo, s12
	s_cbranch_execz .LBB12_1253
; %bb.1250:
	s_mov_b32 s13, -1
	s_mov_b32 s11, exec_lo
                                        ; implicit-def: $sgpr2_sgpr3
	v_cmpx_eq_u16_e32 0x80, v4
; %bb.1251:
	s_mov_b32 s3, 0x7ff80000
	s_brev_b32 s2, 4
	s_xor_b32 s13, exec_lo, -1
; %bb.1252:
	s_or_b32 exec_lo, exec_lo, s11
	s_delay_alu instid0(SALU_CYCLE_1)
	s_and_b32 s11, s13, exec_lo
.LBB12_1253:
	s_or_saveexec_b32 s12, s12
	v_dual_mov_b32 v44, s3 :: v_dual_mov_b32 v43, s2
	s_xor_b32 exec_lo, exec_lo, s12
; %bb.1254:
	v_cmp_ne_u16_e32 vcc_lo, 0, v4
	v_mov_b32_e32 v43, 0
	v_mov_b32_e32 v44, 0
	s_and_not1_b32 s2, s11, exec_lo
	s_and_b32 s3, vcc_lo, exec_lo
	s_delay_alu instid0(SALU_CYCLE_1)
	s_or_b32 s11, s2, s3
; %bb.1255:
	s_or_b32 exec_lo, exec_lo, s12
	s_and_saveexec_b32 s2, s11
	s_cbranch_execz .LBB12_1257
; %bb.1256:
	v_and_b32_e32 v5, 0xffff, v4
	v_lshlrev_b32_e32 v4, 24, v4
	s_delay_alu instid0(VALU_DEP_2) | instskip(NEXT) | instid1(VALU_DEP_2)
	v_and_b32_e32 v6, 7, v5
	v_and_b32_e32 v4, 0x80000000, v4
	s_delay_alu instid0(VALU_DEP_2) | instskip(NEXT) | instid1(VALU_DEP_1)
	v_clz_i32_u32_e32 v7, v6
	v_min_u32_e32 v7, 32, v7
	s_delay_alu instid0(VALU_DEP_1) | instskip(SKIP_1) | instid1(VALU_DEP_2)
	v_subrev_nc_u32_e32 v8, 28, v7
	v_sub_nc_u32_e32 v7, 29, v7
	v_lshlrev_b32_e32 v8, v8, v5
	v_bfe_u32 v5, v5, 3, 4
	s_delay_alu instid0(VALU_DEP_2) | instskip(NEXT) | instid1(VALU_DEP_2)
	v_and_b32_e32 v8, 7, v8
	v_cmp_eq_u32_e32 vcc_lo, 0, v5
	s_delay_alu instid0(VALU_DEP_2) | instskip(NEXT) | instid1(VALU_DEP_1)
	v_dual_cndmask_b32 v5, v5, v7 :: v_dual_cndmask_b32 v6, v6, v8
	v_lshl_add_u32 v5, v5, 23, 0x3b800000
	s_delay_alu instid0(VALU_DEP_2) | instskip(NEXT) | instid1(VALU_DEP_1)
	v_lshlrev_b32_e32 v6, 20, v6
	v_or3_b32 v4, v4, v5, v6
	s_delay_alu instid0(VALU_DEP_1)
	v_cvt_f64_f32_e32 v[43:44], v4
.LBB12_1257:
	s_or_b32 exec_lo, exec_lo, s2
.LBB12_1258:
	s_mov_b32 s2, -1
.LBB12_1259:
	s_mov_b32 s3, 0
.LBB12_1260:
	s_delay_alu instid0(SALU_CYCLE_1)
	s_and_b32 vcc_lo, exec_lo, s3
	s_cbranch_vccz .LBB12_1291
; %bb.1261:
	v_cmp_lt_i16_e32 vcc_lo, 22, v3
	s_cbranch_vccz .LBB12_1273
; %bb.1262:
	v_cmp_gt_i16_e32 vcc_lo, 24, v3
	s_cbranch_vccnz .LBB12_1274
; %bb.1263:
	v_cmp_lt_i16_e32 vcc_lo, 24, v3
	s_cbranch_vccz .LBB12_1275
; %bb.1264:
	global_load_u8 v4, v[1:2], off
	s_mov_b32 s11, exec_lo
                                        ; implicit-def: $sgpr2_sgpr3
	s_waitcnt vmcnt(0)
	v_cmpx_lt_i16_e32 0x7f, v4
	s_xor_b32 s11, exec_lo, s11
	s_cbranch_execz .LBB12_1268
; %bb.1265:
	s_mov_b32 s12, -1
	s_mov_b32 s10, exec_lo
                                        ; implicit-def: $sgpr2_sgpr3
	v_cmpx_eq_u16_e32 0x80, v4
; %bb.1266:
	s_mov_b32 s3, 0x7ff80000
	s_brev_b32 s2, 4
	s_xor_b32 s12, exec_lo, -1
; %bb.1267:
	s_or_b32 exec_lo, exec_lo, s10
	s_delay_alu instid0(SALU_CYCLE_1)
	s_and_b32 s10, s12, exec_lo
.LBB12_1268:
	s_or_saveexec_b32 s11, s11
	v_dual_mov_b32 v44, s3 :: v_dual_mov_b32 v43, s2
	s_xor_b32 exec_lo, exec_lo, s11
; %bb.1269:
	v_cmp_ne_u16_e32 vcc_lo, 0, v4
	v_mov_b32_e32 v43, 0
	v_mov_b32_e32 v44, 0
	s_and_not1_b32 s2, s10, exec_lo
	s_and_b32 s3, vcc_lo, exec_lo
	s_delay_alu instid0(SALU_CYCLE_1)
	s_or_b32 s10, s2, s3
; %bb.1270:
	s_or_b32 exec_lo, exec_lo, s11
	s_and_saveexec_b32 s2, s10
	s_cbranch_execz .LBB12_1272
; %bb.1271:
	v_and_b32_e32 v5, 0xffff, v4
	v_lshlrev_b32_e32 v4, 24, v4
	s_delay_alu instid0(VALU_DEP_2) | instskip(NEXT) | instid1(VALU_DEP_2)
	v_and_b32_e32 v6, 3, v5
	v_and_b32_e32 v4, 0x80000000, v4
	s_delay_alu instid0(VALU_DEP_2) | instskip(NEXT) | instid1(VALU_DEP_1)
	v_clz_i32_u32_e32 v7, v6
	v_min_u32_e32 v7, 32, v7
	s_delay_alu instid0(VALU_DEP_1) | instskip(SKIP_1) | instid1(VALU_DEP_2)
	v_subrev_nc_u32_e32 v8, 29, v7
	v_sub_nc_u32_e32 v7, 30, v7
	v_lshlrev_b32_e32 v8, v8, v5
	v_bfe_u32 v5, v5, 2, 5
	s_delay_alu instid0(VALU_DEP_2) | instskip(NEXT) | instid1(VALU_DEP_2)
	v_and_b32_e32 v8, 3, v8
	v_cmp_eq_u32_e32 vcc_lo, 0, v5
	s_delay_alu instid0(VALU_DEP_2) | instskip(NEXT) | instid1(VALU_DEP_1)
	v_dual_cndmask_b32 v5, v5, v7 :: v_dual_cndmask_b32 v6, v6, v8
	v_lshl_add_u32 v5, v5, 23, 0x37800000
	s_delay_alu instid0(VALU_DEP_2) | instskip(NEXT) | instid1(VALU_DEP_1)
	v_lshlrev_b32_e32 v6, 21, v6
	v_or3_b32 v4, v4, v5, v6
	s_delay_alu instid0(VALU_DEP_1)
	v_cvt_f64_f32_e32 v[43:44], v4
.LBB12_1272:
	s_or_b32 exec_lo, exec_lo, s2
	s_mov_b32 s2, 0
	s_branch .LBB12_1276
.LBB12_1273:
	s_mov_b32 s3, -1
                                        ; implicit-def: $vgpr43_vgpr44
	s_branch .LBB12_1282
.LBB12_1274:
	s_mov_b32 s2, -1
                                        ; implicit-def: $vgpr43_vgpr44
	s_branch .LBB12_1279
.LBB12_1275:
	s_mov_b32 s2, -1
                                        ; implicit-def: $vgpr43_vgpr44
.LBB12_1276:
	s_delay_alu instid0(SALU_CYCLE_1)
	s_and_b32 vcc_lo, exec_lo, s2
	s_cbranch_vccz .LBB12_1278
; %bb.1277:
	global_load_u8 v4, v[1:2], off
	s_waitcnt vmcnt(0)
	v_lshlrev_b32_e32 v4, 24, v4
	s_delay_alu instid0(VALU_DEP_1) | instskip(NEXT) | instid1(VALU_DEP_1)
	v_and_b32_e32 v5, 0x7f000000, v4
	v_clz_i32_u32_e32 v6, v5
	v_add_nc_u32_e32 v8, 0x1000000, v5
	v_cmp_ne_u32_e32 vcc_lo, 0, v5
	s_delay_alu instid0(VALU_DEP_3) | instskip(NEXT) | instid1(VALU_DEP_1)
	v_min_u32_e32 v6, 32, v6
	v_sub_nc_u32_e64 v6, v6, 4 clamp
	s_delay_alu instid0(VALU_DEP_1) | instskip(SKIP_1) | instid1(VALU_DEP_2)
	v_lshlrev_b32_e32 v7, v6, v5
	v_lshlrev_b32_e32 v6, 23, v6
	v_lshrrev_b32_e32 v7, 4, v7
	s_delay_alu instid0(VALU_DEP_1) | instskip(SKIP_1) | instid1(VALU_DEP_2)
	v_sub_nc_u32_e32 v6, v7, v6
	v_ashrrev_i32_e32 v7, 8, v8
	v_add_nc_u32_e32 v6, 0x3c000000, v6
	s_delay_alu instid0(VALU_DEP_1) | instskip(NEXT) | instid1(VALU_DEP_1)
	v_and_or_b32 v6, 0x7f800000, v7, v6
	v_cndmask_b32_e32 v5, 0, v6, vcc_lo
	s_delay_alu instid0(VALU_DEP_1) | instskip(NEXT) | instid1(VALU_DEP_1)
	v_and_or_b32 v4, 0x80000000, v4, v5
	v_cvt_f64_f32_e32 v[43:44], v4
.LBB12_1278:
	s_mov_b32 s2, 0
.LBB12_1279:
	s_delay_alu instid0(SALU_CYCLE_1)
	s_and_not1_b32 vcc_lo, exec_lo, s2
	s_cbranch_vccnz .LBB12_1281
; %bb.1280:
	global_load_u8 v4, v[1:2], off
	s_waitcnt vmcnt(0)
	v_lshlrev_b32_e32 v5, 25, v4
	v_lshlrev_b16 v4, 8, v4
	s_delay_alu instid0(VALU_DEP_2) | instskip(NEXT) | instid1(VALU_DEP_2)
	v_lshrrev_b32_e32 v6, 4, v5
	v_and_or_b32 v7, 0x7f00, v4, 0.5
	v_bfe_i32 v4, v4, 0, 16
	s_delay_alu instid0(VALU_DEP_3) | instskip(NEXT) | instid1(VALU_DEP_1)
	v_or_b32_e32 v6, 0x70000000, v6
	v_dual_add_f32 v7, -0.5, v7 :: v_dual_mul_f32 v6, 0x7800000, v6
	v_cmp_gt_u32_e32 vcc_lo, 0x8000000, v5
	s_delay_alu instid0(VALU_DEP_2) | instskip(NEXT) | instid1(VALU_DEP_1)
	v_cndmask_b32_e32 v5, v6, v7, vcc_lo
	v_and_or_b32 v4, 0x80000000, v4, v5
	s_delay_alu instid0(VALU_DEP_1)
	v_cvt_f64_f32_e32 v[43:44], v4
.LBB12_1281:
	s_mov_b32 s3, 0
	s_mov_b32 s2, -1
.LBB12_1282:
	s_and_not1_b32 vcc_lo, exec_lo, s3
	s_mov_b32 s10, 0
	s_cbranch_vccnz .LBB12_1291
; %bb.1283:
	v_cmp_lt_i16_e32 vcc_lo, 14, v3
	s_cbranch_vccz .LBB12_1286
; %bb.1284:
	v_cmp_eq_u16_e32 vcc_lo, 15, v3
	s_cbranch_vccz .LBB12_1287
; %bb.1285:
	global_load_u16 v4, v[1:2], off
	s_mov_b32 s9, 0
	s_mov_b32 s2, -1
	s_waitcnt vmcnt(0)
	v_lshlrev_b32_e32 v4, 16, v4
	s_delay_alu instid0(VALU_DEP_1)
	v_cvt_f64_f32_e32 v[43:44], v4
	s_branch .LBB12_1288
.LBB12_1286:
	s_mov_b32 s3, -1
                                        ; implicit-def: $vgpr43_vgpr44
	s_branch .LBB12_1289
.LBB12_1287:
	s_mov_b32 s9, -1
                                        ; implicit-def: $vgpr43_vgpr44
.LBB12_1288:
	s_mov_b32 s3, 0
.LBB12_1289:
	s_delay_alu instid0(SALU_CYCLE_1)
	s_and_b32 vcc_lo, exec_lo, s3
	s_cbranch_vccz .LBB12_1291
; %bb.1290:
	v_cmp_ne_u16_e32 vcc_lo, 11, v3
	s_and_not1_b32 s3, s9, exec_lo
	s_mov_b32 s10, -1
                                        ; implicit-def: $vgpr43_vgpr44
	s_and_b32 s9, vcc_lo, exec_lo
	s_delay_alu instid0(SALU_CYCLE_1)
	s_or_b32 s9, s3, s9
.LBB12_1291:
	s_mov_b32 s3, 0
.LBB12_1292:
	s_and_not1_b32 s12, s4, exec_lo
	s_and_b32 s9, s9, exec_lo
	s_and_b32 s2, s2, exec_lo
	;; [unrolled: 1-line block ×4, first 2 shown]
	s_or_b32 s9, s12, s9
.LBB12_1293:
	s_or_b32 exec_lo, exec_lo, s8
	s_delay_alu instid0(SALU_CYCLE_1)
	s_and_not1_b32 s4, s4, exec_lo
	s_and_b32 s9, s9, exec_lo
	s_and_b32 s2, s2, exec_lo
	;; [unrolled: 1-line block ×4, first 2 shown]
	s_or_b32 s4, s4, s9
.LBB12_1294:
	s_or_b32 exec_lo, exec_lo, s7
	s_delay_alu instid0(SALU_CYCLE_1)
	s_and_not1_b32 s9, s84, exec_lo
	s_and_b32 s6, s6, exec_lo
	s_and_not1_b32 s7, s83, exec_lo
	s_and_b32 s5, s5, exec_lo
	s_or_b32 s84, s9, s6
	s_and_not1_b32 s6, s82, exec_lo
	s_and_b32 s4, s4, exec_lo
	s_or_b32 s83, s7, s5
	s_and_b32 s2, s2, exec_lo
	s_and_b32 s5, s8, exec_lo
	s_and_b32 s3, s3, exec_lo
	s_or_b32 s82, s6, s4
.LBB12_1295:
	s_or_b32 exec_lo, exec_lo, s85
	s_delay_alu instid0(SALU_CYCLE_1)
	s_and_not1_b32 s4, s78, exec_lo
	s_and_b32 s6, s83, exec_lo
	s_and_not1_b32 s7, s79, exec_lo
	s_and_b32 s8, s84, exec_lo
	s_or_b32 s78, s4, s6
	s_and_b32 s4, s5, exec_lo
	s_and_not1_b32 s5, s80, exec_lo
	s_and_b32 s6, s82, exec_lo
	s_or_b32 s79, s7, s8
	s_and_b32 s2, s2, exec_lo
	s_and_b32 s82, s3, exec_lo
	s_or_b32 s80, s5, s6
.LBB12_1296:
	s_or_b32 exec_lo, exec_lo, s81
	s_mov_b32 s48, 0
	s_and_saveexec_b32 s3, s80
	s_cbranch_execnz .LBB12_1308
; %bb.1297:
	s_or_b32 exec_lo, exec_lo, s3
	s_and_saveexec_b32 s3, s82
	s_delay_alu instid0(SALU_CYCLE_1)
	s_xor_b32 s3, exec_lo, s3
	s_cbranch_execz .LBB12_1299
.LBB12_1298:
	global_load_u8 v4, v[1:2], off
	s_waitcnt vmcnt(1)
	v_mov_b32_e32 v43, 0
	s_or_b32 s2, s2, exec_lo
	s_waitcnt vmcnt(0)
	v_cmp_ne_u16_e32 vcc_lo, 0, v4
	v_cndmask_b32_e64 v44, 0, 0x3ff00000, vcc_lo
.LBB12_1299:
	s_or_b32 exec_lo, exec_lo, s3
	s_and_saveexec_b32 s3, s4
	s_cbranch_execz .LBB12_1347
; %bb.1300:
	v_cmp_gt_i16_e32 vcc_lo, 5, v3
	s_cbranch_vccnz .LBB12_1305
; %bb.1301:
	v_cmp_gt_i16_e32 vcc_lo, 8, v3
	s_cbranch_vccnz .LBB12_1306
	;; [unrolled: 3-line block ×3, first 2 shown]
; %bb.1303:
	v_cmp_lt_i16_e32 vcc_lo, 9, v3
	s_cbranch_vccz .LBB12_1310
; %bb.1304:
	global_load_b64 v[43:44], v[1:2], off
	s_mov_b32 s4, 0
	s_branch .LBB12_1311
.LBB12_1305:
                                        ; implicit-def: $vgpr43_vgpr44
	s_branch .LBB12_1328
.LBB12_1306:
                                        ; implicit-def: $vgpr43_vgpr44
	s_branch .LBB12_1317
.LBB12_1307:
	s_mov_b32 s4, -1
                                        ; implicit-def: $vgpr43_vgpr44
	s_branch .LBB12_1314
.LBB12_1308:
	s_cbranch_execnz .LBB12_1359
; %bb.1309:
	s_mov_b32 s48, exec_lo
	s_and_not1_b32 s82, s82, exec_lo
                                        ; implicit-def: $vgpr43_vgpr44
	s_or_b32 exec_lo, exec_lo, s3
	s_and_saveexec_b32 s3, s82
	s_delay_alu instid0(SALU_CYCLE_1)
	s_xor_b32 s3, exec_lo, s3
	s_cbranch_execnz .LBB12_1298
	s_branch .LBB12_1299
.LBB12_1310:
	s_mov_b32 s4, -1
                                        ; implicit-def: $vgpr43_vgpr44
.LBB12_1311:
	s_delay_alu instid0(SALU_CYCLE_1)
	s_and_not1_b32 vcc_lo, exec_lo, s4
	s_cbranch_vccnz .LBB12_1313
; %bb.1312:
	global_load_b32 v4, v[1:2], off
	s_waitcnt vmcnt(0)
	v_cvt_f64_f32_e32 v[43:44], v4
.LBB12_1313:
	s_mov_b32 s4, 0
.LBB12_1314:
	s_delay_alu instid0(SALU_CYCLE_1)
	s_and_not1_b32 vcc_lo, exec_lo, s4
	s_cbranch_vccnz .LBB12_1316
; %bb.1315:
	global_load_b32 v4, v[1:2], off
	s_waitcnt vmcnt(0)
	v_cvt_f32_f16_e32 v4, v4
	s_delay_alu instid0(VALU_DEP_1)
	v_cvt_f64_f32_e32 v[43:44], v4
.LBB12_1316:
	s_cbranch_execnz .LBB12_1327
.LBB12_1317:
	v_cmp_gt_i16_e32 vcc_lo, 6, v3
	s_cbranch_vccnz .LBB12_1320
; %bb.1318:
	v_cmp_lt_i16_e32 vcc_lo, 6, v3
	s_cbranch_vccz .LBB12_1321
; %bb.1319:
	global_load_b64 v[43:44], v[1:2], off
	s_mov_b32 s4, 0
	s_branch .LBB12_1322
.LBB12_1320:
	s_mov_b32 s4, -1
                                        ; implicit-def: $vgpr43_vgpr44
	s_branch .LBB12_1325
.LBB12_1321:
	s_mov_b32 s4, -1
                                        ; implicit-def: $vgpr43_vgpr44
.LBB12_1322:
	s_delay_alu instid0(SALU_CYCLE_1)
	s_and_not1_b32 vcc_lo, exec_lo, s4
	s_cbranch_vccnz .LBB12_1324
; %bb.1323:
	global_load_b32 v4, v[1:2], off
	s_waitcnt vmcnt(0)
	v_cvt_f64_f32_e32 v[43:44], v4
.LBB12_1324:
	s_mov_b32 s4, 0
.LBB12_1325:
	s_delay_alu instid0(SALU_CYCLE_1)
	s_and_not1_b32 vcc_lo, exec_lo, s4
	s_cbranch_vccnz .LBB12_1327
; %bb.1326:
	global_load_u16 v4, v[1:2], off
	s_waitcnt vmcnt(0)
	v_cvt_f32_f16_e32 v4, v4
	s_delay_alu instid0(VALU_DEP_1)
	v_cvt_f64_f32_e32 v[43:44], v4
.LBB12_1327:
	s_cbranch_execnz .LBB12_1346
.LBB12_1328:
	v_cmp_gt_i16_e32 vcc_lo, 2, v3
	s_cbranch_vccnz .LBB12_1332
; %bb.1329:
	v_cmp_gt_i16_e32 vcc_lo, 3, v3
	s_cbranch_vccnz .LBB12_1333
; %bb.1330:
	v_cmp_lt_i16_e32 vcc_lo, 3, v3
	s_cbranch_vccz .LBB12_1334
; %bb.1331:
	global_load_b64 v[4:5], v[1:2], off
	s_mov_b32 s4, 0
	s_waitcnt vmcnt(0)
	v_cvt_f64_i32_e32 v[5:6], v5
	v_cvt_f64_u32_e32 v[7:8], v4
	s_delay_alu instid0(VALU_DEP_2) | instskip(NEXT) | instid1(VALU_DEP_1)
	v_ldexp_f64 v[5:6], v[5:6], 32
	v_add_f64 v[43:44], v[5:6], v[7:8]
	s_branch .LBB12_1335
.LBB12_1332:
                                        ; implicit-def: $vgpr43_vgpr44
	s_branch .LBB12_1341
.LBB12_1333:
	s_mov_b32 s4, -1
                                        ; implicit-def: $vgpr43_vgpr44
	s_branch .LBB12_1338
.LBB12_1334:
	s_mov_b32 s4, -1
                                        ; implicit-def: $vgpr43_vgpr44
.LBB12_1335:
	s_delay_alu instid0(SALU_CYCLE_1)
	s_and_not1_b32 vcc_lo, exec_lo, s4
	s_cbranch_vccnz .LBB12_1337
; %bb.1336:
	global_load_b32 v4, v[1:2], off
	s_waitcnt vmcnt(0)
	v_cvt_f64_i32_e32 v[43:44], v4
.LBB12_1337:
	s_mov_b32 s4, 0
.LBB12_1338:
	s_delay_alu instid0(SALU_CYCLE_1)
	s_and_not1_b32 vcc_lo, exec_lo, s4
	s_cbranch_vccnz .LBB12_1340
; %bb.1339:
	global_load_i16 v4, v[1:2], off
	s_waitcnt vmcnt(0)
	v_cvt_f64_i32_e32 v[43:44], v4
.LBB12_1340:
	s_cbranch_execnz .LBB12_1346
.LBB12_1341:
	v_cmp_lt_i16_e32 vcc_lo, 0, v3
	s_mov_b32 s4, 0
	s_cbranch_vccz .LBB12_1343
; %bb.1342:
	global_load_i8 v3, v[1:2], off
	s_waitcnt vmcnt(0)
	v_cvt_f64_i32_e32 v[43:44], v3
	s_branch .LBB12_1344
.LBB12_1343:
	s_mov_b32 s4, -1
                                        ; implicit-def: $vgpr43_vgpr44
.LBB12_1344:
	s_delay_alu instid0(SALU_CYCLE_1)
	s_and_not1_b32 vcc_lo, exec_lo, s4
	s_cbranch_vccnz .LBB12_1346
; %bb.1345:
	global_load_u8 v1, v[1:2], off
	s_waitcnt vmcnt(0)
	v_cvt_f64_u32_e32 v[43:44], v1
.LBB12_1346:
	s_or_b32 s2, s2, exec_lo
.LBB12_1347:
	s_or_b32 exec_lo, exec_lo, s3
	s_mov_b32 s5, 0
	s_mov_b32 s7, 0
	;; [unrolled: 1-line block ×3, first 2 shown]
                                        ; implicit-def: $vgpr1_vgpr2
                                        ; implicit-def: $vgpr45_vgpr46
	s_and_saveexec_b32 s4, s2
	s_cbranch_execz .LBB12_1427
; %bb.1348:
	v_cmp_lt_i16_e64 s2, s72, 11
	v_add_co_u32 v1, s3, s58, v0
	s_delay_alu instid0(VALU_DEP_1) | instskip(NEXT) | instid1(VALU_DEP_3)
	v_add_co_ci_u32_e64 v2, null, s59, 0, s3
	s_and_b32 vcc_lo, exec_lo, s2
	s_mov_b32 s2, 0
	s_cbranch_vccnz .LBB12_1355
; %bb.1349:
	v_cmp_gt_i16_e64 s2, s72, 25
	s_mov_b32 s6, 0
	s_delay_alu instid0(VALU_DEP_1)
	s_and_b32 vcc_lo, exec_lo, s2
	s_cbranch_vccz .LBB12_1356
; %bb.1350:
	v_cmp_gt_i16_e64 s2, s72, 28
	s_delay_alu instid0(VALU_DEP_1)
	s_and_b32 vcc_lo, exec_lo, s2
	s_cbranch_vccz .LBB12_1357
; %bb.1351:
	v_cmp_gt_i16_e64 s2, s72, 43
	;; [unrolled: 5-line block ×3, first 2 shown]
	s_delay_alu instid0(VALU_DEP_1)
	s_and_b32 vcc_lo, exec_lo, s2
	s_cbranch_vccz .LBB12_1361
; %bb.1353:
	v_cmp_eq_u16_e64 s2, s72, 46
	s_mov_b32 s3, 0
	s_delay_alu instid0(VALU_DEP_1)
	s_and_b32 vcc_lo, exec_lo, s2
	s_cbranch_vccz .LBB12_1362
; %bb.1354:
	global_load_b32 v0, v[1:2], off
	s_mov_b32 s2, -1
	s_waitcnt vmcnt(0)
	v_lshlrev_b32_e32 v0, 16, v0
	s_delay_alu instid0(VALU_DEP_1)
	v_cvt_f64_f32_e32 v[45:46], v0
	s_branch .LBB12_1364
.LBB12_1355:
	s_mov_b32 s7, -1
	s_mov_b32 s6, 0
	s_mov_b32 s5, s79
                                        ; implicit-def: $vgpr45_vgpr46
	s_branch .LBB12_1426
.LBB12_1356:
	s_mov_b32 s2, 0
	s_mov_b32 s5, s79
                                        ; implicit-def: $vgpr45_vgpr46
	s_cbranch_execnz .LBB12_1395
	s_branch .LBB12_1425
.LBB12_1357:
	s_mov_b32 s3, -1
	s_mov_b32 s2, 0
	s_mov_b32 s5, s79
                                        ; implicit-def: $vgpr45_vgpr46
	s_branch .LBB12_1374
.LBB12_1358:
	s_mov_b32 s3, -1
	s_mov_b32 s2, 0
	s_mov_b32 s5, s79
                                        ; implicit-def: $vgpr45_vgpr46
	s_branch .LBB12_1369
.LBB12_1359:
	s_trap 2
	s_sendmsg_rtn_b32 s0, sendmsg(MSG_RTN_GET_DOORBELL)
	s_mov_b32 ttmp2, m0
	s_waitcnt lgkmcnt(0)
	s_and_b32 s0, s0, 0x3ff
	s_delay_alu instid0(SALU_CYCLE_1) | instskip(NEXT) | instid1(SALU_CYCLE_1)
	s_bitset1_b32 s0, 10
	s_mov_b32 m0, s0
	s_sendmsg sendmsg(MSG_INTERRUPT)
	s_mov_b32 m0, ttmp2
.LBB12_1360:                            ; =>This Inner Loop Header: Depth=1
	s_sethalt 5
	s_branch .LBB12_1360
.LBB12_1361:
	s_mov_b32 s3, -1
	s_mov_b32 s2, 0
	s_mov_b32 s5, s79
	s_branch .LBB12_1363
.LBB12_1362:
	s_mov_b32 s5, -1
	s_mov_b32 s2, 0
.LBB12_1363:
                                        ; implicit-def: $vgpr45_vgpr46
.LBB12_1364:
	s_and_b32 vcc_lo, exec_lo, s3
	s_cbranch_vccz .LBB12_1368
; %bb.1365:
	v_cmp_eq_u16_e64 s3, s72, 44
	s_delay_alu instid0(VALU_DEP_1)
	s_and_b32 vcc_lo, exec_lo, s3
	s_cbranch_vccz .LBB12_1367
; %bb.1366:
	global_load_u8 v0, v[1:2], off
	s_mov_b32 s5, 0
	s_mov_b32 s2, -1
	s_waitcnt vmcnt(0)
	v_lshlrev_b32_e32 v3, 23, v0
	v_cmp_ne_u32_e32 vcc_lo, 0xff, v0
	s_delay_alu instid0(VALU_DEP_2) | instskip(NEXT) | instid1(VALU_DEP_1)
	v_cvt_f64_f32_e32 v[3:4], v3
	v_cndmask_b32_e32 v3, 0x20000000, v3, vcc_lo
	s_delay_alu instid0(VALU_DEP_2) | instskip(SKIP_1) | instid1(VALU_DEP_2)
	v_cndmask_b32_e32 v4, 0x7ff80000, v4, vcc_lo
	v_cmp_ne_u32_e32 vcc_lo, 0, v0
	v_cndmask_b32_e32 v46, 0x38000000, v4, vcc_lo
	s_delay_alu instid0(VALU_DEP_4)
	v_cndmask_b32_e32 v45, 0, v3, vcc_lo
	s_branch .LBB12_1368
.LBB12_1367:
	s_mov_b32 s5, -1
                                        ; implicit-def: $vgpr45_vgpr46
.LBB12_1368:
	s_mov_b32 s3, 0
.LBB12_1369:
	s_delay_alu instid0(SALU_CYCLE_1)
	s_and_b32 vcc_lo, exec_lo, s3
	s_cbranch_vccz .LBB12_1373
; %bb.1370:
	v_cmp_eq_u16_e64 s3, s72, 29
	s_delay_alu instid0(VALU_DEP_1)
	s_and_b32 vcc_lo, exec_lo, s3
	s_cbranch_vccz .LBB12_1372
; %bb.1371:
	global_load_b64 v[3:4], v[1:2], off
	s_mov_b32 s5, 0
	s_mov_b32 s2, -1
	s_mov_b32 s3, 0
	s_waitcnt vmcnt(0)
	v_cvt_f64_u32_e32 v[4:5], v4
	v_cvt_f64_u32_e32 v[6:7], v3
	s_delay_alu instid0(VALU_DEP_2) | instskip(NEXT) | instid1(VALU_DEP_1)
	v_ldexp_f64 v[4:5], v[4:5], 32
	v_add_f64 v[45:46], v[4:5], v[6:7]
	s_branch .LBB12_1374
.LBB12_1372:
	s_mov_b32 s5, -1
                                        ; implicit-def: $vgpr45_vgpr46
.LBB12_1373:
	s_mov_b32 s3, 0
.LBB12_1374:
	s_delay_alu instid0(SALU_CYCLE_1)
	s_and_b32 vcc_lo, exec_lo, s3
	s_cbranch_vccz .LBB12_1394
; %bb.1375:
	v_cmp_lt_i16_e64 s2, s72, 27
	s_delay_alu instid0(VALU_DEP_1)
	s_and_b32 vcc_lo, exec_lo, s2
	s_cbranch_vccnz .LBB12_1378
; %bb.1376:
	v_cmp_gt_i16_e64 s2, s72, 27
	s_delay_alu instid0(VALU_DEP_1)
	s_and_b32 vcc_lo, exec_lo, s2
	s_cbranch_vccz .LBB12_1379
; %bb.1377:
	global_load_b32 v0, v[1:2], off
	s_mov_b32 s2, 0
	s_waitcnt vmcnt(0)
	v_cvt_f64_u32_e32 v[45:46], v0
	s_branch .LBB12_1380
.LBB12_1378:
	s_mov_b32 s2, -1
                                        ; implicit-def: $vgpr45_vgpr46
	s_branch .LBB12_1383
.LBB12_1379:
	s_mov_b32 s2, -1
                                        ; implicit-def: $vgpr45_vgpr46
.LBB12_1380:
	s_delay_alu instid0(SALU_CYCLE_1)
	s_and_not1_b32 vcc_lo, exec_lo, s2
	s_cbranch_vccnz .LBB12_1382
; %bb.1381:
	global_load_u16 v0, v[1:2], off
	s_waitcnt vmcnt(0)
	v_cvt_f64_u32_e32 v[45:46], v0
.LBB12_1382:
	s_mov_b32 s2, 0
.LBB12_1383:
	s_delay_alu instid0(SALU_CYCLE_1)
	s_and_not1_b32 vcc_lo, exec_lo, s2
	s_cbranch_vccnz .LBB12_1393
; %bb.1384:
	global_load_u8 v0, v[1:2], off
	s_mov_b32 s8, exec_lo
                                        ; implicit-def: $sgpr2_sgpr3
	s_waitcnt vmcnt(0)
	v_cmpx_lt_i16_e32 0x7f, v0
	s_xor_b32 s8, exec_lo, s8
	s_cbranch_execz .LBB12_1388
; %bb.1385:
	s_mov_b32 s9, -1
	s_mov_b32 s7, exec_lo
                                        ; implicit-def: $sgpr2_sgpr3
	v_cmpx_eq_u16_e32 0x80, v0
; %bb.1386:
	s_mov_b32 s3, 0x7ff80000
	s_brev_b32 s2, 4
	s_xor_b32 s9, exec_lo, -1
; %bb.1387:
	s_or_b32 exec_lo, exec_lo, s7
	s_delay_alu instid0(SALU_CYCLE_1)
	s_and_b32 s7, s9, exec_lo
.LBB12_1388:
	s_or_saveexec_b32 s8, s8
	v_dual_mov_b32 v46, s3 :: v_dual_mov_b32 v45, s2
	s_xor_b32 exec_lo, exec_lo, s8
; %bb.1389:
	v_cmp_ne_u16_e32 vcc_lo, 0, v0
	v_mov_b32_e32 v45, 0
	v_mov_b32_e32 v46, 0
	s_and_not1_b32 s2, s7, exec_lo
	s_and_b32 s3, vcc_lo, exec_lo
	s_delay_alu instid0(SALU_CYCLE_1)
	s_or_b32 s7, s2, s3
; %bb.1390:
	s_or_b32 exec_lo, exec_lo, s8
	s_and_saveexec_b32 s2, s7
	s_cbranch_execz .LBB12_1392
; %bb.1391:
	v_and_b32_e32 v3, 0xffff, v0
	v_lshlrev_b32_e32 v0, 24, v0
	s_delay_alu instid0(VALU_DEP_2) | instskip(NEXT) | instid1(VALU_DEP_2)
	v_and_b32_e32 v4, 7, v3
	v_and_b32_e32 v0, 0x80000000, v0
	s_delay_alu instid0(VALU_DEP_2) | instskip(NEXT) | instid1(VALU_DEP_1)
	v_clz_i32_u32_e32 v5, v4
	v_min_u32_e32 v5, 32, v5
	s_delay_alu instid0(VALU_DEP_1) | instskip(SKIP_1) | instid1(VALU_DEP_2)
	v_subrev_nc_u32_e32 v6, 28, v5
	v_sub_nc_u32_e32 v5, 29, v5
	v_lshlrev_b32_e32 v6, v6, v3
	v_bfe_u32 v3, v3, 3, 4
	s_delay_alu instid0(VALU_DEP_2) | instskip(NEXT) | instid1(VALU_DEP_2)
	v_and_b32_e32 v6, 7, v6
	v_cmp_eq_u32_e32 vcc_lo, 0, v3
	s_delay_alu instid0(VALU_DEP_2) | instskip(NEXT) | instid1(VALU_DEP_1)
	v_dual_cndmask_b32 v3, v3, v5 :: v_dual_cndmask_b32 v4, v4, v6
	v_lshl_add_u32 v3, v3, 23, 0x3b800000
	s_delay_alu instid0(VALU_DEP_2) | instskip(NEXT) | instid1(VALU_DEP_1)
	v_lshlrev_b32_e32 v4, 20, v4
	v_or3_b32 v0, v0, v3, v4
	s_delay_alu instid0(VALU_DEP_1)
	v_cvt_f64_f32_e32 v[45:46], v0
.LBB12_1392:
	s_or_b32 exec_lo, exec_lo, s2
.LBB12_1393:
	s_mov_b32 s2, -1
.LBB12_1394:
	s_branch .LBB12_1425
.LBB12_1395:
	v_cmp_gt_i16_e64 s3, s72, 22
	s_delay_alu instid0(VALU_DEP_1)
	s_and_b32 vcc_lo, exec_lo, s3
	s_cbranch_vccz .LBB12_1407
; %bb.1396:
	v_cmp_lt_i16_e64 s2, s72, 24
	s_delay_alu instid0(VALU_DEP_1)
	s_and_b32 vcc_lo, exec_lo, s2
	s_cbranch_vccnz .LBB12_1408
; %bb.1397:
	v_cmp_gt_i16_e64 s2, s72, 24
	s_delay_alu instid0(VALU_DEP_1)
	s_and_b32 vcc_lo, exec_lo, s2
	s_cbranch_vccz .LBB12_1409
; %bb.1398:
	global_load_u8 v0, v[1:2], off
	s_mov_b32 s7, exec_lo
                                        ; implicit-def: $sgpr2_sgpr3
	s_waitcnt vmcnt(0)
	v_cmpx_lt_i16_e32 0x7f, v0
	s_xor_b32 s7, exec_lo, s7
	s_cbranch_execz .LBB12_1402
; %bb.1399:
	s_mov_b32 s8, -1
	s_mov_b32 s6, exec_lo
                                        ; implicit-def: $sgpr2_sgpr3
	v_cmpx_eq_u16_e32 0x80, v0
; %bb.1400:
	s_mov_b32 s3, 0x7ff80000
	s_brev_b32 s2, 4
	s_xor_b32 s8, exec_lo, -1
; %bb.1401:
	s_or_b32 exec_lo, exec_lo, s6
	s_delay_alu instid0(SALU_CYCLE_1)
	s_and_b32 s6, s8, exec_lo
.LBB12_1402:
	s_or_saveexec_b32 s7, s7
	v_dual_mov_b32 v46, s3 :: v_dual_mov_b32 v45, s2
	s_xor_b32 exec_lo, exec_lo, s7
; %bb.1403:
	v_cmp_ne_u16_e32 vcc_lo, 0, v0
	v_mov_b32_e32 v45, 0
	v_mov_b32_e32 v46, 0
	s_and_not1_b32 s2, s6, exec_lo
	s_and_b32 s3, vcc_lo, exec_lo
	s_delay_alu instid0(SALU_CYCLE_1)
	s_or_b32 s6, s2, s3
; %bb.1404:
	s_or_b32 exec_lo, exec_lo, s7
	s_and_saveexec_b32 s2, s6
	s_cbranch_execz .LBB12_1406
; %bb.1405:
	v_and_b32_e32 v3, 0xffff, v0
	v_lshlrev_b32_e32 v0, 24, v0
	s_delay_alu instid0(VALU_DEP_2) | instskip(NEXT) | instid1(VALU_DEP_2)
	v_and_b32_e32 v4, 3, v3
	v_and_b32_e32 v0, 0x80000000, v0
	s_delay_alu instid0(VALU_DEP_2) | instskip(NEXT) | instid1(VALU_DEP_1)
	v_clz_i32_u32_e32 v5, v4
	v_min_u32_e32 v5, 32, v5
	s_delay_alu instid0(VALU_DEP_1) | instskip(SKIP_1) | instid1(VALU_DEP_2)
	v_subrev_nc_u32_e32 v6, 29, v5
	v_sub_nc_u32_e32 v5, 30, v5
	v_lshlrev_b32_e32 v6, v6, v3
	v_bfe_u32 v3, v3, 2, 5
	s_delay_alu instid0(VALU_DEP_2) | instskip(NEXT) | instid1(VALU_DEP_2)
	v_and_b32_e32 v6, 3, v6
	v_cmp_eq_u32_e32 vcc_lo, 0, v3
	s_delay_alu instid0(VALU_DEP_2) | instskip(NEXT) | instid1(VALU_DEP_1)
	v_dual_cndmask_b32 v3, v3, v5 :: v_dual_cndmask_b32 v4, v4, v6
	v_lshl_add_u32 v3, v3, 23, 0x37800000
	s_delay_alu instid0(VALU_DEP_2) | instskip(NEXT) | instid1(VALU_DEP_1)
	v_lshlrev_b32_e32 v4, 21, v4
	v_or3_b32 v0, v0, v3, v4
	s_delay_alu instid0(VALU_DEP_1)
	v_cvt_f64_f32_e32 v[45:46], v0
.LBB12_1406:
	s_or_b32 exec_lo, exec_lo, s2
	s_mov_b32 s2, 0
	s_branch .LBB12_1410
.LBB12_1407:
	s_mov_b32 s3, -1
                                        ; implicit-def: $vgpr45_vgpr46
	s_branch .LBB12_1416
.LBB12_1408:
	s_mov_b32 s2, -1
                                        ; implicit-def: $vgpr45_vgpr46
	s_branch .LBB12_1413
.LBB12_1409:
	s_mov_b32 s2, -1
                                        ; implicit-def: $vgpr45_vgpr46
.LBB12_1410:
	s_delay_alu instid0(SALU_CYCLE_1)
	s_and_b32 vcc_lo, exec_lo, s2
	s_cbranch_vccz .LBB12_1412
; %bb.1411:
	global_load_u8 v0, v[1:2], off
	s_waitcnt vmcnt(0)
	v_lshlrev_b32_e32 v0, 24, v0
	s_delay_alu instid0(VALU_DEP_1) | instskip(NEXT) | instid1(VALU_DEP_1)
	v_and_b32_e32 v3, 0x7f000000, v0
	v_clz_i32_u32_e32 v4, v3
	v_cmp_ne_u32_e32 vcc_lo, 0, v3
	v_add_nc_u32_e32 v6, 0x1000000, v3
	s_delay_alu instid0(VALU_DEP_3) | instskip(NEXT) | instid1(VALU_DEP_1)
	v_min_u32_e32 v4, 32, v4
	v_sub_nc_u32_e64 v4, v4, 4 clamp
	s_delay_alu instid0(VALU_DEP_1) | instskip(SKIP_1) | instid1(VALU_DEP_2)
	v_lshlrev_b32_e32 v5, v4, v3
	v_lshlrev_b32_e32 v4, 23, v4
	v_lshrrev_b32_e32 v5, 4, v5
	s_delay_alu instid0(VALU_DEP_1) | instskip(SKIP_1) | instid1(VALU_DEP_2)
	v_sub_nc_u32_e32 v4, v5, v4
	v_ashrrev_i32_e32 v5, 8, v6
	v_add_nc_u32_e32 v4, 0x3c000000, v4
	s_delay_alu instid0(VALU_DEP_1) | instskip(NEXT) | instid1(VALU_DEP_1)
	v_and_or_b32 v4, 0x7f800000, v5, v4
	v_cndmask_b32_e32 v3, 0, v4, vcc_lo
	s_delay_alu instid0(VALU_DEP_1) | instskip(NEXT) | instid1(VALU_DEP_1)
	v_and_or_b32 v0, 0x80000000, v0, v3
	v_cvt_f64_f32_e32 v[45:46], v0
.LBB12_1412:
	s_mov_b32 s2, 0
.LBB12_1413:
	s_delay_alu instid0(SALU_CYCLE_1)
	s_and_not1_b32 vcc_lo, exec_lo, s2
	s_cbranch_vccnz .LBB12_1415
; %bb.1414:
	global_load_u8 v0, v[1:2], off
	s_waitcnt vmcnt(0)
	v_lshlrev_b32_e32 v3, 25, v0
	v_lshlrev_b16 v0, 8, v0
	s_delay_alu instid0(VALU_DEP_2) | instskip(NEXT) | instid1(VALU_DEP_2)
	v_lshrrev_b32_e32 v4, 4, v3
	v_and_or_b32 v5, 0x7f00, v0, 0.5
	v_cmp_gt_u32_e32 vcc_lo, 0x8000000, v3
	v_bfe_i32 v0, v0, 0, 16
	s_delay_alu instid0(VALU_DEP_4) | instskip(NEXT) | instid1(VALU_DEP_1)
	v_or_b32_e32 v4, 0x70000000, v4
	v_dual_add_f32 v5, -0.5, v5 :: v_dual_mul_f32 v4, 0x7800000, v4
	s_delay_alu instid0(VALU_DEP_1) | instskip(NEXT) | instid1(VALU_DEP_1)
	v_cndmask_b32_e32 v3, v4, v5, vcc_lo
	v_and_or_b32 v0, 0x80000000, v0, v3
	s_delay_alu instid0(VALU_DEP_1)
	v_cvt_f64_f32_e32 v[45:46], v0
.LBB12_1415:
	s_mov_b32 s3, 0
	s_mov_b32 s2, -1
.LBB12_1416:
	s_and_not1_b32 vcc_lo, exec_lo, s3
	s_mov_b32 s6, 0
	s_cbranch_vccnz .LBB12_1425
; %bb.1417:
	v_cmp_gt_i16_e64 s3, s72, 14
	s_delay_alu instid0(VALU_DEP_1)
	s_and_b32 vcc_lo, exec_lo, s3
	s_cbranch_vccz .LBB12_1420
; %bb.1418:
	v_cmp_eq_u16_e64 s3, s72, 15
	s_delay_alu instid0(VALU_DEP_1)
	s_and_b32 vcc_lo, exec_lo, s3
	s_cbranch_vccz .LBB12_1421
; %bb.1419:
	global_load_u16 v0, v[1:2], off
	s_mov_b32 s5, 0
	s_mov_b32 s2, -1
	s_waitcnt vmcnt(0)
	v_lshlrev_b32_e32 v0, 16, v0
	s_delay_alu instid0(VALU_DEP_1)
	v_cvt_f64_f32_e32 v[45:46], v0
	s_branch .LBB12_1422
.LBB12_1420:
	s_mov_b32 s3, -1
                                        ; implicit-def: $vgpr45_vgpr46
	s_branch .LBB12_1423
.LBB12_1421:
	s_mov_b32 s5, -1
                                        ; implicit-def: $vgpr45_vgpr46
.LBB12_1422:
	s_mov_b32 s3, 0
.LBB12_1423:
	s_delay_alu instid0(SALU_CYCLE_1)
	s_and_b32 vcc_lo, exec_lo, s3
	s_cbranch_vccz .LBB12_1425
; %bb.1424:
	v_cmp_ne_u16_e64 s3, s72, 11
	s_and_not1_b32 s5, s5, exec_lo
	s_mov_b32 s6, -1
                                        ; implicit-def: $vgpr45_vgpr46
	s_delay_alu instid0(VALU_DEP_1) | instskip(NEXT) | instid1(SALU_CYCLE_1)
	s_and_b32 s3, s3, exec_lo
	s_or_b32 s5, s5, s3
.LBB12_1425:
	s_mov_b32 s7, 0
.LBB12_1426:
	s_and_b32 s3, s2, exec_lo
	s_and_not1_b32 s2, s79, exec_lo
	s_and_b32 s8, s5, exec_lo
	s_and_b32 s7, s7, exec_lo
	;; [unrolled: 1-line block ×3, first 2 shown]
	s_or_b32 s79, s2, s8
.LBB12_1427:
	s_or_b32 exec_lo, exec_lo, s4
	s_and_saveexec_b32 s2, s79
	s_cbranch_execnz .LBB12_1439
; %bb.1428:
	s_or_b32 exec_lo, exec_lo, s2
	s_and_saveexec_b32 s2, s5
	s_delay_alu instid0(SALU_CYCLE_1)
	s_xor_b32 s2, exec_lo, s2
	s_cbranch_execz .LBB12_1430
.LBB12_1429:
	global_load_u8 v0, v[1:2], off
	s_waitcnt vmcnt(1)
	v_mov_b32_e32 v45, 0
	s_or_b32 s3, s3, exec_lo
	s_waitcnt vmcnt(0)
	v_cmp_ne_u16_e32 vcc_lo, 0, v0
	v_cndmask_b32_e64 v46, 0, 0x3ff00000, vcc_lo
.LBB12_1430:
	s_or_b32 exec_lo, exec_lo, s2
	s_and_saveexec_b32 s2, s7
	s_cbranch_execz .LBB12_1478
; %bb.1431:
	v_cmp_lt_i16_e64 s4, s72, 5
	s_delay_alu instid0(VALU_DEP_1)
	s_and_b32 vcc_lo, exec_lo, s4
	s_cbranch_vccnz .LBB12_1436
; %bb.1432:
	v_cmp_lt_i16_e64 s4, s72, 8
	s_delay_alu instid0(VALU_DEP_1)
	s_and_b32 vcc_lo, exec_lo, s4
	s_cbranch_vccnz .LBB12_1437
	;; [unrolled: 5-line block ×3, first 2 shown]
; %bb.1434:
	v_cmp_gt_i16_e64 s4, s72, 9
	s_delay_alu instid0(VALU_DEP_1)
	s_and_b32 vcc_lo, exec_lo, s4
	s_cbranch_vccz .LBB12_1441
; %bb.1435:
	global_load_b64 v[45:46], v[1:2], off
	s_mov_b32 s4, 0
	s_branch .LBB12_1442
.LBB12_1436:
                                        ; implicit-def: $vgpr45_vgpr46
	s_branch .LBB12_1459
.LBB12_1437:
                                        ; implicit-def: $vgpr45_vgpr46
	s_branch .LBB12_1448
.LBB12_1438:
	s_mov_b32 s4, -1
                                        ; implicit-def: $vgpr45_vgpr46
	s_branch .LBB12_1445
.LBB12_1439:
	s_cbranch_execnz .LBB12_1701
; %bb.1440:
	s_or_b32 s48, s48, exec_lo
	s_and_not1_b32 s5, s5, exec_lo
                                        ; implicit-def: $vgpr45_vgpr46
	s_or_b32 exec_lo, exec_lo, s2
	s_and_saveexec_b32 s2, s5
	s_delay_alu instid0(SALU_CYCLE_1)
	s_xor_b32 s2, exec_lo, s2
	s_cbranch_execnz .LBB12_1429
	s_branch .LBB12_1430
.LBB12_1441:
	s_mov_b32 s4, -1
                                        ; implicit-def: $vgpr45_vgpr46
.LBB12_1442:
	s_delay_alu instid0(SALU_CYCLE_1)
	s_and_not1_b32 vcc_lo, exec_lo, s4
	s_cbranch_vccnz .LBB12_1444
; %bb.1443:
	global_load_b32 v0, v[1:2], off
	s_waitcnt vmcnt(0)
	v_cvt_f64_f32_e32 v[45:46], v0
.LBB12_1444:
	s_mov_b32 s4, 0
.LBB12_1445:
	s_delay_alu instid0(SALU_CYCLE_1)
	s_and_not1_b32 vcc_lo, exec_lo, s4
	s_cbranch_vccnz .LBB12_1447
; %bb.1446:
	global_load_b32 v0, v[1:2], off
	s_waitcnt vmcnt(0)
	v_cvt_f32_f16_e32 v0, v0
	s_delay_alu instid0(VALU_DEP_1)
	v_cvt_f64_f32_e32 v[45:46], v0
.LBB12_1447:
	s_cbranch_execnz .LBB12_1458
.LBB12_1448:
	v_cmp_lt_i16_e64 s4, s72, 6
	s_delay_alu instid0(VALU_DEP_1)
	s_and_b32 vcc_lo, exec_lo, s4
	s_cbranch_vccnz .LBB12_1451
; %bb.1449:
	v_cmp_gt_i16_e64 s4, s72, 6
	s_delay_alu instid0(VALU_DEP_1)
	s_and_b32 vcc_lo, exec_lo, s4
	s_cbranch_vccz .LBB12_1452
; %bb.1450:
	global_load_b64 v[45:46], v[1:2], off
	s_mov_b32 s4, 0
	s_branch .LBB12_1453
.LBB12_1451:
	s_mov_b32 s4, -1
                                        ; implicit-def: $vgpr45_vgpr46
	s_branch .LBB12_1456
.LBB12_1452:
	s_mov_b32 s4, -1
                                        ; implicit-def: $vgpr45_vgpr46
.LBB12_1453:
	s_delay_alu instid0(SALU_CYCLE_1)
	s_and_not1_b32 vcc_lo, exec_lo, s4
	s_cbranch_vccnz .LBB12_1455
; %bb.1454:
	global_load_b32 v0, v[1:2], off
	s_waitcnt vmcnt(0)
	v_cvt_f64_f32_e32 v[45:46], v0
.LBB12_1455:
	s_mov_b32 s4, 0
.LBB12_1456:
	s_delay_alu instid0(SALU_CYCLE_1)
	s_and_not1_b32 vcc_lo, exec_lo, s4
	s_cbranch_vccnz .LBB12_1458
; %bb.1457:
	global_load_u16 v0, v[1:2], off
	s_waitcnt vmcnt(0)
	v_cvt_f32_f16_e32 v0, v0
	s_delay_alu instid0(VALU_DEP_1)
	v_cvt_f64_f32_e32 v[45:46], v0
.LBB12_1458:
	s_cbranch_execnz .LBB12_1477
.LBB12_1459:
	v_cmp_lt_i16_e64 s4, s72, 2
	s_delay_alu instid0(VALU_DEP_1)
	s_and_b32 vcc_lo, exec_lo, s4
	s_cbranch_vccnz .LBB12_1463
; %bb.1460:
	v_cmp_lt_i16_e64 s4, s72, 3
	s_delay_alu instid0(VALU_DEP_1)
	s_and_b32 vcc_lo, exec_lo, s4
	s_cbranch_vccnz .LBB12_1464
; %bb.1461:
	v_cmp_gt_i16_e64 s4, s72, 3
	s_delay_alu instid0(VALU_DEP_1)
	s_and_b32 vcc_lo, exec_lo, s4
	s_cbranch_vccz .LBB12_1465
; %bb.1462:
	global_load_b64 v[3:4], v[1:2], off
	s_mov_b32 s4, 0
	s_waitcnt vmcnt(0)
	v_cvt_f64_i32_e32 v[4:5], v4
	v_cvt_f64_u32_e32 v[6:7], v3
	s_delay_alu instid0(VALU_DEP_2) | instskip(NEXT) | instid1(VALU_DEP_1)
	v_ldexp_f64 v[4:5], v[4:5], 32
	v_add_f64 v[45:46], v[4:5], v[6:7]
	s_branch .LBB12_1466
.LBB12_1463:
                                        ; implicit-def: $vgpr45_vgpr46
	s_branch .LBB12_1472
.LBB12_1464:
	s_mov_b32 s4, -1
                                        ; implicit-def: $vgpr45_vgpr46
	s_branch .LBB12_1469
.LBB12_1465:
	s_mov_b32 s4, -1
                                        ; implicit-def: $vgpr45_vgpr46
.LBB12_1466:
	s_delay_alu instid0(SALU_CYCLE_1)
	s_and_not1_b32 vcc_lo, exec_lo, s4
	s_cbranch_vccnz .LBB12_1468
; %bb.1467:
	global_load_b32 v0, v[1:2], off
	s_waitcnt vmcnt(0)
	v_cvt_f64_i32_e32 v[45:46], v0
.LBB12_1468:
	s_mov_b32 s4, 0
.LBB12_1469:
	s_delay_alu instid0(SALU_CYCLE_1)
	s_and_not1_b32 vcc_lo, exec_lo, s4
	s_cbranch_vccnz .LBB12_1471
; %bb.1470:
	global_load_i16 v0, v[1:2], off
	s_waitcnt vmcnt(0)
	v_cvt_f64_i32_e32 v[45:46], v0
.LBB12_1471:
	s_cbranch_execnz .LBB12_1477
.LBB12_1472:
	v_cmp_gt_i16_e64 s4, s72, 0
	s_delay_alu instid0(VALU_DEP_1)
	s_and_b32 vcc_lo, exec_lo, s4
	s_mov_b32 s4, 0
	s_cbranch_vccz .LBB12_1474
; %bb.1473:
	global_load_i8 v0, v[1:2], off
	s_waitcnt vmcnt(0)
	v_cvt_f64_i32_e32 v[45:46], v0
	s_branch .LBB12_1475
.LBB12_1474:
	s_mov_b32 s4, -1
                                        ; implicit-def: $vgpr45_vgpr46
.LBB12_1475:
	s_delay_alu instid0(SALU_CYCLE_1)
	s_and_not1_b32 vcc_lo, exec_lo, s4
	s_cbranch_vccnz .LBB12_1477
; %bb.1476:
	global_load_u8 v0, v[1:2], off
	s_waitcnt vmcnt(0)
	v_cvt_f64_u32_e32 v[45:46], v0
.LBB12_1477:
	s_or_b32 s3, s3, exec_lo
.LBB12_1478:
	s_or_b32 exec_lo, exec_lo, s2
	s_mov_b32 s2, 0
	s_mov_b32 s4, 0
                                        ; implicit-def: $vgpr6
                                        ; implicit-def: $vgpr4_vgpr5
                                        ; implicit-def: $vgpr0_vgpr1
	s_and_saveexec_b32 s49, s3
	s_cbranch_execz .LBB12_1559
; %bb.1479:
	s_mov_b64 s[46:47], s[0:1]
	s_and_not1_b32 vcc_lo, exec_lo, s71
	s_cbranch_vccnz .LBB12_1481
; %bb.1480:
	s_waitcnt vmcnt(0)
	s_delay_alu instid0(VALU_DEP_1) | instskip(NEXT) | instid1(VALU_DEP_2)
	v_dual_mov_b32 v0, v43 :: v_dual_mov_b32 v1, v44
	v_dual_mov_b32 v2, v45 :: v_dual_mov_b32 v3, v46
	s_getpc_b64 s[0:1]
	s_add_u32 s0, s0, _ZN12_GLOBAL__N_111calc_igammaIdEET_S1_S1_@rel32@lo+4
	s_addc_u32 s1, s1, _ZN12_GLOBAL__N_111calc_igammaIdEET_S1_S1_@rel32@hi+12
	s_delay_alu instid0(SALU_CYCLE_1)
	s_swappc_b64 s[30:31], s[0:1]
	s_cbranch_execz .LBB12_1482
	s_branch .LBB12_1483
.LBB12_1481:
                                        ; implicit-def: $vgpr0_vgpr1
.LBB12_1482:
	s_waitcnt vmcnt(0)
	s_delay_alu instid0(VALU_DEP_1) | instskip(NEXT) | instid1(VALU_DEP_2)
	v_dual_mov_b32 v0, v43 :: v_dual_mov_b32 v1, v44
	v_dual_mov_b32 v2, v45 :: v_dual_mov_b32 v3, v46
	s_getpc_b64 s[0:1]
	s_add_u32 s0, s0, _ZN12_GLOBAL__N_112calc_igammacIdEET_S1_S1_@rel32@lo+4
	s_addc_u32 s1, s1, _ZN12_GLOBAL__N_112calc_igammacIdEET_S1_S1_@rel32@hi+12
	s_delay_alu instid0(SALU_CYCLE_1)
	s_swappc_b64 s[30:31], s[0:1]
.LBB12_1483:
	v_and_b32_e64 v6, 0xff, s70
	v_add_co_u32 v4, s2, s44, v56
	s_delay_alu instid0(VALU_DEP_1) | instskip(NEXT) | instid1(VALU_DEP_3)
	v_add_co_ci_u32_e64 v5, null, s45, 0, s2
	v_cmp_gt_i16_e32 vcc_lo, 11, v6
	s_mov_b64 s[0:1], s[46:47]
	s_mov_b32 s5, 0
	s_mov_b32 s3, -1
	s_mov_b32 s2, s78
	s_cbranch_vccnz .LBB12_1558
; %bb.1484:
	v_cmp_lt_i16_e32 vcc_lo, 25, v6
	s_mov_b32 s2, s78
	s_cbranch_vccz .LBB12_1517
; %bb.1485:
	v_cmp_lt_i16_e32 vcc_lo, 28, v6
	s_mov_b32 s2, s78
	s_cbranch_vccz .LBB12_1501
	;; [unrolled: 4-line block ×4, first 2 shown]
; %bb.1488:
	v_cmp_eq_u16_e32 vcc_lo, 46, v6
	s_mov_b32 s2, -1
	s_cbranch_vccz .LBB12_1490
; %bb.1489:
	v_cvt_f32_f64_e32 v2, v[0:1]
	s_mov_b32 s2, 0
	s_delay_alu instid0(VALU_DEP_1) | instskip(SKIP_1) | instid1(VALU_DEP_2)
	v_bfe_u32 v3, v2, 16, 1
	v_cmp_o_f32_e32 vcc_lo, v2, v2
	v_add3_u32 v3, v2, v3, 0x7fff
	s_delay_alu instid0(VALU_DEP_1) | instskip(NEXT) | instid1(VALU_DEP_1)
	v_lshrrev_b32_e32 v3, 16, v3
	v_cndmask_b32_e32 v2, 0x7fc0, v3, vcc_lo
	global_store_b32 v[4:5], v2, off
.LBB12_1490:
	s_mov_b32 s3, 0
.LBB12_1491:
	s_delay_alu instid0(SALU_CYCLE_1)
	s_and_b32 vcc_lo, exec_lo, s3
	s_cbranch_vccz .LBB12_1496
; %bb.1492:
	v_cmp_eq_u16_e32 vcc_lo, 44, v6
	s_mov_b32 s2, -1
	s_cbranch_vccz .LBB12_1496
; %bb.1493:
	v_cvt_f32_f64_e32 v2, v[0:1]
	v_mov_b32_e32 v3, 0xff
	s_mov_b32 s3, exec_lo
	s_delay_alu instid0(VALU_DEP_2) | instskip(NEXT) | instid1(VALU_DEP_1)
	v_bfe_u32 v7, v2, 23, 8
	v_cmpx_ne_u32_e32 0xff, v7
; %bb.1494:
	v_and_b32_e32 v3, 0x400000, v2
	v_and_or_b32 v7, 0x3fffff, v2, v7
	v_lshrrev_b32_e32 v2, 23, v2
	s_delay_alu instid0(VALU_DEP_3) | instskip(NEXT) | instid1(VALU_DEP_3)
	v_cmp_ne_u32_e32 vcc_lo, 0, v3
	v_cmp_ne_u32_e64 s2, 0, v7
	s_delay_alu instid0(VALU_DEP_1) | instskip(NEXT) | instid1(SALU_CYCLE_1)
	s_and_b32 s2, vcc_lo, s2
	v_cndmask_b32_e64 v3, 0, 1, s2
	s_delay_alu instid0(VALU_DEP_1)
	v_add_nc_u32_e32 v3, v2, v3
; %bb.1495:
	s_or_b32 exec_lo, exec_lo, s3
	s_mov_b32 s2, 0
	global_store_b8 v[4:5], v3, off
.LBB12_1496:
	s_mov_b32 s3, 0
.LBB12_1497:
	s_delay_alu instid0(SALU_CYCLE_1)
	s_and_b32 vcc_lo, exec_lo, s3
	s_cbranch_vccz .LBB12_1500
; %bb.1498:
	v_cmp_eq_u16_e32 vcc_lo, 29, v6
	s_mov_b32 s2, -1
	s_cbranch_vccz .LBB12_1500
; %bb.1499:
	v_trunc_f64_e32 v[2:3], v[0:1]
	s_mov_b32 s2, 0
	s_delay_alu instid0(VALU_DEP_1) | instskip(NEXT) | instid1(VALU_DEP_1)
	v_ldexp_f64 v[7:8], v[2:3], 0xffffffe0
	v_floor_f64_e32 v[7:8], v[7:8]
	s_delay_alu instid0(VALU_DEP_1) | instskip(SKIP_1) | instid1(VALU_DEP_2)
	v_fma_f64 v[2:3], 0xc1f00000, v[7:8], v[2:3]
	v_cvt_u32_f64_e32 v8, v[7:8]
	v_cvt_u32_f64_e32 v7, v[2:3]
	global_store_b64 v[4:5], v[7:8], off
.LBB12_1500:
	s_mov_b32 s3, 0
.LBB12_1501:
	s_delay_alu instid0(SALU_CYCLE_1)
	s_and_b32 vcc_lo, exec_lo, s3
	s_cbranch_vccz .LBB12_1516
; %bb.1502:
	v_cmp_gt_i16_e32 vcc_lo, 27, v6
	s_mov_b32 s3, -1
	s_cbranch_vccnz .LBB12_1508
; %bb.1503:
	v_cvt_u32_f64_e32 v2, v[0:1]
	v_cmp_lt_i16_e32 vcc_lo, 27, v6
	s_cbranch_vccz .LBB12_1505
; %bb.1504:
	s_mov_b32 s3, 0
	global_store_b32 v[4:5], v2, off
.LBB12_1505:
	s_and_not1_b32 vcc_lo, exec_lo, s3
	s_cbranch_vccnz .LBB12_1507
; %bb.1506:
	global_store_b16 v[4:5], v2, off
.LBB12_1507:
	s_mov_b32 s3, 0
.LBB12_1508:
	s_delay_alu instid0(SALU_CYCLE_1)
	s_and_not1_b32 vcc_lo, exec_lo, s3
	s_cbranch_vccnz .LBB12_1516
; %bb.1509:
	v_cvt_f32_f64_e32 v2, v[0:1]
	v_mov_b32_e32 v7, 0x80
	s_mov_b32 s3, exec_lo
	s_delay_alu instid0(VALU_DEP_2) | instskip(NEXT) | instid1(VALU_DEP_1)
	v_and_b32_e32 v3, 0x7fffffff, v2
	v_cmpx_gt_u32_e32 0x43800000, v3
	s_cbranch_execz .LBB12_1515
; %bb.1510:
	v_cmp_lt_u32_e32 vcc_lo, 0x3bffffff, v3
	s_mov_b32 s4, 0
                                        ; implicit-def: $vgpr3
	s_and_saveexec_b32 s5, vcc_lo
	s_delay_alu instid0(SALU_CYCLE_1)
	s_xor_b32 s5, exec_lo, s5
	s_cbranch_execz .LBB12_1793
; %bb.1511:
	v_bfe_u32 v3, v2, 20, 1
	s_mov_b32 s4, exec_lo
	s_delay_alu instid0(VALU_DEP_1) | instskip(NEXT) | instid1(VALU_DEP_1)
	v_add3_u32 v3, v2, v3, 0x487ffff
	v_lshrrev_b32_e32 v3, 20, v3
	s_or_saveexec_b32 s5, s5
                                        ; implicit-def: $sgpr6
	s_delay_alu instid0(SALU_CYCLE_1)
	s_xor_b32 exec_lo, exec_lo, s5
	s_cbranch_execnz .LBB12_1794
.LBB12_1512:
	s_or_b32 exec_lo, exec_lo, s5
	v_mov_b32_e32 v7, s6
	s_and_saveexec_b32 s5, s4
.LBB12_1513:
	v_lshrrev_b32_e32 v2, 24, v2
	s_delay_alu instid0(VALU_DEP_1)
	v_and_or_b32 v7, 0x80, v2, v3
.LBB12_1514:
	s_or_b32 exec_lo, exec_lo, s5
.LBB12_1515:
	s_delay_alu instid0(SALU_CYCLE_1)
	s_or_b32 exec_lo, exec_lo, s3
	global_store_b8 v[4:5], v7, off
.LBB12_1516:
	s_mov_b32 s3, 0
.LBB12_1517:
	s_delay_alu instid0(SALU_CYCLE_1)
	s_and_b32 vcc_lo, exec_lo, s3
	s_mov_b32 s3, 0
	s_cbranch_vccz .LBB12_1557
; %bb.1518:
	v_cmp_lt_i16_e32 vcc_lo, 22, v6
	s_mov_b32 s4, -1
	s_cbranch_vccz .LBB12_1550
; %bb.1519:
	v_cmp_gt_i16_e32 vcc_lo, 24, v6
	s_cbranch_vccnz .LBB12_1539
; %bb.1520:
	v_cmp_lt_i16_e32 vcc_lo, 24, v6
	s_cbranch_vccz .LBB12_1528
; %bb.1521:
	v_cvt_f32_f64_e32 v2, v[0:1]
	v_mov_b32_e32 v7, 0x80
	s_mov_b32 s4, exec_lo
	s_delay_alu instid0(VALU_DEP_2) | instskip(NEXT) | instid1(VALU_DEP_1)
	v_and_b32_e32 v3, 0x7fffffff, v2
	v_cmpx_gt_u32_e32 0x47800000, v3
	s_cbranch_execz .LBB12_1527
; %bb.1522:
	v_cmp_lt_u32_e32 vcc_lo, 0x37ffffff, v3
	s_mov_b32 s5, 0
                                        ; implicit-def: $vgpr3
	s_and_saveexec_b32 s6, vcc_lo
	s_delay_alu instid0(SALU_CYCLE_1)
	s_xor_b32 s6, exec_lo, s6
	s_cbranch_execz .LBB12_1929
; %bb.1523:
	v_bfe_u32 v3, v2, 21, 1
	s_mov_b32 s5, exec_lo
	s_delay_alu instid0(VALU_DEP_1) | instskip(NEXT) | instid1(VALU_DEP_1)
	v_add3_u32 v3, v2, v3, 0x88fffff
	v_lshrrev_b32_e32 v3, 21, v3
	s_or_saveexec_b32 s6, s6
                                        ; implicit-def: $sgpr7
	s_delay_alu instid0(SALU_CYCLE_1)
	s_xor_b32 exec_lo, exec_lo, s6
	s_cbranch_execnz .LBB12_1930
.LBB12_1524:
	s_or_b32 exec_lo, exec_lo, s6
	v_mov_b32_e32 v7, s7
	s_and_saveexec_b32 s6, s5
.LBB12_1525:
	v_lshrrev_b32_e32 v2, 24, v2
	s_delay_alu instid0(VALU_DEP_1)
	v_and_or_b32 v7, 0x80, v2, v3
.LBB12_1526:
	s_or_b32 exec_lo, exec_lo, s6
.LBB12_1527:
	s_delay_alu instid0(SALU_CYCLE_1)
	s_or_b32 exec_lo, exec_lo, s4
	s_mov_b32 s4, 0
	global_store_b8 v[4:5], v7, off
.LBB12_1528:
	s_and_b32 vcc_lo, exec_lo, s4
	s_cbranch_vccz .LBB12_1538
; %bb.1529:
	v_cvt_f32_f64_e32 v2, v[0:1]
	s_mov_b32 s4, exec_lo
                                        ; implicit-def: $vgpr3
	s_delay_alu instid0(VALU_DEP_1) | instskip(NEXT) | instid1(VALU_DEP_1)
	v_and_b32_e32 v7, 0x7fffffff, v2
	v_cmpx_gt_u32_e32 0x43f00000, v7
	s_xor_b32 s4, exec_lo, s4
	s_cbranch_execz .LBB12_1535
; %bb.1530:
	s_mov_b32 s5, exec_lo
                                        ; implicit-def: $vgpr3
	v_cmpx_lt_u32_e32 0x3c7fffff, v7
	s_xor_b32 s5, exec_lo, s5
; %bb.1531:
	v_bfe_u32 v3, v2, 20, 1
	s_delay_alu instid0(VALU_DEP_1) | instskip(NEXT) | instid1(VALU_DEP_1)
	v_add3_u32 v3, v2, v3, 0x407ffff
	v_and_b32_e32 v7, 0xff00000, v3
	v_lshrrev_b32_e32 v3, 20, v3
	s_delay_alu instid0(VALU_DEP_2) | instskip(NEXT) | instid1(VALU_DEP_2)
	v_cmp_ne_u32_e32 vcc_lo, 0x7f00000, v7
	v_cndmask_b32_e32 v3, 0x7e, v3, vcc_lo
; %bb.1532:
	s_and_not1_saveexec_b32 s5, s5
; %bb.1533:
	v_add_f32_e64 v3, 0x46800000, |v2|
; %bb.1534:
	s_or_b32 exec_lo, exec_lo, s5
                                        ; implicit-def: $vgpr7
.LBB12_1535:
	s_and_not1_saveexec_b32 s4, s4
; %bb.1536:
	v_mov_b32_e32 v3, 0x7f
	v_cmp_lt_u32_e32 vcc_lo, 0x7f800000, v7
	s_delay_alu instid0(VALU_DEP_2)
	v_cndmask_b32_e32 v3, 0x7e, v3, vcc_lo
; %bb.1537:
	s_or_b32 exec_lo, exec_lo, s4
	v_lshrrev_b32_e32 v2, 24, v2
	s_delay_alu instid0(VALU_DEP_1)
	v_and_or_b32 v2, 0x80, v2, v3
	global_store_b8 v[4:5], v2, off
.LBB12_1538:
	s_mov_b32 s4, 0
.LBB12_1539:
	s_delay_alu instid0(SALU_CYCLE_1)
	s_and_not1_b32 vcc_lo, exec_lo, s4
	s_cbranch_vccnz .LBB12_1549
; %bb.1540:
	v_cvt_f32_f64_e32 v2, v[0:1]
	s_mov_b32 s4, exec_lo
                                        ; implicit-def: $vgpr3
	s_delay_alu instid0(VALU_DEP_1) | instskip(NEXT) | instid1(VALU_DEP_1)
	v_and_b32_e32 v7, 0x7fffffff, v2
	v_cmpx_gt_u32_e32 0x47800000, v7
	s_xor_b32 s4, exec_lo, s4
	s_cbranch_execz .LBB12_1546
; %bb.1541:
	s_mov_b32 s5, exec_lo
                                        ; implicit-def: $vgpr3
	v_cmpx_lt_u32_e32 0x387fffff, v7
	s_xor_b32 s5, exec_lo, s5
; %bb.1542:
	v_bfe_u32 v3, v2, 21, 1
	s_delay_alu instid0(VALU_DEP_1) | instskip(NEXT) | instid1(VALU_DEP_1)
	v_add3_u32 v3, v2, v3, 0x80fffff
	v_lshrrev_b32_e32 v3, 21, v3
; %bb.1543:
	s_and_not1_saveexec_b32 s5, s5
; %bb.1544:
	v_add_f32_e64 v3, 0x43000000, |v2|
; %bb.1545:
	s_or_b32 exec_lo, exec_lo, s5
                                        ; implicit-def: $vgpr7
.LBB12_1546:
	s_and_not1_saveexec_b32 s4, s4
; %bb.1547:
	v_mov_b32_e32 v3, 0x7f
	v_cmp_lt_u32_e32 vcc_lo, 0x7f800000, v7
	s_delay_alu instid0(VALU_DEP_2)
	v_cndmask_b32_e32 v3, 0x7c, v3, vcc_lo
; %bb.1548:
	s_or_b32 exec_lo, exec_lo, s4
	v_lshrrev_b32_e32 v2, 24, v2
	s_delay_alu instid0(VALU_DEP_1)
	v_and_or_b32 v2, 0x80, v2, v3
	global_store_b8 v[4:5], v2, off
.LBB12_1549:
	s_mov_b32 s4, 0
.LBB12_1550:
	s_delay_alu instid0(SALU_CYCLE_1)
	s_and_not1_b32 vcc_lo, exec_lo, s4
	s_mov_b32 s5, 0
	s_cbranch_vccnz .LBB12_1558
; %bb.1551:
	v_cmp_lt_i16_e32 vcc_lo, 14, v6
	s_mov_b32 s4, -1
	s_cbranch_vccz .LBB12_1555
; %bb.1552:
	v_cmp_eq_u16_e32 vcc_lo, 15, v6
	s_mov_b32 s2, -1
	s_cbranch_vccz .LBB12_1554
; %bb.1553:
	v_cvt_f32_f64_e32 v2, v[0:1]
	s_mov_b32 s2, 0
	s_delay_alu instid0(VALU_DEP_1) | instskip(SKIP_1) | instid1(VALU_DEP_2)
	v_bfe_u32 v3, v2, 16, 1
	v_cmp_o_f32_e32 vcc_lo, v2, v2
	v_add3_u32 v3, v2, v3, 0x7fff
	s_delay_alu instid0(VALU_DEP_1) | instskip(NEXT) | instid1(VALU_DEP_1)
	v_lshrrev_b32_e32 v3, 16, v3
	v_cndmask_b32_e32 v2, 0x7fc0, v3, vcc_lo
	global_store_b16 v[4:5], v2, off
.LBB12_1554:
	s_mov_b32 s4, 0
.LBB12_1555:
	s_delay_alu instid0(SALU_CYCLE_1)
	s_and_b32 vcc_lo, exec_lo, s4
	s_cbranch_vccz .LBB12_1558
; %bb.1556:
	v_cmp_ne_u16_e32 vcc_lo, 11, v6
	s_and_not1_b32 s2, s2, exec_lo
	s_mov_b32 s5, -1
	s_and_b32 s4, vcc_lo, exec_lo
	s_delay_alu instid0(SALU_CYCLE_1)
	s_or_b32 s2, s2, s4
	s_branch .LBB12_1558
.LBB12_1557:
	s_mov_b32 s5, 0
.LBB12_1558:
	s_and_b32 s4, s3, exec_lo
	s_and_not1_b32 s3, s78, exec_lo
	s_and_b32 s6, s2, exec_lo
	s_and_b32 s2, s5, exec_lo
	s_or_b32 s78, s3, s6
.LBB12_1559:
	s_or_b32 exec_lo, exec_lo, s49
	s_and_saveexec_b32 s3, s78
	s_cbranch_execnz .LBB12_1661
; %bb.1560:
	s_or_b32 exec_lo, exec_lo, s3
	s_and_saveexec_b32 s3, s2
	s_delay_alu instid0(SALU_CYCLE_1)
	s_xor_b32 s2, exec_lo, s3
	s_cbranch_execz .LBB12_1562
.LBB12_1561:
	v_cmp_neq_f64_e32 vcc_lo, 0, v[0:1]
	v_cndmask_b32_e64 v2, 0, 1, vcc_lo
	global_store_b8 v[4:5], v2, off
.LBB12_1562:
	s_or_b32 exec_lo, exec_lo, s2
	s_and_saveexec_b32 s2, s4
	s_delay_alu instid0(SALU_CYCLE_1)
	s_xor_b32 s2, exec_lo, s2
	s_cbranch_execz .LBB12_1600
; %bb.1563:
	v_cmp_gt_i16_e32 vcc_lo, 5, v6
	s_mov_b32 s3, -1
	s_cbranch_vccnz .LBB12_1584
; %bb.1564:
	v_cmp_gt_i16_e32 vcc_lo, 8, v6
	s_cbranch_vccnz .LBB12_1574
; %bb.1565:
	v_cmp_gt_i16_e32 vcc_lo, 9, v6
	s_cbranch_vccnz .LBB12_1571
; %bb.1566:
	v_cmp_lt_i16_e32 vcc_lo, 9, v6
	s_cbranch_vccz .LBB12_1568
; %bb.1567:
	v_mov_b32_e32 v2, 0
	s_mov_b32 s3, 0
	s_delay_alu instid0(VALU_DEP_1)
	v_mov_b32_e32 v3, v2
	global_store_b128 v[4:5], v[0:3], off
.LBB12_1568:
	s_and_not1_b32 vcc_lo, exec_lo, s3
	s_cbranch_vccnz .LBB12_1570
; %bb.1569:
	v_cvt_f32_f64_e32 v2, v[0:1]
	v_mov_b32_e32 v3, 0
	global_store_b64 v[4:5], v[2:3], off
.LBB12_1570:
	s_mov_b32 s3, 0
.LBB12_1571:
	s_delay_alu instid0(SALU_CYCLE_1)
	s_and_not1_b32 vcc_lo, exec_lo, s3
	s_cbranch_vccnz .LBB12_1573
; %bb.1572:
	v_cvt_f32_f64_e32 v2, v[0:1]
	s_delay_alu instid0(VALU_DEP_1) | instskip(NEXT) | instid1(VALU_DEP_1)
	v_cvt_f16_f32_e32 v2, v2
	v_and_b32_e32 v2, 0xffff, v2
	global_store_b32 v[4:5], v2, off
.LBB12_1573:
	s_mov_b32 s3, 0
.LBB12_1574:
	s_delay_alu instid0(SALU_CYCLE_1)
	s_and_not1_b32 vcc_lo, exec_lo, s3
	s_cbranch_vccnz .LBB12_1583
; %bb.1575:
	v_cmp_gt_i16_e32 vcc_lo, 6, v6
	s_mov_b32 s3, -1
	s_cbranch_vccnz .LBB12_1581
; %bb.1576:
	v_cmp_lt_i16_e32 vcc_lo, 6, v6
	s_cbranch_vccz .LBB12_1578
; %bb.1577:
	s_mov_b32 s3, 0
	global_store_b64 v[4:5], v[0:1], off
.LBB12_1578:
	s_and_not1_b32 vcc_lo, exec_lo, s3
	s_cbranch_vccnz .LBB12_1580
; %bb.1579:
	v_cvt_f32_f64_e32 v2, v[0:1]
	global_store_b32 v[4:5], v2, off
.LBB12_1580:
	s_mov_b32 s3, 0
.LBB12_1581:
	s_delay_alu instid0(SALU_CYCLE_1)
	s_and_not1_b32 vcc_lo, exec_lo, s3
	s_cbranch_vccnz .LBB12_1583
; %bb.1582:
	v_cvt_f32_f64_e32 v2, v[0:1]
	s_delay_alu instid0(VALU_DEP_1)
	v_cvt_f16_f32_e32 v2, v2
	global_store_b16 v[4:5], v2, off
.LBB12_1583:
	s_mov_b32 s3, 0
.LBB12_1584:
	s_delay_alu instid0(SALU_CYCLE_1)
	s_and_not1_b32 vcc_lo, exec_lo, s3
	s_cbranch_vccnz .LBB12_1600
; %bb.1585:
	v_cmp_gt_i16_e32 vcc_lo, 2, v6
	s_mov_b32 s3, -1
	s_cbranch_vccnz .LBB12_1595
; %bb.1586:
	v_cmp_gt_i16_e32 vcc_lo, 3, v6
	s_cbranch_vccnz .LBB12_1592
; %bb.1587:
	v_cmp_lt_i16_e32 vcc_lo, 3, v6
	s_cbranch_vccz .LBB12_1589
; %bb.1588:
	v_trunc_f64_e32 v[2:3], v[0:1]
	s_mov_b32 s3, 0
	s_delay_alu instid0(VALU_DEP_1) | instskip(NEXT) | instid1(VALU_DEP_1)
	v_ldexp_f64 v[7:8], v[2:3], 0xffffffe0
	v_floor_f64_e32 v[7:8], v[7:8]
	s_delay_alu instid0(VALU_DEP_1) | instskip(SKIP_1) | instid1(VALU_DEP_2)
	v_fma_f64 v[2:3], 0xc1f00000, v[7:8], v[2:3]
	v_cvt_i32_f64_e32 v8, v[7:8]
	v_cvt_u32_f64_e32 v7, v[2:3]
	global_store_b64 v[4:5], v[7:8], off
.LBB12_1589:
	s_and_not1_b32 vcc_lo, exec_lo, s3
	s_cbranch_vccnz .LBB12_1591
; %bb.1590:
	v_cvt_i32_f64_e32 v2, v[0:1]
	global_store_b32 v[4:5], v2, off
.LBB12_1591:
	s_mov_b32 s3, 0
.LBB12_1592:
	s_delay_alu instid0(SALU_CYCLE_1)
	s_and_not1_b32 vcc_lo, exec_lo, s3
	s_cbranch_vccnz .LBB12_1594
; %bb.1593:
	v_cvt_i32_f64_e32 v2, v[0:1]
	global_store_b16 v[4:5], v2, off
.LBB12_1594:
	s_mov_b32 s3, 0
.LBB12_1595:
	s_delay_alu instid0(SALU_CYCLE_1)
	s_and_not1_b32 vcc_lo, exec_lo, s3
	s_cbranch_vccnz .LBB12_1600
; %bb.1596:
	v_cmp_lt_i16_e32 vcc_lo, 0, v6
	s_mov_b32 s3, -1
	s_cbranch_vccz .LBB12_1598
; %bb.1597:
	v_cvt_i32_f64_e32 v2, v[0:1]
	s_mov_b32 s3, 0
	global_store_b8 v[4:5], v2, off
.LBB12_1598:
	s_and_not1_b32 vcc_lo, exec_lo, s3
	s_cbranch_vccnz .LBB12_1600
; %bb.1599:
	v_trunc_f64_e32 v[0:1], v[0:1]
	s_delay_alu instid0(VALU_DEP_1) | instskip(NEXT) | instid1(VALU_DEP_1)
	v_ldexp_f64 v[2:3], v[0:1], 0xffffffe0
	v_floor_f64_e32 v[2:3], v[2:3]
	s_delay_alu instid0(VALU_DEP_1) | instskip(NEXT) | instid1(VALU_DEP_1)
	v_fma_f64 v[0:1], 0xc1f00000, v[2:3], v[0:1]
	v_cvt_u32_f64_e32 v0, v[0:1]
	global_store_b8 v[4:5], v0, off
.LBB12_1600:
	s_or_b32 exec_lo, exec_lo, s2
	s_delay_alu instid0(SALU_CYCLE_1)
	s_and_b32 s50, s48, exec_lo
                                        ; implicit-def: $vgpr2
                                        ; implicit-def: $vgpr47
.LBB12_1601:
	s_or_saveexec_b32 s51, s69
	s_mov_b32 s2, 0
                                        ; implicit-def: $vgpr4_vgpr5
                                        ; implicit-def: $vgpr6
                                        ; implicit-def: $vgpr0_vgpr1
	s_xor_b32 exec_lo, exec_lo, s51
	s_cbranch_execz .LBB12_2729
; %bb.1602:
	v_cndmask_b32_e64 v3, 0, 1, s68
	s_and_not1_b32 vcc_lo, exec_lo, s68
	s_cbranch_vccnz .LBB12_1608
; %bb.1603:
	v_dual_mov_b32 v74, 0 :: v_dual_mov_b32 v1, 0
	v_mov_b32_e32 v0, 0
	s_cmp_lg_u32 s43, 0
	s_mov_b32 s4, 0
	s_cbranch_scc0 .LBB12_1609
; %bb.1604:
	s_min_u32 s5, s66, 15
	v_dual_mov_b32 v0, 0 :: v_dual_mov_b32 v1, 0
	s_add_i32 s2, s5, 1
	v_mov_b32_e32 v74, 0
	v_mov_b32_e32 v4, v47
	s_and_b32 s6, s2, 30
	s_add_u32 s2, s56, 0xffffffec
	s_addc_u32 s3, s57, -1
	s_set_inst_prefetch_distance 0x1
	.p2align	6
.LBB12_1605:                            ; =>This Inner Loop Header: Depth=1
	s_clause 0x2
	s_load_b128 s[8:11], s[2:3], 0x18
	s_load_b64 s[16:17], s[2:3], 0x28
	s_load_b128 s[12:15], s[2:3], 0xd8
	s_waitcnt lgkmcnt(0)
	v_mul_hi_u32 v5, s9, v4
	s_delay_alu instid0(VALU_DEP_1) | instskip(NEXT) | instid1(VALU_DEP_1)
	v_add_nc_u32_e32 v5, v4, v5
	v_lshrrev_b32_e32 v5, s10, v5
	s_delay_alu instid0(VALU_DEP_1)
	v_mul_hi_u32 v6, s16, v5
	v_mul_lo_u32 v7, v5, s8
	s_load_b64 s[8:9], s[2:3], 0xe8
	s_add_u32 s2, s2, 24
	s_addc_u32 s3, s3, 0
	s_add_i32 s6, s6, -2
	s_delay_alu instid0(SALU_CYCLE_1) | instskip(NEXT) | instid1(VALU_DEP_2)
	s_cmp_lg_u32 s6, 0
	v_add_nc_u32_e32 v6, v5, v6
	s_delay_alu instid0(VALU_DEP_2) | instskip(NEXT) | instid1(VALU_DEP_2)
	v_sub_nc_u32_e32 v7, v4, v7
	v_lshrrev_b32_e32 v4, s17, v6
	s_delay_alu instid0(VALU_DEP_2) | instskip(NEXT) | instid1(VALU_DEP_2)
	v_mul_lo_u32 v8, v7, s12
	v_mul_lo_u32 v6, v4, s11
	s_delay_alu instid0(VALU_DEP_1) | instskip(SKIP_2) | instid1(VALU_DEP_3)
	v_sub_nc_u32_e32 v5, v5, v6
	v_mul_lo_u32 v6, v7, s13
	v_mul_lo_u32 v7, v7, s14
	;; [unrolled: 1-line block ×3, first 2 shown]
	s_waitcnt lgkmcnt(0)
	v_mul_lo_u32 v10, v5, s8
	v_mul_lo_u32 v5, v5, s9
	s_delay_alu instid0(VALU_DEP_3) | instskip(NEXT) | instid1(VALU_DEP_3)
	v_add3_u32 v74, v8, v74, v9
	v_add3_u32 v1, v6, v1, v10
	s_delay_alu instid0(VALU_DEP_3)
	v_add3_u32 v0, v7, v0, v5
	s_cbranch_scc1 .LBB12_1605
; %bb.1606:
	s_set_inst_prefetch_distance 0x2
	s_bitcmp1_b32 s5, 0
	s_cselect_b32 s5, -1, 0
	s_delay_alu instid0(SALU_CYCLE_1)
	s_and_b32 vcc_lo, exec_lo, s5
	s_cbranch_vccnz .LBB12_1609
; %bb.1607:
	s_clause 0x3
	s_load_b64 s[6:7], s[2:3], 0x18
	s_load_b32 s5, s[2:3], 0x20
	s_load_b64 s[8:9], s[2:3], 0xd8
	s_load_b32 s2, s[2:3], 0xe0
	s_waitcnt lgkmcnt(0)
	v_mul_hi_u32 v5, s7, v4
	s_delay_alu instid0(VALU_DEP_1) | instskip(NEXT) | instid1(VALU_DEP_1)
	v_add_nc_u32_e32 v5, v4, v5
	v_lshrrev_b32_e32 v5, s5, v5
	s_delay_alu instid0(VALU_DEP_1) | instskip(NEXT) | instid1(VALU_DEP_1)
	v_mul_lo_u32 v5, v5, s6
	v_sub_nc_u32_e32 v8, v4, v5
	s_delay_alu instid0(VALU_DEP_1) | instskip(SKIP_2) | instid1(VALU_DEP_2)
	v_mad_u64_u32 v[4:5], null, v8, s8, v[74:75]
	v_mad_u64_u32 v[5:6], null, v8, s9, v[1:2]
	;; [unrolled: 1-line block ×3, first 2 shown]
	v_dual_mov_b32 v74, v4 :: v_dual_mov_b32 v1, v5
	s_delay_alu instid0(VALU_DEP_2)
	v_mov_b32_e32 v0, v6
	s_branch .LBB12_1609
.LBB12_1608:
	s_mov_b32 s4, -1
                                        ; implicit-def: $vgpr74
                                        ; implicit-def: $vgpr1
                                        ; implicit-def: $vgpr0
.LBB12_1609:
	s_delay_alu instid0(SALU_CYCLE_1)
	s_and_not1_b32 vcc_lo, exec_lo, s4
	s_cbranch_vccnz .LBB12_1612
; %bb.1610:
	s_clause 0x1
	s_load_b128 s[4:7], s[56:57], 0x4
	s_load_b128 s[8:11], s[56:57], 0xc4
	s_cmp_lt_u32 s43, 2
	s_waitcnt lgkmcnt(0)
	v_mul_hi_u32 v0, s5, v47
	s_delay_alu instid0(VALU_DEP_1) | instskip(NEXT) | instid1(VALU_DEP_1)
	v_add_nc_u32_e32 v0, v47, v0
	v_lshrrev_b32_e32 v4, s6, v0
	s_delay_alu instid0(VALU_DEP_1) | instskip(NEXT) | instid1(VALU_DEP_1)
	v_mul_lo_u32 v0, v4, s4
	v_sub_nc_u32_e32 v0, v47, v0
	s_delay_alu instid0(VALU_DEP_1)
	v_mul_lo_u32 v74, v0, s8
	v_mul_lo_u32 v1, v0, s9
	;; [unrolled: 1-line block ×3, first 2 shown]
	s_cbranch_scc1 .LBB12_1612
; %bb.1611:
	s_clause 0x1
	s_load_b128 s[4:7], s[56:57], 0x10
	s_load_b128 s[8:11], s[56:57], 0xd0
	s_waitcnt lgkmcnt(0)
	v_mul_hi_u32 v5, s5, v4
	s_delay_alu instid0(VALU_DEP_1) | instskip(NEXT) | instid1(VALU_DEP_1)
	v_add_nc_u32_e32 v5, v4, v5
	v_lshrrev_b32_e32 v5, s6, v5
	s_delay_alu instid0(VALU_DEP_1) | instskip(NEXT) | instid1(VALU_DEP_1)
	v_mul_lo_u32 v5, v5, s4
	v_sub_nc_u32_e32 v8, v4, v5
	s_delay_alu instid0(VALU_DEP_1) | instskip(SKIP_2) | instid1(VALU_DEP_2)
	v_mad_u64_u32 v[4:5], null, v8, s8, v[74:75]
	v_mad_u64_u32 v[5:6], null, v8, s9, v[1:2]
	;; [unrolled: 1-line block ×3, first 2 shown]
	v_dual_mov_b32 v74, v4 :: v_dual_mov_b32 v1, v5
	s_delay_alu instid0(VALU_DEP_2)
	v_mov_b32_e32 v0, v6
.LBB12_1612:
	v_cmp_ne_u32_e32 vcc_lo, 1, v3
	v_add_nc_u32_e32 v4, 0x80, v47
	s_cbranch_vccnz .LBB12_1618
; %bb.1613:
	v_dual_mov_b32 v73, 0 :: v_dual_mov_b32 v58, 0
	v_mov_b32_e32 v59, 0
	s_cmp_lg_u32 s43, 0
	s_mov_b32 s4, 0
	s_cbranch_scc0 .LBB12_1619
; %bb.1614:
	s_min_u32 s5, s66, 15
	v_dual_mov_b32 v58, 0 :: v_dual_mov_b32 v59, 0
	s_add_i32 s2, s5, 1
	v_mov_b32_e32 v73, 0
	v_mov_b32_e32 v5, v4
	s_and_b32 s6, s2, 30
	s_add_u32 s2, s56, 0xffffffec
	s_addc_u32 s3, s57, -1
	s_set_inst_prefetch_distance 0x1
	.p2align	6
.LBB12_1615:                            ; =>This Inner Loop Header: Depth=1
	s_clause 0x2
	s_load_b128 s[8:11], s[2:3], 0x18
	s_load_b64 s[16:17], s[2:3], 0x28
	s_load_b128 s[12:15], s[2:3], 0xd8
	s_waitcnt lgkmcnt(0)
	v_mul_hi_u32 v6, s9, v5
	s_delay_alu instid0(VALU_DEP_1) | instskip(NEXT) | instid1(VALU_DEP_1)
	v_add_nc_u32_e32 v6, v5, v6
	v_lshrrev_b32_e32 v6, s10, v6
	s_delay_alu instid0(VALU_DEP_1)
	v_mul_hi_u32 v7, s16, v6
	v_mul_lo_u32 v8, v6, s8
	s_load_b64 s[8:9], s[2:3], 0xe8
	s_add_u32 s2, s2, 24
	s_addc_u32 s3, s3, 0
	s_add_i32 s6, s6, -2
	s_delay_alu instid0(SALU_CYCLE_1) | instskip(NEXT) | instid1(VALU_DEP_2)
	s_cmp_lg_u32 s6, 0
	v_add_nc_u32_e32 v7, v6, v7
	s_delay_alu instid0(VALU_DEP_2) | instskip(NEXT) | instid1(VALU_DEP_2)
	v_sub_nc_u32_e32 v8, v5, v8
	v_lshrrev_b32_e32 v5, s17, v7
	s_delay_alu instid0(VALU_DEP_2) | instskip(NEXT) | instid1(VALU_DEP_2)
	v_mul_lo_u32 v9, v8, s12
	v_mul_lo_u32 v7, v5, s11
	s_delay_alu instid0(VALU_DEP_1) | instskip(SKIP_2) | instid1(VALU_DEP_3)
	v_sub_nc_u32_e32 v6, v6, v7
	v_mul_lo_u32 v7, v8, s13
	v_mul_lo_u32 v8, v8, s14
	v_mul_lo_u32 v10, v6, s15
	s_waitcnt lgkmcnt(0)
	v_mul_lo_u32 v11, v6, s8
	v_mul_lo_u32 v6, v6, s9
	s_delay_alu instid0(VALU_DEP_3) | instskip(NEXT) | instid1(VALU_DEP_3)
	v_add3_u32 v73, v9, v73, v10
	v_add3_u32 v59, v7, v59, v11
	s_delay_alu instid0(VALU_DEP_3)
	v_add3_u32 v58, v8, v58, v6
	s_cbranch_scc1 .LBB12_1615
; %bb.1616:
	s_set_inst_prefetch_distance 0x2
	s_bitcmp1_b32 s5, 0
	s_cselect_b32 s5, -1, 0
	s_delay_alu instid0(SALU_CYCLE_1)
	s_and_b32 vcc_lo, exec_lo, s5
	s_cbranch_vccnz .LBB12_1619
; %bb.1617:
	s_clause 0x3
	s_load_b64 s[6:7], s[2:3], 0x18
	s_load_b32 s5, s[2:3], 0x20
	s_load_b64 s[8:9], s[2:3], 0xd8
	s_load_b32 s2, s[2:3], 0xe0
	s_waitcnt lgkmcnt(0)
	v_mul_hi_u32 v6, s7, v5
	s_delay_alu instid0(VALU_DEP_1) | instskip(NEXT) | instid1(VALU_DEP_1)
	v_add_nc_u32_e32 v6, v5, v6
	v_lshrrev_b32_e32 v6, s5, v6
	s_delay_alu instid0(VALU_DEP_1) | instskip(NEXT) | instid1(VALU_DEP_1)
	v_mul_lo_u32 v6, v6, s6
	v_sub_nc_u32_e32 v9, v5, v6
	s_delay_alu instid0(VALU_DEP_1) | instskip(SKIP_2) | instid1(VALU_DEP_3)
	v_mad_u64_u32 v[5:6], null, v9, s8, v[73:74]
	v_mad_u64_u32 v[6:7], null, v9, s9, v[59:60]
	;; [unrolled: 1-line block ×3, first 2 shown]
	v_mov_b32_e32 v73, v5
	s_delay_alu instid0(VALU_DEP_2)
	v_dual_mov_b32 v59, v6 :: v_dual_mov_b32 v58, v7
	s_branch .LBB12_1619
.LBB12_1618:
	s_mov_b32 s4, -1
                                        ; implicit-def: $vgpr73
                                        ; implicit-def: $vgpr59
                                        ; implicit-def: $vgpr58
.LBB12_1619:
	s_delay_alu instid0(SALU_CYCLE_1)
	s_and_not1_b32 vcc_lo, exec_lo, s4
	s_cbranch_vccnz .LBB12_1622
; %bb.1620:
	s_clause 0x1
	s_load_b128 s[4:7], s[56:57], 0x4
	s_load_b128 s[8:11], s[56:57], 0xc4
	s_cmp_lt_u32 s43, 2
	s_waitcnt lgkmcnt(0)
	v_mul_hi_u32 v5, s5, v4
	s_delay_alu instid0(VALU_DEP_1) | instskip(NEXT) | instid1(VALU_DEP_1)
	v_add_nc_u32_e32 v5, v4, v5
	v_lshrrev_b32_e32 v5, s6, v5
	s_delay_alu instid0(VALU_DEP_1) | instskip(NEXT) | instid1(VALU_DEP_1)
	v_mul_lo_u32 v6, v5, s4
	v_sub_nc_u32_e32 v4, v4, v6
	s_delay_alu instid0(VALU_DEP_1)
	v_mul_lo_u32 v73, v4, s8
	v_mul_lo_u32 v59, v4, s9
	;; [unrolled: 1-line block ×3, first 2 shown]
	s_cbranch_scc1 .LBB12_1622
; %bb.1621:
	s_clause 0x1
	s_load_b128 s[4:7], s[56:57], 0x10
	s_load_b128 s[8:11], s[56:57], 0xd0
	s_waitcnt lgkmcnt(0)
	v_mul_hi_u32 v4, s5, v5
	s_delay_alu instid0(VALU_DEP_1) | instskip(NEXT) | instid1(VALU_DEP_1)
	v_add_nc_u32_e32 v4, v5, v4
	v_lshrrev_b32_e32 v4, s6, v4
	s_delay_alu instid0(VALU_DEP_1) | instskip(NEXT) | instid1(VALU_DEP_1)
	v_mul_lo_u32 v4, v4, s4
	v_sub_nc_u32_e32 v8, v5, v4
	s_delay_alu instid0(VALU_DEP_1) | instskip(SKIP_2) | instid1(VALU_DEP_3)
	v_mad_u64_u32 v[4:5], null, v8, s8, v[73:74]
	v_mad_u64_u32 v[5:6], null, v8, s9, v[59:60]
	;; [unrolled: 1-line block ×3, first 2 shown]
	v_mov_b32_e32 v73, v4
	s_delay_alu instid0(VALU_DEP_2)
	v_dual_mov_b32 v59, v5 :: v_dual_mov_b32 v58, v6
.LBB12_1622:
	v_cmp_ne_u32_e32 vcc_lo, 1, v3
	v_add_nc_u32_e32 v4, 0x100, v47
	s_cbranch_vccnz .LBB12_1628
; %bb.1623:
	v_dual_mov_b32 v62, 0 :: v_dual_mov_b32 v61, 0
	v_mov_b32_e32 v60, 0
	s_cmp_lg_u32 s43, 0
	s_mov_b32 s4, 0
	s_cbranch_scc0 .LBB12_1629
; %bb.1624:
	s_min_u32 s5, s66, 15
	v_dual_mov_b32 v60, 0 :: v_dual_mov_b32 v61, 0
	s_add_i32 s2, s5, 1
	v_dual_mov_b32 v62, 0 :: v_dual_mov_b32 v5, v4
	s_and_b32 s6, s2, 30
	s_add_u32 s2, s56, 0xffffffec
	s_addc_u32 s3, s57, -1
	s_set_inst_prefetch_distance 0x1
	.p2align	6
.LBB12_1625:                            ; =>This Inner Loop Header: Depth=1
	s_clause 0x2
	s_load_b128 s[8:11], s[2:3], 0x18
	s_load_b64 s[16:17], s[2:3], 0x28
	s_load_b128 s[12:15], s[2:3], 0xd8
	s_waitcnt lgkmcnt(0)
	v_mul_hi_u32 v6, s9, v5
	s_delay_alu instid0(VALU_DEP_1) | instskip(NEXT) | instid1(VALU_DEP_1)
	v_add_nc_u32_e32 v6, v5, v6
	v_lshrrev_b32_e32 v6, s10, v6
	s_delay_alu instid0(VALU_DEP_1)
	v_mul_hi_u32 v7, s16, v6
	v_mul_lo_u32 v8, v6, s8
	s_load_b64 s[8:9], s[2:3], 0xe8
	s_add_u32 s2, s2, 24
	s_addc_u32 s3, s3, 0
	s_add_i32 s6, s6, -2
	s_delay_alu instid0(SALU_CYCLE_1) | instskip(NEXT) | instid1(VALU_DEP_2)
	s_cmp_lg_u32 s6, 0
	v_add_nc_u32_e32 v7, v6, v7
	s_delay_alu instid0(VALU_DEP_2) | instskip(NEXT) | instid1(VALU_DEP_2)
	v_sub_nc_u32_e32 v8, v5, v8
	v_lshrrev_b32_e32 v5, s17, v7
	s_delay_alu instid0(VALU_DEP_2) | instskip(NEXT) | instid1(VALU_DEP_2)
	v_mul_lo_u32 v9, v8, s12
	v_mul_lo_u32 v7, v5, s11
	s_delay_alu instid0(VALU_DEP_1) | instskip(SKIP_2) | instid1(VALU_DEP_3)
	v_sub_nc_u32_e32 v6, v6, v7
	v_mul_lo_u32 v7, v8, s13
	v_mul_lo_u32 v8, v8, s14
	v_mul_lo_u32 v10, v6, s15
	s_waitcnt lgkmcnt(0)
	v_mul_lo_u32 v11, v6, s8
	v_mul_lo_u32 v6, v6, s9
	s_delay_alu instid0(VALU_DEP_3) | instskip(NEXT) | instid1(VALU_DEP_3)
	v_add3_u32 v62, v9, v62, v10
	v_add3_u32 v61, v7, v61, v11
	s_delay_alu instid0(VALU_DEP_3)
	v_add3_u32 v60, v8, v60, v6
	s_cbranch_scc1 .LBB12_1625
; %bb.1626:
	s_set_inst_prefetch_distance 0x2
	s_bitcmp1_b32 s5, 0
	s_cselect_b32 s5, -1, 0
	s_delay_alu instid0(SALU_CYCLE_1)
	s_and_b32 vcc_lo, exec_lo, s5
	s_cbranch_vccnz .LBB12_1629
; %bb.1627:
	s_clause 0x3
	s_load_b64 s[6:7], s[2:3], 0x18
	s_load_b32 s5, s[2:3], 0x20
	s_load_b64 s[8:9], s[2:3], 0xd8
	s_load_b32 s2, s[2:3], 0xe0
	s_waitcnt lgkmcnt(0)
	v_mul_hi_u32 v6, s7, v5
	s_delay_alu instid0(VALU_DEP_1) | instskip(NEXT) | instid1(VALU_DEP_1)
	v_add_nc_u32_e32 v6, v5, v6
	v_lshrrev_b32_e32 v6, s5, v6
	s_delay_alu instid0(VALU_DEP_1) | instskip(NEXT) | instid1(VALU_DEP_1)
	v_mul_lo_u32 v6, v6, s6
	v_sub_nc_u32_e32 v9, v5, v6
	s_delay_alu instid0(VALU_DEP_1) | instskip(SKIP_2) | instid1(VALU_DEP_2)
	v_mad_u64_u32 v[5:6], null, v9, s8, v[62:63]
	v_mad_u64_u32 v[6:7], null, v9, s9, v[61:62]
	;; [unrolled: 1-line block ×3, first 2 shown]
	v_dual_mov_b32 v62, v5 :: v_dual_mov_b32 v61, v6
	s_delay_alu instid0(VALU_DEP_2)
	v_mov_b32_e32 v60, v7
	s_branch .LBB12_1629
.LBB12_1628:
	s_mov_b32 s4, -1
                                        ; implicit-def: $vgpr62
                                        ; implicit-def: $vgpr61
                                        ; implicit-def: $vgpr60
.LBB12_1629:
	s_delay_alu instid0(SALU_CYCLE_1)
	s_and_not1_b32 vcc_lo, exec_lo, s4
	s_cbranch_vccnz .LBB12_1632
; %bb.1630:
	s_clause 0x1
	s_load_b128 s[4:7], s[56:57], 0x4
	s_load_b128 s[8:11], s[56:57], 0xc4
	s_cmp_lt_u32 s43, 2
	s_waitcnt lgkmcnt(0)
	v_mul_hi_u32 v5, s5, v4
	s_delay_alu instid0(VALU_DEP_1) | instskip(NEXT) | instid1(VALU_DEP_1)
	v_add_nc_u32_e32 v5, v4, v5
	v_lshrrev_b32_e32 v5, s6, v5
	s_delay_alu instid0(VALU_DEP_1) | instskip(NEXT) | instid1(VALU_DEP_1)
	v_mul_lo_u32 v6, v5, s4
	v_sub_nc_u32_e32 v4, v4, v6
	s_delay_alu instid0(VALU_DEP_1)
	v_mul_lo_u32 v62, v4, s8
	v_mul_lo_u32 v61, v4, s9
	;; [unrolled: 1-line block ×3, first 2 shown]
	s_cbranch_scc1 .LBB12_1632
; %bb.1631:
	s_clause 0x1
	s_load_b128 s[4:7], s[56:57], 0x10
	s_load_b128 s[8:11], s[56:57], 0xd0
	s_waitcnt lgkmcnt(0)
	v_mul_hi_u32 v4, s5, v5
	s_delay_alu instid0(VALU_DEP_1) | instskip(NEXT) | instid1(VALU_DEP_1)
	v_add_nc_u32_e32 v4, v5, v4
	v_lshrrev_b32_e32 v4, s6, v4
	s_delay_alu instid0(VALU_DEP_1) | instskip(NEXT) | instid1(VALU_DEP_1)
	v_mul_lo_u32 v4, v4, s4
	v_sub_nc_u32_e32 v8, v5, v4
	s_delay_alu instid0(VALU_DEP_1) | instskip(SKIP_2) | instid1(VALU_DEP_2)
	v_mad_u64_u32 v[4:5], null, v8, s8, v[62:63]
	v_mad_u64_u32 v[5:6], null, v8, s9, v[61:62]
	;; [unrolled: 1-line block ×3, first 2 shown]
	v_dual_mov_b32 v62, v4 :: v_dual_mov_b32 v61, v5
	s_delay_alu instid0(VALU_DEP_2)
	v_mov_b32_e32 v60, v6
.LBB12_1632:
	v_cmp_ne_u32_e32 vcc_lo, 1, v3
	s_cbranch_vccnz .LBB12_1638
; %bb.1633:
	v_dual_mov_b32 v72, 0 :: v_dual_mov_b32 v75, 0
	v_mov_b32_e32 v76, 0
	s_cmp_lg_u32 s43, 0
	s_mov_b32 s4, 0
	s_cbranch_scc0 .LBB12_1639
; %bb.1634:
	s_min_u32 s5, s66, 15
	v_dual_mov_b32 v75, 0 :: v_dual_mov_b32 v76, 0
	s_add_i32 s2, s5, 1
	v_dual_mov_b32 v72, 0 :: v_dual_mov_b32 v3, v2
	s_and_b32 s6, s2, 30
	s_add_u32 s2, s56, 0xffffffec
	s_addc_u32 s3, s57, -1
	s_set_inst_prefetch_distance 0x1
	.p2align	6
.LBB12_1635:                            ; =>This Inner Loop Header: Depth=1
	s_clause 0x2
	s_load_b128 s[8:11], s[2:3], 0x18
	s_load_b64 s[16:17], s[2:3], 0x28
	s_load_b128 s[12:15], s[2:3], 0xd8
	s_waitcnt lgkmcnt(0)
	v_mul_hi_u32 v4, s9, v3
	s_delay_alu instid0(VALU_DEP_1) | instskip(NEXT) | instid1(VALU_DEP_1)
	v_add_nc_u32_e32 v4, v3, v4
	v_lshrrev_b32_e32 v4, s10, v4
	s_delay_alu instid0(VALU_DEP_1)
	v_mul_hi_u32 v5, s16, v4
	v_mul_lo_u32 v6, v4, s8
	s_load_b64 s[8:9], s[2:3], 0xe8
	s_add_u32 s2, s2, 24
	s_addc_u32 s3, s3, 0
	s_add_i32 s6, s6, -2
	s_delay_alu instid0(SALU_CYCLE_1) | instskip(NEXT) | instid1(VALU_DEP_2)
	s_cmp_lg_u32 s6, 0
	v_add_nc_u32_e32 v5, v4, v5
	s_delay_alu instid0(VALU_DEP_2) | instskip(NEXT) | instid1(VALU_DEP_2)
	v_sub_nc_u32_e32 v6, v3, v6
	v_lshrrev_b32_e32 v3, s17, v5
	s_delay_alu instid0(VALU_DEP_2) | instskip(NEXT) | instid1(VALU_DEP_2)
	v_mul_lo_u32 v7, v6, s12
	v_mul_lo_u32 v5, v3, s11
	s_delay_alu instid0(VALU_DEP_1) | instskip(SKIP_2) | instid1(VALU_DEP_3)
	v_sub_nc_u32_e32 v4, v4, v5
	v_mul_lo_u32 v5, v6, s13
	v_mul_lo_u32 v6, v6, s14
	;; [unrolled: 1-line block ×3, first 2 shown]
	s_waitcnt lgkmcnt(0)
	v_mul_lo_u32 v9, v4, s8
	v_mul_lo_u32 v4, v4, s9
	s_delay_alu instid0(VALU_DEP_3) | instskip(NEXT) | instid1(VALU_DEP_3)
	v_add3_u32 v72, v7, v72, v8
	v_add3_u32 v76, v5, v76, v9
	s_delay_alu instid0(VALU_DEP_3)
	v_add3_u32 v75, v6, v75, v4
	s_cbranch_scc1 .LBB12_1635
; %bb.1636:
	s_set_inst_prefetch_distance 0x2
	s_bitcmp1_b32 s5, 0
	s_cselect_b32 s5, -1, 0
	s_delay_alu instid0(SALU_CYCLE_1)
	s_and_b32 vcc_lo, exec_lo, s5
	s_cbranch_vccnz .LBB12_1639
; %bb.1637:
	s_clause 0x3
	s_load_b64 s[6:7], s[2:3], 0x18
	s_load_b32 s5, s[2:3], 0x20
	s_load_b64 s[8:9], s[2:3], 0xd8
	s_load_b32 s2, s[2:3], 0xe0
	s_waitcnt lgkmcnt(0)
	v_mul_hi_u32 v4, s7, v3
	s_delay_alu instid0(VALU_DEP_1) | instskip(NEXT) | instid1(VALU_DEP_1)
	v_add_nc_u32_e32 v4, v3, v4
	v_lshrrev_b32_e32 v4, s5, v4
	s_delay_alu instid0(VALU_DEP_1) | instskip(NEXT) | instid1(VALU_DEP_1)
	v_mul_lo_u32 v4, v4, s6
	v_sub_nc_u32_e32 v7, v3, v4
	s_delay_alu instid0(VALU_DEP_1) | instskip(SKIP_2) | instid1(VALU_DEP_3)
	v_mad_u64_u32 v[3:4], null, v7, s8, v[72:73]
	v_mad_u64_u32 v[4:5], null, v7, s9, v[76:77]
	;; [unrolled: 1-line block ×3, first 2 shown]
	v_mov_b32_e32 v72, v3
	s_delay_alu instid0(VALU_DEP_2)
	v_dual_mov_b32 v76, v4 :: v_dual_mov_b32 v75, v5
	s_branch .LBB12_1639
.LBB12_1638:
	s_mov_b32 s4, -1
                                        ; implicit-def: $vgpr72
                                        ; implicit-def: $vgpr76
                                        ; implicit-def: $vgpr75
.LBB12_1639:
	s_delay_alu instid0(SALU_CYCLE_1)
	s_and_not1_b32 vcc_lo, exec_lo, s4
	s_cbranch_vccnz .LBB12_1642
; %bb.1640:
	s_clause 0x1
	s_load_b128 s[4:7], s[56:57], 0x4
	s_load_b128 s[8:11], s[56:57], 0xc4
	s_cmp_lt_u32 s43, 2
	s_waitcnt lgkmcnt(0)
	v_mul_hi_u32 v3, s5, v2
	s_delay_alu instid0(VALU_DEP_1) | instskip(NEXT) | instid1(VALU_DEP_1)
	v_add_nc_u32_e32 v3, v2, v3
	v_lshrrev_b32_e32 v3, s6, v3
	s_delay_alu instid0(VALU_DEP_1) | instskip(NEXT) | instid1(VALU_DEP_1)
	v_mul_lo_u32 v4, v3, s4
	v_sub_nc_u32_e32 v2, v2, v4
	s_delay_alu instid0(VALU_DEP_1)
	v_mul_lo_u32 v72, v2, s8
	v_mul_lo_u32 v76, v2, s9
	;; [unrolled: 1-line block ×3, first 2 shown]
	s_cbranch_scc1 .LBB12_1642
; %bb.1641:
	s_clause 0x1
	s_load_b128 s[4:7], s[56:57], 0x10
	s_load_b128 s[8:11], s[56:57], 0xd0
	s_waitcnt lgkmcnt(0)
	v_mul_hi_u32 v2, s5, v3
	s_delay_alu instid0(VALU_DEP_1) | instskip(NEXT) | instid1(VALU_DEP_1)
	v_add_nc_u32_e32 v2, v3, v2
	v_lshrrev_b32_e32 v2, s6, v2
	s_delay_alu instid0(VALU_DEP_1) | instskip(NEXT) | instid1(VALU_DEP_1)
	v_mul_lo_u32 v2, v2, s4
	v_sub_nc_u32_e32 v6, v3, v2
	s_delay_alu instid0(VALU_DEP_1) | instskip(SKIP_2) | instid1(VALU_DEP_3)
	v_mad_u64_u32 v[2:3], null, v6, s8, v[72:73]
	v_mad_u64_u32 v[3:4], null, v6, s9, v[76:77]
	v_mad_u64_u32 v[4:5], null, v6, s10, v[75:76]
	v_mov_b32_e32 v72, v2
	s_delay_alu instid0(VALU_DEP_2)
	v_dual_mov_b32 v76, v3 :: v_dual_mov_b32 v75, v4
.LBB12_1642:
	s_clause 0x1
	s_load_b32 s52, s[0:1], 0x1a8
	s_load_b128 s[44:47], s[56:57], 0x188
	s_waitcnt lgkmcnt(0)
	s_lshr_b32 s0, s52, 16
	s_delay_alu instid0(SALU_CYCLE_1) | instskip(SKIP_1) | instid1(VALU_DEP_1)
	v_and_b32_e64 v47, 0xff, s0
	v_add_co_u32 v1, s0, s46, v1
	v_add_co_ci_u32_e64 v2, null, s47, 0, s0
	s_delay_alu instid0(VALU_DEP_3)
	v_cmp_gt_i16_e32 vcc_lo, 11, v47
	s_mov_b32 s0, 0
	s_cbranch_vccnz .LBB12_1649
; %bb.1643:
	v_cmp_lt_i16_e32 vcc_lo, 25, v47
	s_mov_b32 s3, 0
	s_cbranch_vccz .LBB12_1655
; %bb.1644:
	v_cmp_lt_i16_e32 vcc_lo, 28, v47
	s_cbranch_vccz .LBB12_1657
; %bb.1645:
	v_cmp_lt_i16_e32 vcc_lo, 43, v47
	;; [unrolled: 3-line block ×3, first 2 shown]
	s_cbranch_vccz .LBB12_1663
; %bb.1647:
	v_cmp_eq_u16_e32 vcc_lo, 46, v47
	s_mov_b32 s1, 0
	s_cbranch_vccz .LBB12_1705
; %bb.1648:
	global_load_b32 v3, v[1:2], off
	s_mov_b32 s2, 0
	s_mov_b32 s0, -1
	s_waitcnt vmcnt(0)
	v_lshlrev_b32_e32 v3, 16, v3
	s_delay_alu instid0(VALU_DEP_1)
	v_cvt_f64_f32_e32 v[45:46], v3
	s_branch .LBB12_1707
.LBB12_1649:
	s_mov_b32 s43, s50
                                        ; implicit-def: $vgpr45_vgpr46
	s_cbranch_execz .LBB12_1770
; %bb.1650:
	v_cmp_gt_i16_e32 vcc_lo, 5, v47
	s_cbranch_vccnz .LBB12_1656
; %bb.1651:
	v_cmp_gt_i16_e32 vcc_lo, 8, v47
	s_cbranch_vccnz .LBB12_1658
	;; [unrolled: 3-line block ×3, first 2 shown]
; %bb.1653:
	v_cmp_lt_i16_e32 vcc_lo, 9, v47
	s_cbranch_vccz .LBB12_1664
; %bb.1654:
	global_load_b64 v[45:46], v[1:2], off
	s_mov_b32 s0, 0
	s_branch .LBB12_1665
.LBB12_1655:
	s_mov_b32 s2, 0
                                        ; implicit-def: $vgpr45_vgpr46
	s_cbranch_execnz .LBB12_1737
	s_branch .LBB12_1766
.LBB12_1656:
                                        ; implicit-def: $vgpr45_vgpr46
	s_branch .LBB12_1682
.LBB12_1657:
	s_mov_b32 s1, -1
	s_mov_b32 s2, 0
                                        ; implicit-def: $vgpr45_vgpr46
	s_branch .LBB12_1716
.LBB12_1658:
                                        ; implicit-def: $vgpr45_vgpr46
	s_branch .LBB12_1671
.LBB12_1659:
	s_mov_b32 s2, 0
                                        ; implicit-def: $vgpr45_vgpr46
	s_cbranch_execnz .LBB12_1712
	s_branch .LBB12_1715
.LBB12_1660:
	s_mov_b32 s0, -1
                                        ; implicit-def: $vgpr45_vgpr46
	s_branch .LBB12_1668
.LBB12_1661:
	s_cbranch_execnz .LBB12_1703
; %bb.1662:
	s_or_b32 s48, s48, exec_lo
	s_and_not1_b32 s2, s2, exec_lo
	s_or_b32 exec_lo, exec_lo, s3
	s_and_saveexec_b32 s3, s2
	s_delay_alu instid0(SALU_CYCLE_1)
	s_xor_b32 s2, exec_lo, s3
	s_cbranch_execnz .LBB12_1561
	s_branch .LBB12_1562
.LBB12_1663:
	s_mov_b32 s1, -1
	s_mov_b32 s2, 0
	s_branch .LBB12_1706
.LBB12_1664:
	s_mov_b32 s0, -1
                                        ; implicit-def: $vgpr45_vgpr46
.LBB12_1665:
	s_delay_alu instid0(SALU_CYCLE_1)
	s_and_not1_b32 vcc_lo, exec_lo, s0
	s_cbranch_vccnz .LBB12_1667
; %bb.1666:
	global_load_b32 v3, v[1:2], off
	s_waitcnt vmcnt(0)
	v_cvt_f64_f32_e32 v[45:46], v3
.LBB12_1667:
	s_mov_b32 s0, 0
.LBB12_1668:
	s_delay_alu instid0(SALU_CYCLE_1)
	s_and_not1_b32 vcc_lo, exec_lo, s0
	s_cbranch_vccnz .LBB12_1670
; %bb.1669:
	global_load_b32 v3, v[1:2], off
	s_waitcnt vmcnt(0)
	v_cvt_f32_f16_e32 v3, v3
	s_delay_alu instid0(VALU_DEP_1)
	v_cvt_f64_f32_e32 v[45:46], v3
.LBB12_1670:
	s_cbranch_execnz .LBB12_1681
.LBB12_1671:
	v_cmp_gt_i16_e32 vcc_lo, 6, v47
	s_cbranch_vccnz .LBB12_1674
; %bb.1672:
	v_cmp_lt_i16_e32 vcc_lo, 6, v47
	s_cbranch_vccz .LBB12_1675
; %bb.1673:
	global_load_b64 v[45:46], v[1:2], off
	s_mov_b32 s0, 0
	s_branch .LBB12_1676
.LBB12_1674:
	s_mov_b32 s0, -1
                                        ; implicit-def: $vgpr45_vgpr46
	s_branch .LBB12_1679
.LBB12_1675:
	s_mov_b32 s0, -1
                                        ; implicit-def: $vgpr45_vgpr46
.LBB12_1676:
	s_delay_alu instid0(SALU_CYCLE_1)
	s_and_not1_b32 vcc_lo, exec_lo, s0
	s_cbranch_vccnz .LBB12_1678
; %bb.1677:
	global_load_b32 v3, v[1:2], off
	s_waitcnt vmcnt(0)
	v_cvt_f64_f32_e32 v[45:46], v3
.LBB12_1678:
	s_mov_b32 s0, 0
.LBB12_1679:
	s_delay_alu instid0(SALU_CYCLE_1)
	s_and_not1_b32 vcc_lo, exec_lo, s0
	s_cbranch_vccnz .LBB12_1681
; %bb.1680:
	global_load_u16 v3, v[1:2], off
	s_waitcnt vmcnt(0)
	v_cvt_f32_f16_e32 v3, v3
	s_delay_alu instid0(VALU_DEP_1)
	v_cvt_f64_f32_e32 v[45:46], v3
.LBB12_1681:
	s_cbranch_execnz .LBB12_1700
.LBB12_1682:
	v_cmp_gt_i16_e32 vcc_lo, 2, v47
	s_cbranch_vccnz .LBB12_1686
; %bb.1683:
	v_cmp_gt_i16_e32 vcc_lo, 3, v47
	s_cbranch_vccnz .LBB12_1687
; %bb.1684:
	v_cmp_lt_i16_e32 vcc_lo, 3, v47
	s_cbranch_vccz .LBB12_1688
; %bb.1685:
	global_load_b64 v[3:4], v[1:2], off
	s_mov_b32 s0, 0
	s_waitcnt vmcnt(0)
	v_cvt_f64_i32_e32 v[4:5], v4
	v_cvt_f64_u32_e32 v[6:7], v3
	s_delay_alu instid0(VALU_DEP_2) | instskip(NEXT) | instid1(VALU_DEP_1)
	v_ldexp_f64 v[4:5], v[4:5], 32
	v_add_f64 v[45:46], v[4:5], v[6:7]
	s_branch .LBB12_1689
.LBB12_1686:
                                        ; implicit-def: $vgpr45_vgpr46
	s_branch .LBB12_1695
.LBB12_1687:
	s_mov_b32 s0, -1
                                        ; implicit-def: $vgpr45_vgpr46
	s_branch .LBB12_1692
.LBB12_1688:
	s_mov_b32 s0, -1
                                        ; implicit-def: $vgpr45_vgpr46
.LBB12_1689:
	s_delay_alu instid0(SALU_CYCLE_1)
	s_and_not1_b32 vcc_lo, exec_lo, s0
	s_cbranch_vccnz .LBB12_1691
; %bb.1690:
	global_load_b32 v3, v[1:2], off
	s_waitcnt vmcnt(0)
	v_cvt_f64_i32_e32 v[45:46], v3
.LBB12_1691:
	s_mov_b32 s0, 0
.LBB12_1692:
	s_delay_alu instid0(SALU_CYCLE_1)
	s_and_not1_b32 vcc_lo, exec_lo, s0
	s_cbranch_vccnz .LBB12_1694
; %bb.1693:
	global_load_i16 v3, v[1:2], off
	s_waitcnt vmcnt(0)
	v_cvt_f64_i32_e32 v[45:46], v3
.LBB12_1694:
	s_cbranch_execnz .LBB12_1700
.LBB12_1695:
	v_cmp_lt_i16_e32 vcc_lo, 0, v47
	s_mov_b32 s0, 0
	s_cbranch_vccz .LBB12_1697
; %bb.1696:
	global_load_i8 v3, v[1:2], off
	s_waitcnt vmcnt(0)
	v_cvt_f64_i32_e32 v[45:46], v3
	s_branch .LBB12_1698
.LBB12_1697:
	s_mov_b32 s0, -1
                                        ; implicit-def: $vgpr45_vgpr46
.LBB12_1698:
	s_delay_alu instid0(SALU_CYCLE_1)
	s_and_not1_b32 vcc_lo, exec_lo, s0
	s_cbranch_vccnz .LBB12_1700
; %bb.1699:
	global_load_u8 v1, v[1:2], off
	s_waitcnt vmcnt(0)
	v_cvt_f64_u32_e32 v[45:46], v1
.LBB12_1700:
                                        ; implicit-def: $vgpr2_vgpr3
	s_branch .LBB12_1771
.LBB12_1701:
	s_trap 2
	s_sendmsg_rtn_b32 s0, sendmsg(MSG_RTN_GET_DOORBELL)
	s_mov_b32 ttmp2, m0
	s_waitcnt lgkmcnt(0)
	s_and_b32 s0, s0, 0x3ff
	s_delay_alu instid0(SALU_CYCLE_1) | instskip(NEXT) | instid1(SALU_CYCLE_1)
	s_bitset1_b32 s0, 10
	s_mov_b32 m0, s0
	s_sendmsg sendmsg(MSG_INTERRUPT)
	s_mov_b32 m0, ttmp2
.LBB12_1702:                            ; =>This Inner Loop Header: Depth=1
	s_sethalt 5
	s_branch .LBB12_1702
.LBB12_1703:
	s_trap 2
	s_sendmsg_rtn_b32 s0, sendmsg(MSG_RTN_GET_DOORBELL)
	s_mov_b32 ttmp2, m0
	s_waitcnt lgkmcnt(0)
	s_and_b32 s0, s0, 0x3ff
	s_delay_alu instid0(SALU_CYCLE_1) | instskip(NEXT) | instid1(SALU_CYCLE_1)
	s_bitset1_b32 s0, 10
	s_mov_b32 m0, s0
	s_sendmsg sendmsg(MSG_INTERRUPT)
	s_mov_b32 m0, ttmp2
.LBB12_1704:                            ; =>This Inner Loop Header: Depth=1
	s_sethalt 5
	s_branch .LBB12_1704
.LBB12_1705:
	s_mov_b32 s2, -1
.LBB12_1706:
                                        ; implicit-def: $vgpr45_vgpr46
.LBB12_1707:
	s_and_b32 vcc_lo, exec_lo, s1
	s_cbranch_vccz .LBB12_1710
; %bb.1708:
	v_cmp_eq_u16_e32 vcc_lo, 44, v47
	s_cbranch_vccz .LBB12_1711
; %bb.1709:
	global_load_u8 v5, v[1:2], off
	s_mov_b32 s2, 0
	s_mov_b32 s0, -1
	s_waitcnt vmcnt(0)
	v_cmp_ne_u32_e32 vcc_lo, 0xff, v5
	v_lshlrev_b32_e32 v3, 23, v5
	s_delay_alu instid0(VALU_DEP_1) | instskip(NEXT) | instid1(VALU_DEP_1)
	v_cvt_f64_f32_e32 v[3:4], v3
	v_cndmask_b32_e32 v4, 0x7ff80000, v4, vcc_lo
	s_delay_alu instid0(VALU_DEP_2) | instskip(SKIP_1) | instid1(VALU_DEP_3)
	v_cndmask_b32_e32 v3, 0x20000000, v3, vcc_lo
	v_cmp_ne_u32_e32 vcc_lo, 0, v5
	v_cndmask_b32_e32 v46, 0x38000000, v4, vcc_lo
	s_delay_alu instid0(VALU_DEP_3)
	v_cndmask_b32_e32 v45, 0, v3, vcc_lo
.LBB12_1710:
	s_branch .LBB12_1715
.LBB12_1711:
	s_mov_b32 s2, -1
                                        ; implicit-def: $vgpr45_vgpr46
	s_branch .LBB12_1715
.LBB12_1712:
	v_cmp_eq_u16_e32 vcc_lo, 29, v47
	s_cbranch_vccz .LBB12_1714
; %bb.1713:
	global_load_b64 v[3:4], v[1:2], off
	s_mov_b32 s2, 0
	s_mov_b32 s0, -1
	s_mov_b32 s1, 0
	s_waitcnt vmcnt(0)
	v_cvt_f64_u32_e32 v[4:5], v4
	v_cvt_f64_u32_e32 v[6:7], v3
	s_delay_alu instid0(VALU_DEP_2) | instskip(NEXT) | instid1(VALU_DEP_1)
	v_ldexp_f64 v[4:5], v[4:5], 32
	v_add_f64 v[45:46], v[4:5], v[6:7]
	s_branch .LBB12_1716
.LBB12_1714:
	s_mov_b32 s2, -1
                                        ; implicit-def: $vgpr45_vgpr46
.LBB12_1715:
	s_mov_b32 s1, 0
.LBB12_1716:
	s_delay_alu instid0(SALU_CYCLE_1)
	s_and_b32 vcc_lo, exec_lo, s1
	s_cbranch_vccz .LBB12_1736
; %bb.1717:
	v_cmp_gt_i16_e32 vcc_lo, 27, v47
	s_cbranch_vccnz .LBB12_1720
; %bb.1718:
	v_cmp_lt_i16_e32 vcc_lo, 27, v47
	s_cbranch_vccz .LBB12_1721
; %bb.1719:
	global_load_b32 v3, v[1:2], off
	s_mov_b32 s0, 0
	s_waitcnt vmcnt(0)
	v_cvt_f64_u32_e32 v[45:46], v3
	s_branch .LBB12_1722
.LBB12_1720:
	s_mov_b32 s0, -1
                                        ; implicit-def: $vgpr45_vgpr46
	s_branch .LBB12_1725
.LBB12_1721:
	s_mov_b32 s0, -1
                                        ; implicit-def: $vgpr45_vgpr46
.LBB12_1722:
	s_delay_alu instid0(SALU_CYCLE_1)
	s_and_not1_b32 vcc_lo, exec_lo, s0
	s_cbranch_vccnz .LBB12_1724
; %bb.1723:
	global_load_u16 v3, v[1:2], off
	s_waitcnt vmcnt(0)
	v_cvt_f64_u32_e32 v[45:46], v3
.LBB12_1724:
	s_mov_b32 s0, 0
.LBB12_1725:
	s_delay_alu instid0(SALU_CYCLE_1)
	s_and_not1_b32 vcc_lo, exec_lo, s0
	s_cbranch_vccnz .LBB12_1735
; %bb.1726:
	global_load_u8 v3, v[1:2], off
	s_mov_b32 s4, 0
	s_mov_b32 s5, exec_lo
                                        ; implicit-def: $sgpr0_sgpr1
	s_waitcnt vmcnt(0)
	v_cmpx_lt_i16_e32 0x7f, v3
	s_xor_b32 s5, exec_lo, s5
	s_cbranch_execz .LBB12_1730
; %bb.1727:
	s_mov_b32 s6, -1
	s_mov_b32 s4, exec_lo
                                        ; implicit-def: $sgpr0_sgpr1
	v_cmpx_eq_u16_e32 0x80, v3
; %bb.1728:
	s_mov_b32 s1, 0x7ff80000
	s_brev_b32 s0, 4
	s_xor_b32 s6, exec_lo, -1
; %bb.1729:
	s_or_b32 exec_lo, exec_lo, s4
	s_delay_alu instid0(SALU_CYCLE_1)
	s_and_b32 s4, s6, exec_lo
.LBB12_1730:
	s_or_saveexec_b32 s5, s5
	v_dual_mov_b32 v46, s1 :: v_dual_mov_b32 v45, s0
	s_xor_b32 exec_lo, exec_lo, s5
; %bb.1731:
	v_cmp_ne_u16_e32 vcc_lo, 0, v3
	v_mov_b32_e32 v45, 0
	v_mov_b32_e32 v46, 0
	s_and_not1_b32 s0, s4, exec_lo
	s_and_b32 s1, vcc_lo, exec_lo
	s_delay_alu instid0(SALU_CYCLE_1)
	s_or_b32 s4, s0, s1
; %bb.1732:
	s_or_b32 exec_lo, exec_lo, s5
	s_and_saveexec_b32 s0, s4
	s_cbranch_execz .LBB12_1734
; %bb.1733:
	v_and_b32_e32 v4, 0xffff, v3
	v_lshlrev_b32_e32 v3, 24, v3
	s_delay_alu instid0(VALU_DEP_2) | instskip(NEXT) | instid1(VALU_DEP_2)
	v_and_b32_e32 v5, 7, v4
	v_and_b32_e32 v3, 0x80000000, v3
	s_delay_alu instid0(VALU_DEP_2) | instskip(NEXT) | instid1(VALU_DEP_1)
	v_clz_i32_u32_e32 v6, v5
	v_min_u32_e32 v6, 32, v6
	s_delay_alu instid0(VALU_DEP_1) | instskip(SKIP_1) | instid1(VALU_DEP_2)
	v_subrev_nc_u32_e32 v7, 28, v6
	v_sub_nc_u32_e32 v6, 29, v6
	v_lshlrev_b32_e32 v7, v7, v4
	v_bfe_u32 v4, v4, 3, 4
	s_delay_alu instid0(VALU_DEP_2) | instskip(NEXT) | instid1(VALU_DEP_2)
	v_and_b32_e32 v7, 7, v7
	v_cmp_eq_u32_e32 vcc_lo, 0, v4
	s_delay_alu instid0(VALU_DEP_2) | instskip(NEXT) | instid1(VALU_DEP_1)
	v_dual_cndmask_b32 v4, v4, v6 :: v_dual_cndmask_b32 v5, v5, v7
	v_lshl_add_u32 v4, v4, 23, 0x3b800000
	s_delay_alu instid0(VALU_DEP_2) | instskip(NEXT) | instid1(VALU_DEP_1)
	v_lshlrev_b32_e32 v5, 20, v5
	v_or3_b32 v3, v3, v4, v5
	s_delay_alu instid0(VALU_DEP_1)
	v_cvt_f64_f32_e32 v[45:46], v3
.LBB12_1734:
	s_or_b32 exec_lo, exec_lo, s0
.LBB12_1735:
	s_mov_b32 s0, -1
.LBB12_1736:
	s_branch .LBB12_1766
.LBB12_1737:
	v_cmp_lt_i16_e32 vcc_lo, 22, v47
	s_cbranch_vccz .LBB12_1749
; %bb.1738:
	v_cmp_gt_i16_e32 vcc_lo, 24, v47
	s_cbranch_vccnz .LBB12_1750
; %bb.1739:
	v_cmp_lt_i16_e32 vcc_lo, 24, v47
	s_cbranch_vccz .LBB12_1751
; %bb.1740:
	global_load_u8 v3, v[1:2], off
	s_mov_b32 s4, exec_lo
                                        ; implicit-def: $sgpr0_sgpr1
	s_waitcnt vmcnt(0)
	v_cmpx_lt_i16_e32 0x7f, v3
	s_xor_b32 s4, exec_lo, s4
	s_cbranch_execz .LBB12_1744
; %bb.1741:
	s_mov_b32 s5, -1
	s_mov_b32 s3, exec_lo
                                        ; implicit-def: $sgpr0_sgpr1
	v_cmpx_eq_u16_e32 0x80, v3
; %bb.1742:
	s_mov_b32 s1, 0x7ff80000
	s_brev_b32 s0, 4
	s_xor_b32 s5, exec_lo, -1
; %bb.1743:
	s_or_b32 exec_lo, exec_lo, s3
	s_delay_alu instid0(SALU_CYCLE_1)
	s_and_b32 s3, s5, exec_lo
.LBB12_1744:
	s_or_saveexec_b32 s4, s4
	v_dual_mov_b32 v46, s1 :: v_dual_mov_b32 v45, s0
	s_xor_b32 exec_lo, exec_lo, s4
; %bb.1745:
	v_cmp_ne_u16_e32 vcc_lo, 0, v3
	v_mov_b32_e32 v45, 0
	v_mov_b32_e32 v46, 0
	s_and_not1_b32 s0, s3, exec_lo
	s_and_b32 s1, vcc_lo, exec_lo
	s_delay_alu instid0(SALU_CYCLE_1)
	s_or_b32 s3, s0, s1
; %bb.1746:
	s_or_b32 exec_lo, exec_lo, s4
	s_and_saveexec_b32 s0, s3
	s_cbranch_execz .LBB12_1748
; %bb.1747:
	v_and_b32_e32 v4, 0xffff, v3
	v_lshlrev_b32_e32 v3, 24, v3
	s_delay_alu instid0(VALU_DEP_2) | instskip(NEXT) | instid1(VALU_DEP_2)
	v_and_b32_e32 v5, 3, v4
	v_and_b32_e32 v3, 0x80000000, v3
	s_delay_alu instid0(VALU_DEP_2) | instskip(NEXT) | instid1(VALU_DEP_1)
	v_clz_i32_u32_e32 v6, v5
	v_min_u32_e32 v6, 32, v6
	s_delay_alu instid0(VALU_DEP_1) | instskip(SKIP_1) | instid1(VALU_DEP_2)
	v_subrev_nc_u32_e32 v7, 29, v6
	v_sub_nc_u32_e32 v6, 30, v6
	v_lshlrev_b32_e32 v7, v7, v4
	v_bfe_u32 v4, v4, 2, 5
	s_delay_alu instid0(VALU_DEP_2) | instskip(NEXT) | instid1(VALU_DEP_2)
	v_and_b32_e32 v7, 3, v7
	v_cmp_eq_u32_e32 vcc_lo, 0, v4
	s_delay_alu instid0(VALU_DEP_2) | instskip(NEXT) | instid1(VALU_DEP_1)
	v_dual_cndmask_b32 v4, v4, v6 :: v_dual_cndmask_b32 v5, v5, v7
	v_lshl_add_u32 v4, v4, 23, 0x37800000
	s_delay_alu instid0(VALU_DEP_2) | instskip(NEXT) | instid1(VALU_DEP_1)
	v_lshlrev_b32_e32 v5, 21, v5
	v_or3_b32 v3, v3, v4, v5
	s_delay_alu instid0(VALU_DEP_1)
	v_cvt_f64_f32_e32 v[45:46], v3
.LBB12_1748:
	s_or_b32 exec_lo, exec_lo, s0
	s_mov_b32 s0, 0
	s_branch .LBB12_1752
.LBB12_1749:
                                        ; implicit-def: $vgpr45_vgpr46
	s_mov_b32 s3, 0
	s_branch .LBB12_1758
.LBB12_1750:
	s_mov_b32 s0, -1
                                        ; implicit-def: $vgpr45_vgpr46
	s_branch .LBB12_1755
.LBB12_1751:
	s_mov_b32 s0, -1
                                        ; implicit-def: $vgpr45_vgpr46
.LBB12_1752:
	s_delay_alu instid0(SALU_CYCLE_1)
	s_and_b32 vcc_lo, exec_lo, s0
	s_cbranch_vccz .LBB12_1754
; %bb.1753:
	global_load_u8 v3, v[1:2], off
	s_waitcnt vmcnt(0)
	v_lshlrev_b32_e32 v3, 24, v3
	s_delay_alu instid0(VALU_DEP_1) | instskip(NEXT) | instid1(VALU_DEP_1)
	v_and_b32_e32 v4, 0x7f000000, v3
	v_clz_i32_u32_e32 v5, v4
	v_add_nc_u32_e32 v7, 0x1000000, v4
	v_cmp_ne_u32_e32 vcc_lo, 0, v4
	s_delay_alu instid0(VALU_DEP_3) | instskip(NEXT) | instid1(VALU_DEP_1)
	v_min_u32_e32 v5, 32, v5
	v_sub_nc_u32_e64 v5, v5, 4 clamp
	s_delay_alu instid0(VALU_DEP_1) | instskip(SKIP_1) | instid1(VALU_DEP_2)
	v_lshlrev_b32_e32 v6, v5, v4
	v_lshlrev_b32_e32 v5, 23, v5
	v_lshrrev_b32_e32 v6, 4, v6
	s_delay_alu instid0(VALU_DEP_1) | instskip(SKIP_1) | instid1(VALU_DEP_2)
	v_sub_nc_u32_e32 v5, v6, v5
	v_ashrrev_i32_e32 v6, 8, v7
	v_add_nc_u32_e32 v5, 0x3c000000, v5
	s_delay_alu instid0(VALU_DEP_1) | instskip(NEXT) | instid1(VALU_DEP_1)
	v_and_or_b32 v5, 0x7f800000, v6, v5
	v_cndmask_b32_e32 v4, 0, v5, vcc_lo
	s_delay_alu instid0(VALU_DEP_1) | instskip(NEXT) | instid1(VALU_DEP_1)
	v_and_or_b32 v3, 0x80000000, v3, v4
	v_cvt_f64_f32_e32 v[45:46], v3
.LBB12_1754:
	s_mov_b32 s0, 0
.LBB12_1755:
	s_delay_alu instid0(SALU_CYCLE_1)
	s_and_not1_b32 vcc_lo, exec_lo, s0
	s_cbranch_vccnz .LBB12_1757
; %bb.1756:
	global_load_u8 v3, v[1:2], off
	s_waitcnt vmcnt(0)
	v_lshlrev_b32_e32 v4, 25, v3
	v_lshlrev_b16 v3, 8, v3
	s_delay_alu instid0(VALU_DEP_2) | instskip(NEXT) | instid1(VALU_DEP_2)
	v_lshrrev_b32_e32 v5, 4, v4
	v_and_or_b32 v6, 0x7f00, v3, 0.5
	v_bfe_i32 v3, v3, 0, 16
	s_delay_alu instid0(VALU_DEP_3) | instskip(NEXT) | instid1(VALU_DEP_1)
	v_or_b32_e32 v5, 0x70000000, v5
	v_dual_add_f32 v6, -0.5, v6 :: v_dual_mul_f32 v5, 0x7800000, v5
	v_cmp_gt_u32_e32 vcc_lo, 0x8000000, v4
	s_delay_alu instid0(VALU_DEP_2) | instskip(NEXT) | instid1(VALU_DEP_1)
	v_cndmask_b32_e32 v4, v5, v6, vcc_lo
	v_and_or_b32 v3, 0x80000000, v3, v4
	s_delay_alu instid0(VALU_DEP_1)
	v_cvt_f64_f32_e32 v[45:46], v3
.LBB12_1757:
	s_mov_b32 s0, -1
	s_mov_b32 s3, 0
	s_cbranch_execnz .LBB12_1766
.LBB12_1758:
	v_cmp_lt_i16_e32 vcc_lo, 14, v47
	s_cbranch_vccz .LBB12_1761
; %bb.1759:
	v_cmp_eq_u16_e32 vcc_lo, 15, v47
	s_cbranch_vccz .LBB12_1762
; %bb.1760:
	global_load_u16 v3, v[1:2], off
	s_mov_b32 s2, 0
	s_mov_b32 s0, -1
	s_waitcnt vmcnt(0)
	v_lshlrev_b32_e32 v3, 16, v3
	s_delay_alu instid0(VALU_DEP_1)
	v_cvt_f64_f32_e32 v[45:46], v3
	s_branch .LBB12_1763
.LBB12_1761:
	s_mov_b32 s1, -1
                                        ; implicit-def: $vgpr45_vgpr46
	s_branch .LBB12_1764
.LBB12_1762:
	s_mov_b32 s2, -1
                                        ; implicit-def: $vgpr45_vgpr46
.LBB12_1763:
	s_mov_b32 s1, 0
.LBB12_1764:
	s_delay_alu instid0(SALU_CYCLE_1)
	s_and_b32 vcc_lo, exec_lo, s1
	s_cbranch_vccz .LBB12_1766
; %bb.1765:
	v_cmp_ne_u16_e64 s2, 11, v47
	s_mov_b32 s3, -1
                                        ; implicit-def: $vgpr45_vgpr46
.LBB12_1766:
	s_delay_alu instid0(VALU_DEP_1)
	s_and_b32 vcc_lo, exec_lo, s2
	s_mov_b32 s43, s50
	s_cbranch_vccnz .LBB12_1790
; %bb.1767:
	s_and_not1_b32 vcc_lo, exec_lo, s3
	s_cbranch_vccnz .LBB12_1769
.LBB12_1768:
	global_load_u8 v3, v[1:2], off
	s_waitcnt vmcnt(1)
	v_mov_b32_e32 v45, 0
	s_mov_b32 s0, -1
	s_waitcnt vmcnt(0)
	v_cmp_ne_u16_e32 vcc_lo, 0, v3
	v_cndmask_b32_e64 v46, 0, 0x3ff00000, vcc_lo
.LBB12_1769:
.LBB12_1770:
	s_and_not1_b32 vcc_lo, exec_lo, s0
                                        ; implicit-def: $vgpr2_vgpr3
	s_cbranch_vccnz .LBB12_2727
.LBB12_1771:
	s_load_b64 s[48:49], s[56:57], 0x198
	s_lshr_b32 s53, s52, 24
	s_delay_alu instid0(SALU_CYCLE_1) | instskip(NEXT) | instid1(VALU_DEP_1)
	v_cmp_lt_i16_e64 s0, s53, 11
	s_and_b32 vcc_lo, exec_lo, s0
	s_mov_b32 s0, 0
	s_waitcnt lgkmcnt(0)
	v_add_co_u32 v0, s1, s48, v0
	s_delay_alu instid0(VALU_DEP_1)
	v_add_co_ci_u32_e64 v1, null, s49, 0, s1
	s_cbranch_vccnz .LBB12_1778
; %bb.1772:
	v_cmp_gt_i16_e64 s0, s53, 25
	s_mov_b32 s3, 0
	s_delay_alu instid0(VALU_DEP_1)
	s_and_b32 vcc_lo, exec_lo, s0
	s_cbranch_vccz .LBB12_1784
; %bb.1773:
	v_cmp_gt_i16_e64 s0, s53, 28
	s_delay_alu instid0(VALU_DEP_1)
	s_and_b32 vcc_lo, exec_lo, s0
	s_cbranch_vccz .LBB12_1786
; %bb.1774:
	v_cmp_gt_i16_e64 s0, s53, 43
	;; [unrolled: 5-line block ×3, first 2 shown]
	s_delay_alu instid0(VALU_DEP_1)
	s_and_b32 vcc_lo, exec_lo, s0
	s_cbranch_vccz .LBB12_1792
; %bb.1776:
	v_cmp_eq_u16_e64 s0, s53, 46
	s_mov_b32 s1, 0
	s_delay_alu instid0(VALU_DEP_1)
	s_and_b32 vcc_lo, exec_lo, s0
	s_cbranch_vccz .LBB12_1836
; %bb.1777:
	global_load_b32 v2, v[0:1], off
	s_mov_b32 s2, 0
	s_mov_b32 s0, -1
	s_waitcnt vmcnt(0)
	v_lshlrev_b32_e32 v2, 16, v2
	s_delay_alu instid0(VALU_DEP_1)
	v_cvt_f64_f32_e32 v[56:57], v2
	s_branch .LBB12_1838
.LBB12_1778:
                                        ; implicit-def: $vgpr56_vgpr57
	s_cbranch_execz .LBB12_1903
; %bb.1779:
	v_cmp_lt_i16_e64 s0, s53, 5
	s_delay_alu instid0(VALU_DEP_1)
	s_and_b32 vcc_lo, exec_lo, s0
	s_cbranch_vccnz .LBB12_1785
; %bb.1780:
	v_cmp_lt_i16_e64 s0, s53, 8
	s_delay_alu instid0(VALU_DEP_1)
	s_and_b32 vcc_lo, exec_lo, s0
	s_cbranch_vccnz .LBB12_1787
	;; [unrolled: 5-line block ×3, first 2 shown]
; %bb.1782:
	v_cmp_gt_i16_e64 s0, s53, 9
	s_delay_alu instid0(VALU_DEP_1)
	s_and_b32 vcc_lo, exec_lo, s0
	s_cbranch_vccz .LBB12_1795
; %bb.1783:
	global_load_b64 v[56:57], v[0:1], off
	s_mov_b32 s0, 0
	s_branch .LBB12_1796
.LBB12_1784:
	s_mov_b32 s0, 0
	s_mov_b32 s2, 0
                                        ; implicit-def: $vgpr56_vgpr57
	s_cbranch_execnz .LBB12_1869
	s_branch .LBB12_1899
.LBB12_1785:
                                        ; implicit-def: $vgpr56_vgpr57
	s_branch .LBB12_1814
.LBB12_1786:
	s_mov_b32 s1, -1
	s_mov_b32 s0, 0
	s_mov_b32 s2, 0
                                        ; implicit-def: $vgpr56_vgpr57
	s_branch .LBB12_1848
.LBB12_1787:
	s_mov_b32 s0, -1
                                        ; implicit-def: $vgpr56_vgpr57
	s_branch .LBB12_1802
.LBB12_1788:
	s_mov_b32 s1, -1
	s_mov_b32 s0, 0
	s_mov_b32 s2, 0
                                        ; implicit-def: $vgpr56_vgpr57
	s_branch .LBB12_1843
.LBB12_1789:
	s_mov_b32 s0, -1
                                        ; implicit-def: $vgpr56_vgpr57
	s_branch .LBB12_1799
.LBB12_1790:
	s_cbranch_execnz .LBB12_1834
; %bb.1791:
	s_or_b32 s43, s50, exec_lo
                                        ; implicit-def: $vgpr45_vgpr46
	s_cbranch_execz .LBB12_1768
	s_branch .LBB12_1769
.LBB12_1792:
	s_mov_b32 s1, -1
	s_mov_b32 s0, 0
	s_mov_b32 s2, 0
	s_branch .LBB12_1837
.LBB12_1793:
	s_or_saveexec_b32 s5, s5
                                        ; implicit-def: $sgpr6
	s_delay_alu instid0(SALU_CYCLE_1)
	s_xor_b32 exec_lo, exec_lo, s5
	s_cbranch_execz .LBB12_1512
.LBB12_1794:
	v_add_f32_e64 v3, 0x46000000, |v2|
	s_and_not1_b32 s4, s4, exec_lo
	s_mov_b32 s6, 0
	s_delay_alu instid0(VALU_DEP_1) | instskip(NEXT) | instid1(VALU_DEP_1)
	v_and_b32_e32 v3, 0xff, v3
	v_cmp_ne_u32_e32 vcc_lo, 0, v3
	s_and_b32 s7, vcc_lo, exec_lo
	s_delay_alu instid0(SALU_CYCLE_1)
	s_or_b32 s4, s4, s7
	s_or_b32 exec_lo, exec_lo, s5
	v_mov_b32_e32 v7, s6
	s_and_saveexec_b32 s5, s4
	s_cbranch_execnz .LBB12_1513
	s_branch .LBB12_1514
.LBB12_1795:
	s_mov_b32 s0, -1
                                        ; implicit-def: $vgpr56_vgpr57
.LBB12_1796:
	s_delay_alu instid0(SALU_CYCLE_1)
	s_and_not1_b32 vcc_lo, exec_lo, s0
	s_cbranch_vccnz .LBB12_1798
; %bb.1797:
	global_load_b32 v2, v[0:1], off
	s_waitcnt vmcnt(0)
	v_cvt_f64_f32_e32 v[56:57], v2
.LBB12_1798:
	s_mov_b32 s0, 0
.LBB12_1799:
	s_delay_alu instid0(SALU_CYCLE_1)
	s_and_not1_b32 vcc_lo, exec_lo, s0
	s_cbranch_vccnz .LBB12_1801
; %bb.1800:
	global_load_b32 v2, v[0:1], off
	s_waitcnt vmcnt(0)
	v_cvt_f32_f16_e32 v2, v2
	s_delay_alu instid0(VALU_DEP_1)
	v_cvt_f64_f32_e32 v[56:57], v2
.LBB12_1801:
	s_mov_b32 s0, 0
.LBB12_1802:
	s_delay_alu instid0(SALU_CYCLE_1)
	s_and_not1_b32 vcc_lo, exec_lo, s0
	s_cbranch_vccnz .LBB12_1813
; %bb.1803:
	v_cmp_lt_i16_e64 s0, s53, 6
	s_delay_alu instid0(VALU_DEP_1)
	s_and_b32 vcc_lo, exec_lo, s0
	s_cbranch_vccnz .LBB12_1806
; %bb.1804:
	v_cmp_gt_i16_e64 s0, s53, 6
	s_delay_alu instid0(VALU_DEP_1)
	s_and_b32 vcc_lo, exec_lo, s0
	s_cbranch_vccz .LBB12_1807
; %bb.1805:
	global_load_b64 v[56:57], v[0:1], off
	s_mov_b32 s0, 0
	s_branch .LBB12_1808
.LBB12_1806:
	s_mov_b32 s0, -1
                                        ; implicit-def: $vgpr56_vgpr57
	s_branch .LBB12_1811
.LBB12_1807:
	s_mov_b32 s0, -1
                                        ; implicit-def: $vgpr56_vgpr57
.LBB12_1808:
	s_delay_alu instid0(SALU_CYCLE_1)
	s_and_not1_b32 vcc_lo, exec_lo, s0
	s_cbranch_vccnz .LBB12_1810
; %bb.1809:
	global_load_b32 v2, v[0:1], off
	s_waitcnt vmcnt(0)
	v_cvt_f64_f32_e32 v[56:57], v2
.LBB12_1810:
	s_mov_b32 s0, 0
.LBB12_1811:
	s_delay_alu instid0(SALU_CYCLE_1)
	s_and_not1_b32 vcc_lo, exec_lo, s0
	s_cbranch_vccnz .LBB12_1813
; %bb.1812:
	global_load_u16 v2, v[0:1], off
	s_waitcnt vmcnt(0)
	v_cvt_f32_f16_e32 v2, v2
	s_delay_alu instid0(VALU_DEP_1)
	v_cvt_f64_f32_e32 v[56:57], v2
.LBB12_1813:
	s_cbranch_execnz .LBB12_1833
.LBB12_1814:
	v_cmp_lt_i16_e64 s0, s53, 2
	s_delay_alu instid0(VALU_DEP_1)
	s_and_b32 vcc_lo, exec_lo, s0
	s_cbranch_vccnz .LBB12_1818
; %bb.1815:
	v_cmp_lt_i16_e64 s0, s53, 3
	s_delay_alu instid0(VALU_DEP_1)
	s_and_b32 vcc_lo, exec_lo, s0
	s_cbranch_vccnz .LBB12_1819
; %bb.1816:
	v_cmp_gt_i16_e64 s0, s53, 3
	s_delay_alu instid0(VALU_DEP_1)
	s_and_b32 vcc_lo, exec_lo, s0
	s_cbranch_vccz .LBB12_1820
; %bb.1817:
	global_load_b64 v[2:3], v[0:1], off
	s_mov_b32 s0, 0
	s_waitcnt vmcnt(0)
	v_cvt_f64_i32_e32 v[3:4], v3
	v_cvt_f64_u32_e32 v[5:6], v2
	s_delay_alu instid0(VALU_DEP_2) | instskip(NEXT) | instid1(VALU_DEP_1)
	v_ldexp_f64 v[3:4], v[3:4], 32
	v_add_f64 v[56:57], v[3:4], v[5:6]
	s_branch .LBB12_1821
.LBB12_1818:
	s_mov_b32 s0, -1
                                        ; implicit-def: $vgpr56_vgpr57
	s_branch .LBB12_1827
.LBB12_1819:
	s_mov_b32 s0, -1
                                        ; implicit-def: $vgpr56_vgpr57
	s_branch .LBB12_1824
.LBB12_1820:
	s_mov_b32 s0, -1
                                        ; implicit-def: $vgpr56_vgpr57
.LBB12_1821:
	s_delay_alu instid0(SALU_CYCLE_1)
	s_and_not1_b32 vcc_lo, exec_lo, s0
	s_cbranch_vccnz .LBB12_1823
; %bb.1822:
	global_load_b32 v2, v[0:1], off
	s_waitcnt vmcnt(0)
	v_cvt_f64_i32_e32 v[56:57], v2
.LBB12_1823:
	s_mov_b32 s0, 0
.LBB12_1824:
	s_delay_alu instid0(SALU_CYCLE_1)
	s_and_not1_b32 vcc_lo, exec_lo, s0
	s_cbranch_vccnz .LBB12_1826
; %bb.1825:
	global_load_i16 v2, v[0:1], off
	s_waitcnt vmcnt(0)
	v_cvt_f64_i32_e32 v[56:57], v2
.LBB12_1826:
	s_mov_b32 s0, 0
.LBB12_1827:
	s_delay_alu instid0(SALU_CYCLE_1)
	s_and_not1_b32 vcc_lo, exec_lo, s0
	s_cbranch_vccnz .LBB12_1833
; %bb.1828:
	v_cmp_gt_i16_e64 s0, s53, 0
	s_delay_alu instid0(VALU_DEP_1)
	s_and_b32 vcc_lo, exec_lo, s0
	s_mov_b32 s0, 0
	s_cbranch_vccz .LBB12_1830
; %bb.1829:
	global_load_i8 v2, v[0:1], off
	s_waitcnt vmcnt(0)
	v_cvt_f64_i32_e32 v[56:57], v2
	s_branch .LBB12_1831
.LBB12_1830:
	s_mov_b32 s0, -1
                                        ; implicit-def: $vgpr56_vgpr57
.LBB12_1831:
	s_delay_alu instid0(SALU_CYCLE_1)
	s_and_not1_b32 vcc_lo, exec_lo, s0
	s_cbranch_vccnz .LBB12_1833
; %bb.1832:
	global_load_u8 v0, v[0:1], off
	s_waitcnt vmcnt(0)
	v_cvt_f64_u32_e32 v[56:57], v0
.LBB12_1833:
	s_branch .LBB12_1904
.LBB12_1834:
	s_trap 2
	s_sendmsg_rtn_b32 s0, sendmsg(MSG_RTN_GET_DOORBELL)
	s_mov_b32 ttmp2, m0
	s_waitcnt lgkmcnt(0)
	s_and_b32 s0, s0, 0x3ff
	s_delay_alu instid0(SALU_CYCLE_1) | instskip(NEXT) | instid1(SALU_CYCLE_1)
	s_bitset1_b32 s0, 10
	s_mov_b32 m0, s0
	s_sendmsg sendmsg(MSG_INTERRUPT)
	s_mov_b32 m0, ttmp2
.LBB12_1835:                            ; =>This Inner Loop Header: Depth=1
	s_sethalt 5
	s_branch .LBB12_1835
.LBB12_1836:
	s_mov_b32 s2, -1
	s_mov_b32 s0, 0
.LBB12_1837:
                                        ; implicit-def: $vgpr56_vgpr57
.LBB12_1838:
	s_and_b32 vcc_lo, exec_lo, s1
	s_cbranch_vccz .LBB12_1842
; %bb.1839:
	v_cmp_eq_u16_e64 s1, s53, 44
	s_delay_alu instid0(VALU_DEP_1)
	s_and_b32 vcc_lo, exec_lo, s1
	s_cbranch_vccz .LBB12_1841
; %bb.1840:
	global_load_u8 v4, v[0:1], off
	s_mov_b32 s2, 0
	s_mov_b32 s0, -1
	s_waitcnt vmcnt(0)
	v_cmp_ne_u32_e32 vcc_lo, 0xff, v4
	v_lshlrev_b32_e32 v2, 23, v4
	s_delay_alu instid0(VALU_DEP_1) | instskip(NEXT) | instid1(VALU_DEP_1)
	v_cvt_f64_f32_e32 v[2:3], v2
	v_cndmask_b32_e32 v3, 0x7ff80000, v3, vcc_lo
	s_delay_alu instid0(VALU_DEP_2) | instskip(SKIP_1) | instid1(VALU_DEP_3)
	v_cndmask_b32_e32 v2, 0x20000000, v2, vcc_lo
	v_cmp_ne_u32_e32 vcc_lo, 0, v4
	v_cndmask_b32_e32 v57, 0x38000000, v3, vcc_lo
	s_delay_alu instid0(VALU_DEP_3)
	v_cndmask_b32_e32 v56, 0, v2, vcc_lo
	s_branch .LBB12_1842
.LBB12_1841:
	s_mov_b32 s2, -1
                                        ; implicit-def: $vgpr56_vgpr57
.LBB12_1842:
	s_mov_b32 s1, 0
.LBB12_1843:
	s_delay_alu instid0(SALU_CYCLE_1)
	s_and_b32 vcc_lo, exec_lo, s1
	s_cbranch_vccz .LBB12_1847
; %bb.1844:
	v_cmp_eq_u16_e64 s1, s53, 29
	s_delay_alu instid0(VALU_DEP_1)
	s_and_b32 vcc_lo, exec_lo, s1
	s_cbranch_vccz .LBB12_1846
; %bb.1845:
	global_load_b64 v[2:3], v[0:1], off
	s_mov_b32 s2, 0
	s_mov_b32 s0, -1
	s_mov_b32 s1, 0
	s_waitcnt vmcnt(0)
	v_cvt_f64_u32_e32 v[3:4], v3
	v_cvt_f64_u32_e32 v[5:6], v2
	s_delay_alu instid0(VALU_DEP_2) | instskip(NEXT) | instid1(VALU_DEP_1)
	v_ldexp_f64 v[3:4], v[3:4], 32
	v_add_f64 v[56:57], v[3:4], v[5:6]
	s_branch .LBB12_1848
.LBB12_1846:
	s_mov_b32 s2, -1
                                        ; implicit-def: $vgpr56_vgpr57
.LBB12_1847:
	s_mov_b32 s1, 0
.LBB12_1848:
	s_delay_alu instid0(SALU_CYCLE_1)
	s_and_b32 vcc_lo, exec_lo, s1
	s_cbranch_vccz .LBB12_1868
; %bb.1849:
	v_cmp_lt_i16_e64 s0, s53, 27
	s_delay_alu instid0(VALU_DEP_1)
	s_and_b32 vcc_lo, exec_lo, s0
	s_cbranch_vccnz .LBB12_1852
; %bb.1850:
	v_cmp_gt_i16_e64 s0, s53, 27
	s_delay_alu instid0(VALU_DEP_1)
	s_and_b32 vcc_lo, exec_lo, s0
	s_cbranch_vccz .LBB12_1853
; %bb.1851:
	global_load_b32 v2, v[0:1], off
	s_mov_b32 s0, 0
	s_waitcnt vmcnt(0)
	v_cvt_f64_u32_e32 v[56:57], v2
	s_branch .LBB12_1854
.LBB12_1852:
	s_mov_b32 s0, -1
                                        ; implicit-def: $vgpr56_vgpr57
	s_branch .LBB12_1857
.LBB12_1853:
	s_mov_b32 s0, -1
                                        ; implicit-def: $vgpr56_vgpr57
.LBB12_1854:
	s_delay_alu instid0(SALU_CYCLE_1)
	s_and_not1_b32 vcc_lo, exec_lo, s0
	s_cbranch_vccnz .LBB12_1856
; %bb.1855:
	global_load_u16 v2, v[0:1], off
	s_waitcnt vmcnt(0)
	v_cvt_f64_u32_e32 v[56:57], v2
.LBB12_1856:
	s_mov_b32 s0, 0
.LBB12_1857:
	s_delay_alu instid0(SALU_CYCLE_1)
	s_and_not1_b32 vcc_lo, exec_lo, s0
	s_cbranch_vccnz .LBB12_1867
; %bb.1858:
	global_load_u8 v2, v[0:1], off
	s_mov_b32 s4, 0
	s_mov_b32 s5, exec_lo
                                        ; implicit-def: $sgpr0_sgpr1
	s_waitcnt vmcnt(0)
	v_cmpx_lt_i16_e32 0x7f, v2
	s_xor_b32 s5, exec_lo, s5
	s_cbranch_execz .LBB12_1862
; %bb.1859:
	s_mov_b32 s6, -1
	s_mov_b32 s4, exec_lo
                                        ; implicit-def: $sgpr0_sgpr1
	v_cmpx_eq_u16_e32 0x80, v2
; %bb.1860:
	s_mov_b32 s1, 0x7ff80000
	s_brev_b32 s0, 4
	s_xor_b32 s6, exec_lo, -1
; %bb.1861:
	s_or_b32 exec_lo, exec_lo, s4
	s_delay_alu instid0(SALU_CYCLE_1)
	s_and_b32 s4, s6, exec_lo
.LBB12_1862:
	s_or_saveexec_b32 s5, s5
	v_dual_mov_b32 v57, s1 :: v_dual_mov_b32 v56, s0
	s_xor_b32 exec_lo, exec_lo, s5
; %bb.1863:
	v_cmp_ne_u16_e32 vcc_lo, 0, v2
	v_mov_b32_e32 v56, 0
	v_mov_b32_e32 v57, 0
	s_and_not1_b32 s0, s4, exec_lo
	s_and_b32 s1, vcc_lo, exec_lo
	s_delay_alu instid0(SALU_CYCLE_1)
	s_or_b32 s4, s0, s1
; %bb.1864:
	s_or_b32 exec_lo, exec_lo, s5
	s_and_saveexec_b32 s0, s4
	s_cbranch_execz .LBB12_1866
; %bb.1865:
	v_and_b32_e32 v3, 0xffff, v2
	v_lshlrev_b32_e32 v2, 24, v2
	s_delay_alu instid0(VALU_DEP_2) | instskip(NEXT) | instid1(VALU_DEP_2)
	v_and_b32_e32 v4, 7, v3
	v_and_b32_e32 v2, 0x80000000, v2
	s_delay_alu instid0(VALU_DEP_2) | instskip(NEXT) | instid1(VALU_DEP_1)
	v_clz_i32_u32_e32 v5, v4
	v_min_u32_e32 v5, 32, v5
	s_delay_alu instid0(VALU_DEP_1) | instskip(SKIP_1) | instid1(VALU_DEP_2)
	v_subrev_nc_u32_e32 v6, 28, v5
	v_sub_nc_u32_e32 v5, 29, v5
	v_lshlrev_b32_e32 v6, v6, v3
	v_bfe_u32 v3, v3, 3, 4
	s_delay_alu instid0(VALU_DEP_2) | instskip(NEXT) | instid1(VALU_DEP_2)
	v_and_b32_e32 v6, 7, v6
	v_cmp_eq_u32_e32 vcc_lo, 0, v3
	s_delay_alu instid0(VALU_DEP_2) | instskip(NEXT) | instid1(VALU_DEP_1)
	v_dual_cndmask_b32 v3, v3, v5 :: v_dual_cndmask_b32 v4, v4, v6
	v_lshl_add_u32 v3, v3, 23, 0x3b800000
	s_delay_alu instid0(VALU_DEP_2) | instskip(NEXT) | instid1(VALU_DEP_1)
	v_lshlrev_b32_e32 v4, 20, v4
	v_or3_b32 v2, v2, v3, v4
	s_delay_alu instid0(VALU_DEP_1)
	v_cvt_f64_f32_e32 v[56:57], v2
.LBB12_1866:
	s_or_b32 exec_lo, exec_lo, s0
.LBB12_1867:
	s_mov_b32 s0, -1
.LBB12_1868:
	s_branch .LBB12_1899
.LBB12_1869:
	v_cmp_gt_i16_e64 s1, s53, 22
	s_delay_alu instid0(VALU_DEP_1)
	s_and_b32 vcc_lo, exec_lo, s1
	s_cbranch_vccz .LBB12_1881
; %bb.1870:
	v_cmp_lt_i16_e64 s0, s53, 24
	s_delay_alu instid0(VALU_DEP_1)
	s_and_b32 vcc_lo, exec_lo, s0
	s_cbranch_vccnz .LBB12_1882
; %bb.1871:
	v_cmp_gt_i16_e64 s0, s53, 24
	s_delay_alu instid0(VALU_DEP_1)
	s_and_b32 vcc_lo, exec_lo, s0
	s_cbranch_vccz .LBB12_1883
; %bb.1872:
	global_load_u8 v2, v[0:1], off
	s_mov_b32 s4, exec_lo
                                        ; implicit-def: $sgpr0_sgpr1
	s_waitcnt vmcnt(0)
	v_cmpx_lt_i16_e32 0x7f, v2
	s_xor_b32 s4, exec_lo, s4
	s_cbranch_execz .LBB12_1876
; %bb.1873:
	s_mov_b32 s5, -1
	s_mov_b32 s3, exec_lo
                                        ; implicit-def: $sgpr0_sgpr1
	v_cmpx_eq_u16_e32 0x80, v2
; %bb.1874:
	s_mov_b32 s1, 0x7ff80000
	s_brev_b32 s0, 4
	s_xor_b32 s5, exec_lo, -1
; %bb.1875:
	s_or_b32 exec_lo, exec_lo, s3
	s_delay_alu instid0(SALU_CYCLE_1)
	s_and_b32 s3, s5, exec_lo
.LBB12_1876:
	s_or_saveexec_b32 s4, s4
	v_dual_mov_b32 v57, s1 :: v_dual_mov_b32 v56, s0
	s_xor_b32 exec_lo, exec_lo, s4
; %bb.1877:
	v_cmp_ne_u16_e32 vcc_lo, 0, v2
	v_mov_b32_e32 v56, 0
	v_mov_b32_e32 v57, 0
	s_and_not1_b32 s0, s3, exec_lo
	s_and_b32 s1, vcc_lo, exec_lo
	s_delay_alu instid0(SALU_CYCLE_1)
	s_or_b32 s3, s0, s1
; %bb.1878:
	s_or_b32 exec_lo, exec_lo, s4
	s_and_saveexec_b32 s0, s3
	s_cbranch_execz .LBB12_1880
; %bb.1879:
	v_and_b32_e32 v3, 0xffff, v2
	v_lshlrev_b32_e32 v2, 24, v2
	s_delay_alu instid0(VALU_DEP_2) | instskip(NEXT) | instid1(VALU_DEP_2)
	v_and_b32_e32 v4, 3, v3
	v_and_b32_e32 v2, 0x80000000, v2
	s_delay_alu instid0(VALU_DEP_2) | instskip(NEXT) | instid1(VALU_DEP_1)
	v_clz_i32_u32_e32 v5, v4
	v_min_u32_e32 v5, 32, v5
	s_delay_alu instid0(VALU_DEP_1) | instskip(SKIP_1) | instid1(VALU_DEP_2)
	v_subrev_nc_u32_e32 v6, 29, v5
	v_sub_nc_u32_e32 v5, 30, v5
	v_lshlrev_b32_e32 v6, v6, v3
	v_bfe_u32 v3, v3, 2, 5
	s_delay_alu instid0(VALU_DEP_2) | instskip(NEXT) | instid1(VALU_DEP_2)
	v_and_b32_e32 v6, 3, v6
	v_cmp_eq_u32_e32 vcc_lo, 0, v3
	s_delay_alu instid0(VALU_DEP_2) | instskip(NEXT) | instid1(VALU_DEP_1)
	v_dual_cndmask_b32 v3, v3, v5 :: v_dual_cndmask_b32 v4, v4, v6
	v_lshl_add_u32 v3, v3, 23, 0x37800000
	s_delay_alu instid0(VALU_DEP_2) | instskip(NEXT) | instid1(VALU_DEP_1)
	v_lshlrev_b32_e32 v4, 21, v4
	v_or3_b32 v2, v2, v3, v4
	s_delay_alu instid0(VALU_DEP_1)
	v_cvt_f64_f32_e32 v[56:57], v2
.LBB12_1880:
	s_or_b32 exec_lo, exec_lo, s0
	s_mov_b32 s0, 0
	s_branch .LBB12_1884
.LBB12_1881:
	s_mov_b32 s1, -1
                                        ; implicit-def: $vgpr56_vgpr57
	s_branch .LBB12_1890
.LBB12_1882:
	s_mov_b32 s0, -1
                                        ; implicit-def: $vgpr56_vgpr57
	s_branch .LBB12_1887
.LBB12_1883:
	s_mov_b32 s0, -1
                                        ; implicit-def: $vgpr56_vgpr57
.LBB12_1884:
	s_delay_alu instid0(SALU_CYCLE_1)
	s_and_b32 vcc_lo, exec_lo, s0
	s_cbranch_vccz .LBB12_1886
; %bb.1885:
	global_load_u8 v2, v[0:1], off
	s_waitcnt vmcnt(0)
	v_lshlrev_b32_e32 v2, 24, v2
	s_delay_alu instid0(VALU_DEP_1) | instskip(NEXT) | instid1(VALU_DEP_1)
	v_and_b32_e32 v3, 0x7f000000, v2
	v_clz_i32_u32_e32 v4, v3
	v_add_nc_u32_e32 v6, 0x1000000, v3
	v_cmp_ne_u32_e32 vcc_lo, 0, v3
	s_delay_alu instid0(VALU_DEP_3) | instskip(NEXT) | instid1(VALU_DEP_1)
	v_min_u32_e32 v4, 32, v4
	v_sub_nc_u32_e64 v4, v4, 4 clamp
	s_delay_alu instid0(VALU_DEP_1) | instskip(SKIP_1) | instid1(VALU_DEP_2)
	v_lshlrev_b32_e32 v5, v4, v3
	v_lshlrev_b32_e32 v4, 23, v4
	v_lshrrev_b32_e32 v5, 4, v5
	s_delay_alu instid0(VALU_DEP_1) | instskip(SKIP_1) | instid1(VALU_DEP_2)
	v_sub_nc_u32_e32 v4, v5, v4
	v_ashrrev_i32_e32 v5, 8, v6
	v_add_nc_u32_e32 v4, 0x3c000000, v4
	s_delay_alu instid0(VALU_DEP_1) | instskip(NEXT) | instid1(VALU_DEP_1)
	v_and_or_b32 v4, 0x7f800000, v5, v4
	v_cndmask_b32_e32 v3, 0, v4, vcc_lo
	s_delay_alu instid0(VALU_DEP_1) | instskip(NEXT) | instid1(VALU_DEP_1)
	v_and_or_b32 v2, 0x80000000, v2, v3
	v_cvt_f64_f32_e32 v[56:57], v2
.LBB12_1886:
	s_mov_b32 s0, 0
.LBB12_1887:
	s_delay_alu instid0(SALU_CYCLE_1)
	s_and_not1_b32 vcc_lo, exec_lo, s0
	s_cbranch_vccnz .LBB12_1889
; %bb.1888:
	global_load_u8 v2, v[0:1], off
	s_waitcnt vmcnt(0)
	v_lshlrev_b32_e32 v3, 25, v2
	v_lshlrev_b16 v2, 8, v2
	s_delay_alu instid0(VALU_DEP_2) | instskip(NEXT) | instid1(VALU_DEP_2)
	v_lshrrev_b32_e32 v4, 4, v3
	v_and_or_b32 v5, 0x7f00, v2, 0.5
	v_bfe_i32 v2, v2, 0, 16
	s_delay_alu instid0(VALU_DEP_3) | instskip(NEXT) | instid1(VALU_DEP_1)
	v_or_b32_e32 v4, 0x70000000, v4
	v_dual_add_f32 v5, -0.5, v5 :: v_dual_mul_f32 v4, 0x7800000, v4
	v_cmp_gt_u32_e32 vcc_lo, 0x8000000, v3
	s_delay_alu instid0(VALU_DEP_2) | instskip(NEXT) | instid1(VALU_DEP_1)
	v_cndmask_b32_e32 v3, v4, v5, vcc_lo
	v_and_or_b32 v2, 0x80000000, v2, v3
	s_delay_alu instid0(VALU_DEP_1)
	v_cvt_f64_f32_e32 v[56:57], v2
.LBB12_1889:
	s_mov_b32 s1, 0
	s_mov_b32 s0, -1
.LBB12_1890:
	s_and_not1_b32 vcc_lo, exec_lo, s1
	s_mov_b32 s3, 0
	s_cbranch_vccnz .LBB12_1899
; %bb.1891:
	v_cmp_gt_i16_e64 s1, s53, 14
	s_delay_alu instid0(VALU_DEP_1)
	s_and_b32 vcc_lo, exec_lo, s1
	s_cbranch_vccz .LBB12_1894
; %bb.1892:
	v_cmp_eq_u16_e64 s1, s53, 15
	s_delay_alu instid0(VALU_DEP_1)
	s_and_b32 vcc_lo, exec_lo, s1
	s_cbranch_vccz .LBB12_1895
; %bb.1893:
	global_load_u16 v2, v[0:1], off
	s_mov_b32 s2, 0
	s_mov_b32 s0, -1
	s_waitcnt vmcnt(0)
	v_lshlrev_b32_e32 v2, 16, v2
	s_delay_alu instid0(VALU_DEP_1)
	v_cvt_f64_f32_e32 v[56:57], v2
	s_branch .LBB12_1896
.LBB12_1894:
	s_mov_b32 s1, -1
                                        ; implicit-def: $vgpr56_vgpr57
	s_branch .LBB12_1897
.LBB12_1895:
	s_mov_b32 s2, -1
                                        ; implicit-def: $vgpr56_vgpr57
.LBB12_1896:
	s_mov_b32 s1, 0
.LBB12_1897:
	s_delay_alu instid0(SALU_CYCLE_1)
	s_and_b32 vcc_lo, exec_lo, s1
	s_cbranch_vccz .LBB12_1899
; %bb.1898:
	v_cmp_ne_u16_e64 s2, s53, 11
	s_mov_b32 s3, -1
                                        ; implicit-def: $vgpr56_vgpr57
.LBB12_1899:
	s_delay_alu instid0(VALU_DEP_1)
	s_and_b32 vcc_lo, exec_lo, s2
	s_cbranch_vccnz .LBB12_1927
; %bb.1900:
	s_and_not1_b32 vcc_lo, exec_lo, s3
	s_cbranch_vccnz .LBB12_1902
.LBB12_1901:
	global_load_u8 v2, v[0:1], off
	v_mov_b32_e32 v56, 0
	s_mov_b32 s0, -1
	s_waitcnt vmcnt(0)
	v_cmp_ne_u16_e32 vcc_lo, 0, v2
	v_cndmask_b32_e64 v57, 0, 0x3ff00000, vcc_lo
.LBB12_1902:
.LBB12_1903:
	s_and_not1_b32 vcc_lo, exec_lo, s0
	s_cbranch_vccnz .LBB12_2727
.LBB12_1904:
	s_load_b32 s0, s[56:57], 0x1a0
	s_waitcnt lgkmcnt(0)
	s_bitcmp1_b32 s0, 0
	s_cselect_b32 s0, -1, 0
	s_delay_alu instid0(SALU_CYCLE_1)
	s_xor_b32 s54, s0, -1
	s_mov_b32 s0, -1
	s_and_b32 vcc_lo, exec_lo, s54
	s_cbranch_vccz .LBB12_1906
; %bb.1905:
	s_waitcnt vmcnt(0)
	s_delay_alu instid0(VALU_DEP_4) | instskip(NEXT) | instid1(VALU_DEP_2)
	v_dual_mov_b32 v0, v45 :: v_dual_mov_b32 v1, v46
	v_dual_mov_b32 v2, v56 :: v_dual_mov_b32 v3, v57
	s_getpc_b64 s[0:1]
	s_add_u32 s0, s0, _ZN12_GLOBAL__N_111calc_igammaIdEET_S1_S1_@rel32@lo+4
	s_addc_u32 s1, s1, _ZN12_GLOBAL__N_111calc_igammaIdEET_S1_S1_@rel32@hi+12
	s_delay_alu instid0(SALU_CYCLE_1)
	s_swappc_b64 s[30:31], s[0:1]
	v_dual_mov_b32 v43, v0 :: v_dual_mov_b32 v44, v1
	s_cbranch_execz .LBB12_1907
	s_branch .LBB12_1908
.LBB12_1906:
                                        ; implicit-def: $vgpr43_vgpr44
	s_and_not1_b32 vcc_lo, exec_lo, s0
	s_cbranch_vccnz .LBB12_1908
.LBB12_1907:
	s_waitcnt vmcnt(0)
	s_delay_alu instid0(VALU_DEP_4) | instskip(NEXT) | instid1(VALU_DEP_2)
	v_dual_mov_b32 v0, v45 :: v_dual_mov_b32 v1, v46
	v_dual_mov_b32 v2, v56 :: v_dual_mov_b32 v3, v57
	s_getpc_b64 s[0:1]
	s_add_u32 s0, s0, _ZN12_GLOBAL__N_112calc_igammacIdEET_S1_S1_@rel32@lo+4
	s_addc_u32 s1, s1, _ZN12_GLOBAL__N_112calc_igammacIdEET_S1_S1_@rel32@hi+12
	s_delay_alu instid0(SALU_CYCLE_1)
	s_swappc_b64 s[30:31], s[0:1]
	v_dual_mov_b32 v43, v0 :: v_dual_mov_b32 v44, v1
.LBB12_1908:
	v_cmp_gt_i16_e32 vcc_lo, 11, v47
	v_add_co_u32 v0, s0, s46, v59
	s_delay_alu instid0(VALU_DEP_1)
	v_add_co_ci_u32_e64 v1, null, s47, 0, s0
	s_mov_b32 s0, 0
	s_cbranch_vccnz .LBB12_1915
; %bb.1909:
	v_cmp_lt_i16_e32 vcc_lo, 25, v47
	s_mov_b32 s3, 0
	s_cbranch_vccz .LBB12_1921
; %bb.1910:
	v_cmp_lt_i16_e32 vcc_lo, 28, v47
	s_cbranch_vccz .LBB12_1923
; %bb.1911:
	v_cmp_lt_i16_e32 vcc_lo, 43, v47
	;; [unrolled: 3-line block ×3, first 2 shown]
	s_cbranch_vccz .LBB12_1931
; %bb.1913:
	v_cmp_eq_u16_e32 vcc_lo, 46, v47
	s_mov_b32 s1, 0
	s_cbranch_vccz .LBB12_1974
; %bb.1914:
	global_load_b32 v2, v[0:1], off
	s_mov_b32 s2, 0
	s_mov_b32 s0, -1
	s_waitcnt vmcnt(0)
	v_lshlrev_b32_e32 v2, 16, v2
	s_delay_alu instid0(VALU_DEP_1)
	v_cvt_f64_f32_e32 v[45:46], v2
	s_branch .LBB12_1976
.LBB12_1915:
                                        ; implicit-def: $vgpr45_vgpr46
	s_cbranch_execz .LBB12_2042
; %bb.1916:
	v_cmp_gt_i16_e32 vcc_lo, 5, v47
	s_cbranch_vccnz .LBB12_1922
; %bb.1917:
	v_cmp_gt_i16_e32 vcc_lo, 8, v47
	s_cbranch_vccnz .LBB12_1924
	;; [unrolled: 3-line block ×3, first 2 shown]
; %bb.1919:
	v_cmp_lt_i16_e32 vcc_lo, 9, v47
	s_cbranch_vccz .LBB12_1932
; %bb.1920:
	global_load_b64 v[45:46], v[0:1], off
	s_mov_b32 s0, 0
	s_branch .LBB12_1933
.LBB12_1921:
	s_mov_b32 s1, -1
	s_mov_b32 s2, 0
                                        ; implicit-def: $vgpr45_vgpr46
	s_branch .LBB12_2007
.LBB12_1922:
	s_mov_b32 s0, -1
                                        ; implicit-def: $vgpr45_vgpr46
	s_branch .LBB12_1951
.LBB12_1923:
	s_mov_b32 s1, -1
	s_mov_b32 s2, 0
                                        ; implicit-def: $vgpr45_vgpr46
	s_branch .LBB12_1986
.LBB12_1924:
	s_mov_b32 s0, -1
                                        ; implicit-def: $vgpr45_vgpr46
	s_branch .LBB12_1939
.LBB12_1925:
	s_mov_b32 s1, -1
	s_mov_b32 s2, 0
                                        ; implicit-def: $vgpr45_vgpr46
	s_branch .LBB12_1981
.LBB12_1926:
	s_mov_b32 s0, -1
                                        ; implicit-def: $vgpr45_vgpr46
	s_branch .LBB12_1936
.LBB12_1927:
	s_cbranch_execnz .LBB12_1972
; %bb.1928:
	s_or_b32 s43, s43, exec_lo
                                        ; implicit-def: $vgpr56_vgpr57
	s_cbranch_execz .LBB12_1901
	s_branch .LBB12_1902
.LBB12_1929:
	s_or_saveexec_b32 s6, s6
                                        ; implicit-def: $sgpr7
	s_delay_alu instid0(SALU_CYCLE_1)
	s_xor_b32 exec_lo, exec_lo, s6
	s_cbranch_execz .LBB12_1524
.LBB12_1930:
	v_add_f32_e64 v3, 0x42800000, |v2|
	s_and_not1_b32 s5, s5, exec_lo
	s_mov_b32 s7, 0
	s_delay_alu instid0(VALU_DEP_1) | instskip(NEXT) | instid1(VALU_DEP_1)
	v_and_b32_e32 v3, 0xff, v3
	v_cmp_ne_u32_e32 vcc_lo, 0, v3
	s_and_b32 s8, vcc_lo, exec_lo
	s_delay_alu instid0(SALU_CYCLE_1)
	s_or_b32 s5, s5, s8
	s_or_b32 exec_lo, exec_lo, s6
	v_mov_b32_e32 v7, s7
	s_and_saveexec_b32 s6, s5
	s_cbranch_execnz .LBB12_1525
	s_branch .LBB12_1526
.LBB12_1931:
	s_mov_b32 s1, -1
	s_mov_b32 s2, 0
	s_branch .LBB12_1975
.LBB12_1932:
	s_mov_b32 s0, -1
                                        ; implicit-def: $vgpr45_vgpr46
.LBB12_1933:
	s_delay_alu instid0(SALU_CYCLE_1)
	s_and_not1_b32 vcc_lo, exec_lo, s0
	s_cbranch_vccnz .LBB12_1935
; %bb.1934:
	global_load_b32 v2, v[0:1], off
	s_waitcnt vmcnt(0)
	v_cvt_f64_f32_e32 v[45:46], v2
.LBB12_1935:
	s_mov_b32 s0, 0
.LBB12_1936:
	s_delay_alu instid0(SALU_CYCLE_1)
	s_and_not1_b32 vcc_lo, exec_lo, s0
	s_cbranch_vccnz .LBB12_1938
; %bb.1937:
	global_load_b32 v2, v[0:1], off
	s_waitcnt vmcnt(0)
	v_cvt_f32_f16_e32 v2, v2
	s_delay_alu instid0(VALU_DEP_1)
	v_cvt_f64_f32_e32 v[45:46], v2
.LBB12_1938:
	s_mov_b32 s0, 0
.LBB12_1939:
	s_delay_alu instid0(SALU_CYCLE_1)
	s_and_not1_b32 vcc_lo, exec_lo, s0
	s_cbranch_vccnz .LBB12_1950
; %bb.1940:
	v_cmp_gt_i16_e32 vcc_lo, 6, v47
	s_cbranch_vccnz .LBB12_1943
; %bb.1941:
	v_cmp_lt_i16_e32 vcc_lo, 6, v47
	s_cbranch_vccz .LBB12_1944
; %bb.1942:
	global_load_b64 v[45:46], v[0:1], off
	s_mov_b32 s0, 0
	s_branch .LBB12_1945
.LBB12_1943:
	s_mov_b32 s0, -1
                                        ; implicit-def: $vgpr45_vgpr46
	s_branch .LBB12_1948
.LBB12_1944:
	s_mov_b32 s0, -1
                                        ; implicit-def: $vgpr45_vgpr46
.LBB12_1945:
	s_delay_alu instid0(SALU_CYCLE_1)
	s_and_not1_b32 vcc_lo, exec_lo, s0
	s_cbranch_vccnz .LBB12_1947
; %bb.1946:
	global_load_b32 v2, v[0:1], off
	s_waitcnt vmcnt(0)
	v_cvt_f64_f32_e32 v[45:46], v2
.LBB12_1947:
	s_mov_b32 s0, 0
.LBB12_1948:
	s_delay_alu instid0(SALU_CYCLE_1)
	s_and_not1_b32 vcc_lo, exec_lo, s0
	s_cbranch_vccnz .LBB12_1950
; %bb.1949:
	global_load_u16 v2, v[0:1], off
	s_waitcnt vmcnt(0)
	v_cvt_f32_f16_e32 v2, v2
	s_delay_alu instid0(VALU_DEP_1)
	v_cvt_f64_f32_e32 v[45:46], v2
.LBB12_1950:
	s_mov_b32 s0, 0
.LBB12_1951:
	s_delay_alu instid0(SALU_CYCLE_1)
	s_and_not1_b32 vcc_lo, exec_lo, s0
	s_cbranch_vccnz .LBB12_1971
; %bb.1952:
	v_cmp_gt_i16_e32 vcc_lo, 2, v47
	s_cbranch_vccnz .LBB12_1956
; %bb.1953:
	v_cmp_gt_i16_e32 vcc_lo, 3, v47
	s_cbranch_vccnz .LBB12_1957
; %bb.1954:
	v_cmp_lt_i16_e32 vcc_lo, 3, v47
	s_cbranch_vccz .LBB12_1958
; %bb.1955:
	global_load_b64 v[2:3], v[0:1], off
	s_mov_b32 s0, 0
	s_waitcnt vmcnt(0)
	v_cvt_f64_i32_e32 v[3:4], v3
	v_cvt_f64_u32_e32 v[5:6], v2
	s_delay_alu instid0(VALU_DEP_2) | instskip(NEXT) | instid1(VALU_DEP_1)
	v_ldexp_f64 v[3:4], v[3:4], 32
	v_add_f64 v[45:46], v[3:4], v[5:6]
	s_branch .LBB12_1959
.LBB12_1956:
	s_mov_b32 s0, -1
                                        ; implicit-def: $vgpr45_vgpr46
	s_branch .LBB12_1965
.LBB12_1957:
	s_mov_b32 s0, -1
                                        ; implicit-def: $vgpr45_vgpr46
	s_branch .LBB12_1962
.LBB12_1958:
	s_mov_b32 s0, -1
                                        ; implicit-def: $vgpr45_vgpr46
.LBB12_1959:
	s_delay_alu instid0(SALU_CYCLE_1)
	s_and_not1_b32 vcc_lo, exec_lo, s0
	s_cbranch_vccnz .LBB12_1961
; %bb.1960:
	global_load_b32 v2, v[0:1], off
	s_waitcnt vmcnt(0)
	v_cvt_f64_i32_e32 v[45:46], v2
.LBB12_1961:
	s_mov_b32 s0, 0
.LBB12_1962:
	s_delay_alu instid0(SALU_CYCLE_1)
	s_and_not1_b32 vcc_lo, exec_lo, s0
	s_cbranch_vccnz .LBB12_1964
; %bb.1963:
	global_load_i16 v2, v[0:1], off
	s_waitcnt vmcnt(0)
	v_cvt_f64_i32_e32 v[45:46], v2
.LBB12_1964:
	s_mov_b32 s0, 0
.LBB12_1965:
	s_delay_alu instid0(SALU_CYCLE_1)
	s_and_not1_b32 vcc_lo, exec_lo, s0
	s_cbranch_vccnz .LBB12_1971
; %bb.1966:
	v_cmp_lt_i16_e32 vcc_lo, 0, v47
	s_mov_b32 s0, 0
	s_cbranch_vccz .LBB12_1968
; %bb.1967:
	global_load_i8 v2, v[0:1], off
	s_waitcnt vmcnt(0)
	v_cvt_f64_i32_e32 v[45:46], v2
	s_branch .LBB12_1969
.LBB12_1968:
	s_mov_b32 s0, -1
                                        ; implicit-def: $vgpr45_vgpr46
.LBB12_1969:
	s_delay_alu instid0(SALU_CYCLE_1)
	s_and_not1_b32 vcc_lo, exec_lo, s0
	s_cbranch_vccnz .LBB12_1971
; %bb.1970:
	global_load_u8 v0, v[0:1], off
	s_waitcnt vmcnt(0)
	v_cvt_f64_u32_e32 v[45:46], v0
.LBB12_1971:
	s_branch .LBB12_2043
.LBB12_1972:
	s_trap 2
	s_sendmsg_rtn_b32 s0, sendmsg(MSG_RTN_GET_DOORBELL)
	s_mov_b32 ttmp2, m0
	s_waitcnt lgkmcnt(0)
	s_and_b32 s0, s0, 0x3ff
	s_delay_alu instid0(SALU_CYCLE_1) | instskip(NEXT) | instid1(SALU_CYCLE_1)
	s_bitset1_b32 s0, 10
	s_mov_b32 m0, s0
	s_sendmsg sendmsg(MSG_INTERRUPT)
	s_mov_b32 m0, ttmp2
.LBB12_1973:                            ; =>This Inner Loop Header: Depth=1
	s_sethalt 5
	s_branch .LBB12_1973
.LBB12_1974:
	s_mov_b32 s2, -1
.LBB12_1975:
                                        ; implicit-def: $vgpr45_vgpr46
.LBB12_1976:
	s_and_b32 vcc_lo, exec_lo, s1
	s_cbranch_vccz .LBB12_1980
; %bb.1977:
	v_cmp_eq_u16_e32 vcc_lo, 44, v47
	s_cbranch_vccz .LBB12_1979
; %bb.1978:
	global_load_u8 v4, v[0:1], off
	s_mov_b32 s2, 0
	s_mov_b32 s0, -1
	s_waitcnt vmcnt(0)
	v_cmp_ne_u32_e32 vcc_lo, 0xff, v4
	v_lshlrev_b32_e32 v2, 23, v4
	s_delay_alu instid0(VALU_DEP_1) | instskip(NEXT) | instid1(VALU_DEP_1)
	v_cvt_f64_f32_e32 v[2:3], v2
	v_cndmask_b32_e32 v3, 0x7ff80000, v3, vcc_lo
	s_delay_alu instid0(VALU_DEP_2) | instskip(SKIP_1) | instid1(VALU_DEP_3)
	v_cndmask_b32_e32 v2, 0x20000000, v2, vcc_lo
	v_cmp_ne_u32_e32 vcc_lo, 0, v4
	v_cndmask_b32_e32 v46, 0x38000000, v3, vcc_lo
	s_delay_alu instid0(VALU_DEP_3)
	v_cndmask_b32_e32 v45, 0, v2, vcc_lo
	s_branch .LBB12_1980
.LBB12_1979:
	s_mov_b32 s2, -1
                                        ; implicit-def: $vgpr45_vgpr46
.LBB12_1980:
	s_mov_b32 s1, 0
.LBB12_1981:
	s_delay_alu instid0(SALU_CYCLE_1)
	s_and_b32 vcc_lo, exec_lo, s1
	s_cbranch_vccz .LBB12_1985
; %bb.1982:
	v_cmp_eq_u16_e32 vcc_lo, 29, v47
	s_cbranch_vccz .LBB12_1984
; %bb.1983:
	global_load_b64 v[2:3], v[0:1], off
	s_mov_b32 s2, 0
	s_mov_b32 s0, -1
	s_mov_b32 s1, 0
	s_waitcnt vmcnt(0)
	v_cvt_f64_u32_e32 v[3:4], v3
	v_cvt_f64_u32_e32 v[5:6], v2
	s_delay_alu instid0(VALU_DEP_2) | instskip(NEXT) | instid1(VALU_DEP_1)
	v_ldexp_f64 v[3:4], v[3:4], 32
	v_add_f64 v[45:46], v[3:4], v[5:6]
	s_branch .LBB12_1986
.LBB12_1984:
	s_mov_b32 s2, -1
                                        ; implicit-def: $vgpr45_vgpr46
.LBB12_1985:
	s_mov_b32 s1, 0
.LBB12_1986:
	s_delay_alu instid0(SALU_CYCLE_1)
	s_and_b32 vcc_lo, exec_lo, s1
	s_cbranch_vccz .LBB12_2006
; %bb.1987:
	v_cmp_gt_i16_e32 vcc_lo, 27, v47
	s_cbranch_vccnz .LBB12_1990
; %bb.1988:
	v_cmp_lt_i16_e32 vcc_lo, 27, v47
	s_cbranch_vccz .LBB12_1991
; %bb.1989:
	global_load_b32 v2, v[0:1], off
	s_mov_b32 s0, 0
	s_waitcnt vmcnt(0)
	v_cvt_f64_u32_e32 v[45:46], v2
	s_branch .LBB12_1992
.LBB12_1990:
	s_mov_b32 s0, -1
                                        ; implicit-def: $vgpr45_vgpr46
	s_branch .LBB12_1995
.LBB12_1991:
	s_mov_b32 s0, -1
                                        ; implicit-def: $vgpr45_vgpr46
.LBB12_1992:
	s_delay_alu instid0(SALU_CYCLE_1)
	s_and_not1_b32 vcc_lo, exec_lo, s0
	s_cbranch_vccnz .LBB12_1994
; %bb.1993:
	global_load_u16 v2, v[0:1], off
	s_waitcnt vmcnt(0)
	v_cvt_f64_u32_e32 v[45:46], v2
.LBB12_1994:
	s_mov_b32 s0, 0
.LBB12_1995:
	s_delay_alu instid0(SALU_CYCLE_1)
	s_and_not1_b32 vcc_lo, exec_lo, s0
	s_cbranch_vccnz .LBB12_2005
; %bb.1996:
	global_load_u8 v2, v[0:1], off
	s_mov_b32 s4, 0
	s_mov_b32 s5, exec_lo
                                        ; implicit-def: $sgpr0_sgpr1
	s_waitcnt vmcnt(0)
	v_cmpx_lt_i16_e32 0x7f, v2
	s_xor_b32 s5, exec_lo, s5
	s_cbranch_execz .LBB12_2000
; %bb.1997:
	s_mov_b32 s6, -1
	s_mov_b32 s4, exec_lo
                                        ; implicit-def: $sgpr0_sgpr1
	v_cmpx_eq_u16_e32 0x80, v2
; %bb.1998:
	s_mov_b32 s1, 0x7ff80000
	s_brev_b32 s0, 4
	s_xor_b32 s6, exec_lo, -1
; %bb.1999:
	s_or_b32 exec_lo, exec_lo, s4
	s_delay_alu instid0(SALU_CYCLE_1)
	s_and_b32 s4, s6, exec_lo
.LBB12_2000:
	s_or_saveexec_b32 s5, s5
	v_dual_mov_b32 v46, s1 :: v_dual_mov_b32 v45, s0
	s_xor_b32 exec_lo, exec_lo, s5
; %bb.2001:
	v_cmp_ne_u16_e32 vcc_lo, 0, v2
	v_mov_b32_e32 v45, 0
	v_mov_b32_e32 v46, 0
	s_and_not1_b32 s0, s4, exec_lo
	s_and_b32 s1, vcc_lo, exec_lo
	s_delay_alu instid0(SALU_CYCLE_1)
	s_or_b32 s4, s0, s1
; %bb.2002:
	s_or_b32 exec_lo, exec_lo, s5
	s_and_saveexec_b32 s0, s4
	s_cbranch_execz .LBB12_2004
; %bb.2003:
	v_and_b32_e32 v3, 0xffff, v2
	v_lshlrev_b32_e32 v2, 24, v2
	s_delay_alu instid0(VALU_DEP_2) | instskip(NEXT) | instid1(VALU_DEP_2)
	v_and_b32_e32 v4, 7, v3
	v_and_b32_e32 v2, 0x80000000, v2
	s_delay_alu instid0(VALU_DEP_2) | instskip(NEXT) | instid1(VALU_DEP_1)
	v_clz_i32_u32_e32 v5, v4
	v_min_u32_e32 v5, 32, v5
	s_delay_alu instid0(VALU_DEP_1) | instskip(SKIP_1) | instid1(VALU_DEP_2)
	v_subrev_nc_u32_e32 v6, 28, v5
	v_sub_nc_u32_e32 v5, 29, v5
	v_lshlrev_b32_e32 v6, v6, v3
	v_bfe_u32 v3, v3, 3, 4
	s_delay_alu instid0(VALU_DEP_2) | instskip(NEXT) | instid1(VALU_DEP_2)
	v_and_b32_e32 v6, 7, v6
	v_cmp_eq_u32_e32 vcc_lo, 0, v3
	s_delay_alu instid0(VALU_DEP_2) | instskip(NEXT) | instid1(VALU_DEP_1)
	v_dual_cndmask_b32 v3, v3, v5 :: v_dual_cndmask_b32 v4, v4, v6
	v_lshl_add_u32 v3, v3, 23, 0x3b800000
	s_delay_alu instid0(VALU_DEP_2) | instskip(NEXT) | instid1(VALU_DEP_1)
	v_lshlrev_b32_e32 v4, 20, v4
	v_or3_b32 v2, v2, v3, v4
	s_delay_alu instid0(VALU_DEP_1)
	v_cvt_f64_f32_e32 v[45:46], v2
.LBB12_2004:
	s_or_b32 exec_lo, exec_lo, s0
.LBB12_2005:
	s_mov_b32 s0, -1
.LBB12_2006:
	s_mov_b32 s1, 0
.LBB12_2007:
	s_delay_alu instid0(SALU_CYCLE_1)
	s_and_b32 vcc_lo, exec_lo, s1
	s_cbranch_vccz .LBB12_2038
; %bb.2008:
	v_cmp_lt_i16_e32 vcc_lo, 22, v47
	s_cbranch_vccz .LBB12_2020
; %bb.2009:
	v_cmp_gt_i16_e32 vcc_lo, 24, v47
	s_cbranch_vccnz .LBB12_2021
; %bb.2010:
	v_cmp_lt_i16_e32 vcc_lo, 24, v47
	s_cbranch_vccz .LBB12_2022
; %bb.2011:
	global_load_u8 v2, v[0:1], off
	s_mov_b32 s4, exec_lo
                                        ; implicit-def: $sgpr0_sgpr1
	s_waitcnt vmcnt(0)
	v_cmpx_lt_i16_e32 0x7f, v2
	s_xor_b32 s4, exec_lo, s4
	s_cbranch_execz .LBB12_2015
; %bb.2012:
	s_mov_b32 s5, -1
	s_mov_b32 s3, exec_lo
                                        ; implicit-def: $sgpr0_sgpr1
	v_cmpx_eq_u16_e32 0x80, v2
; %bb.2013:
	s_mov_b32 s1, 0x7ff80000
	s_brev_b32 s0, 4
	s_xor_b32 s5, exec_lo, -1
; %bb.2014:
	s_or_b32 exec_lo, exec_lo, s3
	s_delay_alu instid0(SALU_CYCLE_1)
	s_and_b32 s3, s5, exec_lo
.LBB12_2015:
	s_or_saveexec_b32 s4, s4
	v_dual_mov_b32 v46, s1 :: v_dual_mov_b32 v45, s0
	s_xor_b32 exec_lo, exec_lo, s4
; %bb.2016:
	v_cmp_ne_u16_e32 vcc_lo, 0, v2
	v_mov_b32_e32 v45, 0
	v_mov_b32_e32 v46, 0
	s_and_not1_b32 s0, s3, exec_lo
	s_and_b32 s1, vcc_lo, exec_lo
	s_delay_alu instid0(SALU_CYCLE_1)
	s_or_b32 s3, s0, s1
; %bb.2017:
	s_or_b32 exec_lo, exec_lo, s4
	s_and_saveexec_b32 s0, s3
	s_cbranch_execz .LBB12_2019
; %bb.2018:
	v_and_b32_e32 v3, 0xffff, v2
	v_lshlrev_b32_e32 v2, 24, v2
	s_delay_alu instid0(VALU_DEP_2) | instskip(NEXT) | instid1(VALU_DEP_2)
	v_and_b32_e32 v4, 3, v3
	v_and_b32_e32 v2, 0x80000000, v2
	s_delay_alu instid0(VALU_DEP_2) | instskip(NEXT) | instid1(VALU_DEP_1)
	v_clz_i32_u32_e32 v5, v4
	v_min_u32_e32 v5, 32, v5
	s_delay_alu instid0(VALU_DEP_1) | instskip(SKIP_1) | instid1(VALU_DEP_2)
	v_subrev_nc_u32_e32 v6, 29, v5
	v_sub_nc_u32_e32 v5, 30, v5
	v_lshlrev_b32_e32 v6, v6, v3
	v_bfe_u32 v3, v3, 2, 5
	s_delay_alu instid0(VALU_DEP_2) | instskip(NEXT) | instid1(VALU_DEP_2)
	v_and_b32_e32 v6, 3, v6
	v_cmp_eq_u32_e32 vcc_lo, 0, v3
	s_delay_alu instid0(VALU_DEP_2) | instskip(NEXT) | instid1(VALU_DEP_1)
	v_dual_cndmask_b32 v3, v3, v5 :: v_dual_cndmask_b32 v4, v4, v6
	v_lshl_add_u32 v3, v3, 23, 0x37800000
	s_delay_alu instid0(VALU_DEP_2) | instskip(NEXT) | instid1(VALU_DEP_1)
	v_lshlrev_b32_e32 v4, 21, v4
	v_or3_b32 v2, v2, v3, v4
	s_delay_alu instid0(VALU_DEP_1)
	v_cvt_f64_f32_e32 v[45:46], v2
.LBB12_2019:
	s_or_b32 exec_lo, exec_lo, s0
	s_mov_b32 s0, 0
	s_branch .LBB12_2023
.LBB12_2020:
	s_mov_b32 s1, -1
                                        ; implicit-def: $vgpr45_vgpr46
	s_branch .LBB12_2029
.LBB12_2021:
	s_mov_b32 s0, -1
                                        ; implicit-def: $vgpr45_vgpr46
	s_branch .LBB12_2026
.LBB12_2022:
	s_mov_b32 s0, -1
                                        ; implicit-def: $vgpr45_vgpr46
.LBB12_2023:
	s_delay_alu instid0(SALU_CYCLE_1)
	s_and_b32 vcc_lo, exec_lo, s0
	s_cbranch_vccz .LBB12_2025
; %bb.2024:
	global_load_u8 v2, v[0:1], off
	s_waitcnt vmcnt(0)
	v_lshlrev_b32_e32 v2, 24, v2
	s_delay_alu instid0(VALU_DEP_1) | instskip(NEXT) | instid1(VALU_DEP_1)
	v_and_b32_e32 v3, 0x7f000000, v2
	v_clz_i32_u32_e32 v4, v3
	v_add_nc_u32_e32 v6, 0x1000000, v3
	v_cmp_ne_u32_e32 vcc_lo, 0, v3
	s_delay_alu instid0(VALU_DEP_3) | instskip(NEXT) | instid1(VALU_DEP_1)
	v_min_u32_e32 v4, 32, v4
	v_sub_nc_u32_e64 v4, v4, 4 clamp
	s_delay_alu instid0(VALU_DEP_1) | instskip(SKIP_1) | instid1(VALU_DEP_2)
	v_lshlrev_b32_e32 v5, v4, v3
	v_lshlrev_b32_e32 v4, 23, v4
	v_lshrrev_b32_e32 v5, 4, v5
	s_delay_alu instid0(VALU_DEP_1) | instskip(SKIP_1) | instid1(VALU_DEP_2)
	v_sub_nc_u32_e32 v4, v5, v4
	v_ashrrev_i32_e32 v5, 8, v6
	v_add_nc_u32_e32 v4, 0x3c000000, v4
	s_delay_alu instid0(VALU_DEP_1) | instskip(NEXT) | instid1(VALU_DEP_1)
	v_and_or_b32 v4, 0x7f800000, v5, v4
	v_cndmask_b32_e32 v3, 0, v4, vcc_lo
	s_delay_alu instid0(VALU_DEP_1) | instskip(NEXT) | instid1(VALU_DEP_1)
	v_and_or_b32 v2, 0x80000000, v2, v3
	v_cvt_f64_f32_e32 v[45:46], v2
.LBB12_2025:
	s_mov_b32 s0, 0
.LBB12_2026:
	s_delay_alu instid0(SALU_CYCLE_1)
	s_and_not1_b32 vcc_lo, exec_lo, s0
	s_cbranch_vccnz .LBB12_2028
; %bb.2027:
	global_load_u8 v2, v[0:1], off
	s_waitcnt vmcnt(0)
	v_lshlrev_b32_e32 v3, 25, v2
	v_lshlrev_b16 v2, 8, v2
	s_delay_alu instid0(VALU_DEP_2) | instskip(NEXT) | instid1(VALU_DEP_2)
	v_lshrrev_b32_e32 v4, 4, v3
	v_and_or_b32 v5, 0x7f00, v2, 0.5
	v_bfe_i32 v2, v2, 0, 16
	s_delay_alu instid0(VALU_DEP_3) | instskip(NEXT) | instid1(VALU_DEP_1)
	v_or_b32_e32 v4, 0x70000000, v4
	v_dual_add_f32 v5, -0.5, v5 :: v_dual_mul_f32 v4, 0x7800000, v4
	v_cmp_gt_u32_e32 vcc_lo, 0x8000000, v3
	s_delay_alu instid0(VALU_DEP_2) | instskip(NEXT) | instid1(VALU_DEP_1)
	v_cndmask_b32_e32 v3, v4, v5, vcc_lo
	v_and_or_b32 v2, 0x80000000, v2, v3
	s_delay_alu instid0(VALU_DEP_1)
	v_cvt_f64_f32_e32 v[45:46], v2
.LBB12_2028:
	s_mov_b32 s1, 0
	s_mov_b32 s0, -1
.LBB12_2029:
	s_and_not1_b32 vcc_lo, exec_lo, s1
	s_mov_b32 s3, 0
	s_cbranch_vccnz .LBB12_2038
; %bb.2030:
	v_cmp_lt_i16_e32 vcc_lo, 14, v47
	s_cbranch_vccz .LBB12_2033
; %bb.2031:
	v_cmp_eq_u16_e32 vcc_lo, 15, v47
	s_cbranch_vccz .LBB12_2034
; %bb.2032:
	global_load_u16 v2, v[0:1], off
	s_mov_b32 s2, 0
	s_mov_b32 s0, -1
	s_waitcnt vmcnt(0)
	v_lshlrev_b32_e32 v2, 16, v2
	s_delay_alu instid0(VALU_DEP_1)
	v_cvt_f64_f32_e32 v[45:46], v2
	s_branch .LBB12_2035
.LBB12_2033:
	s_mov_b32 s1, -1
                                        ; implicit-def: $vgpr45_vgpr46
	s_branch .LBB12_2036
.LBB12_2034:
	s_mov_b32 s2, -1
                                        ; implicit-def: $vgpr45_vgpr46
.LBB12_2035:
	s_mov_b32 s1, 0
.LBB12_2036:
	s_delay_alu instid0(SALU_CYCLE_1)
	s_and_b32 vcc_lo, exec_lo, s1
	s_cbranch_vccz .LBB12_2038
; %bb.2037:
	v_cmp_ne_u16_e64 s2, 11, v47
	s_mov_b32 s3, -1
                                        ; implicit-def: $vgpr45_vgpr46
.LBB12_2038:
	s_delay_alu instid0(VALU_DEP_1)
	s_and_b32 vcc_lo, exec_lo, s2
	s_cbranch_vccnz .LBB12_2054
; %bb.2039:
	s_and_not1_b32 vcc_lo, exec_lo, s3
	s_cbranch_vccnz .LBB12_2041
.LBB12_2040:
	global_load_u8 v2, v[0:1], off
	s_waitcnt vmcnt(1)
	v_mov_b32_e32 v45, 0
	s_mov_b32 s0, -1
	s_waitcnt vmcnt(0)
	v_cmp_ne_u16_e32 vcc_lo, 0, v2
	v_cndmask_b32_e64 v46, 0, 0x3ff00000, vcc_lo
.LBB12_2041:
.LBB12_2042:
	s_and_not1_b32 vcc_lo, exec_lo, s0
	s_cbranch_vccnz .LBB12_2727
.LBB12_2043:
	v_cmp_lt_i16_e64 s0, s53, 11
	v_add_co_u32 v0, s1, s48, v58
	s_delay_alu instid0(VALU_DEP_1) | instskip(NEXT) | instid1(VALU_DEP_3)
	v_add_co_ci_u32_e64 v1, null, s49, 0, s1
	s_and_b32 vcc_lo, exec_lo, s0
	s_mov_b32 s0, 0
	s_cbranch_vccnz .LBB12_2050
; %bb.2044:
	v_cmp_gt_i16_e64 s0, s53, 25
	s_mov_b32 s3, 0
	s_delay_alu instid0(VALU_DEP_1)
	s_and_b32 vcc_lo, exec_lo, s0
	s_cbranch_vccz .LBB12_2051
; %bb.2045:
	v_cmp_gt_i16_e64 s0, s53, 28
	s_delay_alu instid0(VALU_DEP_1)
	s_and_b32 vcc_lo, exec_lo, s0
	s_cbranch_vccz .LBB12_2052
; %bb.2046:
	v_cmp_gt_i16_e64 s0, s53, 43
	;; [unrolled: 5-line block ×3, first 2 shown]
	s_delay_alu instid0(VALU_DEP_1)
	s_and_b32 vcc_lo, exec_lo, s0
	s_cbranch_vccz .LBB12_2056
; %bb.2048:
	v_cmp_eq_u16_e64 s0, s53, 46
	s_mov_b32 s1, 0
	s_delay_alu instid0(VALU_DEP_1)
	s_and_b32 vcc_lo, exec_lo, s0
	s_cbranch_vccz .LBB12_2059
; %bb.2049:
	global_load_b32 v2, v[0:1], off
	s_mov_b32 s2, 0
	s_mov_b32 s0, -1
	s_waitcnt vmcnt(0)
	v_lshlrev_b32_e32 v2, 16, v2
	s_delay_alu instid0(VALU_DEP_1)
	v_cvt_f64_f32_e32 v[58:59], v2
	s_branch .LBB12_2061
.LBB12_2050:
	s_mov_b32 s1, -1
                                        ; implicit-def: $vgpr58_vgpr59
	s_branch .LBB12_2127
.LBB12_2051:
	s_mov_b32 s1, -1
	s_mov_b32 s0, 0
	s_mov_b32 s2, 0
                                        ; implicit-def: $vgpr58_vgpr59
	s_branch .LBB12_2092
.LBB12_2052:
	s_mov_b32 s1, -1
	s_mov_b32 s0, 0
	s_mov_b32 s2, 0
                                        ; implicit-def: $vgpr58_vgpr59
	s_branch .LBB12_2071
.LBB12_2053:
	s_mov_b32 s1, -1
	s_mov_b32 s0, 0
	s_mov_b32 s2, 0
                                        ; implicit-def: $vgpr58_vgpr59
	s_branch .LBB12_2066
.LBB12_2054:
	s_cbranch_execnz .LBB12_2057
; %bb.2055:
	s_or_b32 s43, s43, exec_lo
                                        ; implicit-def: $vgpr45_vgpr46
	s_cbranch_execz .LBB12_2040
	s_branch .LBB12_2041
.LBB12_2056:
	s_mov_b32 s1, -1
	s_mov_b32 s0, 0
	s_mov_b32 s2, 0
	s_branch .LBB12_2060
.LBB12_2057:
	s_trap 2
	s_sendmsg_rtn_b32 s0, sendmsg(MSG_RTN_GET_DOORBELL)
	s_mov_b32 ttmp2, m0
	s_waitcnt lgkmcnt(0)
	s_and_b32 s0, s0, 0x3ff
	s_delay_alu instid0(SALU_CYCLE_1) | instskip(NEXT) | instid1(SALU_CYCLE_1)
	s_bitset1_b32 s0, 10
	s_mov_b32 m0, s0
	s_sendmsg sendmsg(MSG_INTERRUPT)
	s_mov_b32 m0, ttmp2
.LBB12_2058:                            ; =>This Inner Loop Header: Depth=1
	s_sethalt 5
	s_branch .LBB12_2058
.LBB12_2059:
	s_mov_b32 s2, -1
	s_mov_b32 s0, 0
.LBB12_2060:
                                        ; implicit-def: $vgpr58_vgpr59
.LBB12_2061:
	s_and_b32 vcc_lo, exec_lo, s1
	s_cbranch_vccz .LBB12_2065
; %bb.2062:
	v_cmp_eq_u16_e64 s1, s53, 44
	s_delay_alu instid0(VALU_DEP_1)
	s_and_b32 vcc_lo, exec_lo, s1
	s_cbranch_vccz .LBB12_2064
; %bb.2063:
	global_load_u8 v4, v[0:1], off
	s_mov_b32 s2, 0
	s_mov_b32 s0, -1
	s_waitcnt vmcnt(0)
	v_cmp_ne_u32_e32 vcc_lo, 0xff, v4
	v_lshlrev_b32_e32 v2, 23, v4
	s_delay_alu instid0(VALU_DEP_1) | instskip(NEXT) | instid1(VALU_DEP_1)
	v_cvt_f64_f32_e32 v[2:3], v2
	v_cndmask_b32_e32 v3, 0x7ff80000, v3, vcc_lo
	s_delay_alu instid0(VALU_DEP_2) | instskip(SKIP_1) | instid1(VALU_DEP_3)
	v_cndmask_b32_e32 v2, 0x20000000, v2, vcc_lo
	v_cmp_ne_u32_e32 vcc_lo, 0, v4
	v_cndmask_b32_e32 v59, 0x38000000, v3, vcc_lo
	s_delay_alu instid0(VALU_DEP_3)
	v_cndmask_b32_e32 v58, 0, v2, vcc_lo
	s_branch .LBB12_2065
.LBB12_2064:
	s_mov_b32 s2, -1
                                        ; implicit-def: $vgpr58_vgpr59
.LBB12_2065:
	s_mov_b32 s1, 0
.LBB12_2066:
	s_delay_alu instid0(SALU_CYCLE_1)
	s_and_b32 vcc_lo, exec_lo, s1
	s_cbranch_vccz .LBB12_2070
; %bb.2067:
	v_cmp_eq_u16_e64 s1, s53, 29
	s_delay_alu instid0(VALU_DEP_1)
	s_and_b32 vcc_lo, exec_lo, s1
	s_cbranch_vccz .LBB12_2069
; %bb.2068:
	global_load_b64 v[2:3], v[0:1], off
	s_mov_b32 s2, 0
	s_mov_b32 s0, -1
	s_mov_b32 s1, 0
	s_waitcnt vmcnt(0)
	v_cvt_f64_u32_e32 v[3:4], v3
	v_cvt_f64_u32_e32 v[5:6], v2
	s_delay_alu instid0(VALU_DEP_2) | instskip(NEXT) | instid1(VALU_DEP_1)
	v_ldexp_f64 v[3:4], v[3:4], 32
	v_add_f64 v[58:59], v[3:4], v[5:6]
	s_branch .LBB12_2071
.LBB12_2069:
	s_mov_b32 s2, -1
                                        ; implicit-def: $vgpr58_vgpr59
.LBB12_2070:
	s_mov_b32 s1, 0
.LBB12_2071:
	s_delay_alu instid0(SALU_CYCLE_1)
	s_and_b32 vcc_lo, exec_lo, s1
	s_cbranch_vccz .LBB12_2091
; %bb.2072:
	v_cmp_lt_i16_e64 s0, s53, 27
	s_delay_alu instid0(VALU_DEP_1)
	s_and_b32 vcc_lo, exec_lo, s0
	s_cbranch_vccnz .LBB12_2075
; %bb.2073:
	v_cmp_gt_i16_e64 s0, s53, 27
	s_delay_alu instid0(VALU_DEP_1)
	s_and_b32 vcc_lo, exec_lo, s0
	s_cbranch_vccz .LBB12_2076
; %bb.2074:
	global_load_b32 v2, v[0:1], off
	s_mov_b32 s0, 0
	s_waitcnt vmcnt(0)
	v_cvt_f64_u32_e32 v[58:59], v2
	s_branch .LBB12_2077
.LBB12_2075:
	s_mov_b32 s0, -1
                                        ; implicit-def: $vgpr58_vgpr59
	s_branch .LBB12_2080
.LBB12_2076:
	s_mov_b32 s0, -1
                                        ; implicit-def: $vgpr58_vgpr59
.LBB12_2077:
	s_delay_alu instid0(SALU_CYCLE_1)
	s_and_not1_b32 vcc_lo, exec_lo, s0
	s_cbranch_vccnz .LBB12_2079
; %bb.2078:
	global_load_u16 v2, v[0:1], off
	s_waitcnt vmcnt(0)
	v_cvt_f64_u32_e32 v[58:59], v2
.LBB12_2079:
	s_mov_b32 s0, 0
.LBB12_2080:
	s_delay_alu instid0(SALU_CYCLE_1)
	s_and_not1_b32 vcc_lo, exec_lo, s0
	s_cbranch_vccnz .LBB12_2090
; %bb.2081:
	global_load_u8 v2, v[0:1], off
	s_mov_b32 s4, 0
	s_mov_b32 s5, exec_lo
                                        ; implicit-def: $sgpr0_sgpr1
	s_waitcnt vmcnt(0)
	v_cmpx_lt_i16_e32 0x7f, v2
	s_xor_b32 s5, exec_lo, s5
	s_cbranch_execz .LBB12_2085
; %bb.2082:
	s_mov_b32 s6, -1
	s_mov_b32 s4, exec_lo
                                        ; implicit-def: $sgpr0_sgpr1
	v_cmpx_eq_u16_e32 0x80, v2
; %bb.2083:
	s_mov_b32 s1, 0x7ff80000
	s_brev_b32 s0, 4
	s_xor_b32 s6, exec_lo, -1
; %bb.2084:
	s_or_b32 exec_lo, exec_lo, s4
	s_delay_alu instid0(SALU_CYCLE_1)
	s_and_b32 s4, s6, exec_lo
.LBB12_2085:
	s_or_saveexec_b32 s5, s5
	v_dual_mov_b32 v59, s1 :: v_dual_mov_b32 v58, s0
	s_xor_b32 exec_lo, exec_lo, s5
; %bb.2086:
	v_cmp_ne_u16_e32 vcc_lo, 0, v2
	v_mov_b32_e32 v58, 0
	v_mov_b32_e32 v59, 0
	s_and_not1_b32 s0, s4, exec_lo
	s_and_b32 s1, vcc_lo, exec_lo
	s_delay_alu instid0(SALU_CYCLE_1)
	s_or_b32 s4, s0, s1
; %bb.2087:
	s_or_b32 exec_lo, exec_lo, s5
	s_and_saveexec_b32 s0, s4
	s_cbranch_execz .LBB12_2089
; %bb.2088:
	v_and_b32_e32 v3, 0xffff, v2
	v_lshlrev_b32_e32 v2, 24, v2
	s_delay_alu instid0(VALU_DEP_2) | instskip(NEXT) | instid1(VALU_DEP_2)
	v_and_b32_e32 v4, 7, v3
	v_and_b32_e32 v2, 0x80000000, v2
	s_delay_alu instid0(VALU_DEP_2) | instskip(NEXT) | instid1(VALU_DEP_1)
	v_clz_i32_u32_e32 v5, v4
	v_min_u32_e32 v5, 32, v5
	s_delay_alu instid0(VALU_DEP_1) | instskip(SKIP_1) | instid1(VALU_DEP_2)
	v_subrev_nc_u32_e32 v6, 28, v5
	v_sub_nc_u32_e32 v5, 29, v5
	v_lshlrev_b32_e32 v6, v6, v3
	v_bfe_u32 v3, v3, 3, 4
	s_delay_alu instid0(VALU_DEP_2) | instskip(NEXT) | instid1(VALU_DEP_2)
	v_and_b32_e32 v6, 7, v6
	v_cmp_eq_u32_e32 vcc_lo, 0, v3
	s_delay_alu instid0(VALU_DEP_2) | instskip(NEXT) | instid1(VALU_DEP_1)
	v_dual_cndmask_b32 v3, v3, v5 :: v_dual_cndmask_b32 v4, v4, v6
	v_lshl_add_u32 v3, v3, 23, 0x3b800000
	s_delay_alu instid0(VALU_DEP_2) | instskip(NEXT) | instid1(VALU_DEP_1)
	v_lshlrev_b32_e32 v4, 20, v4
	v_or3_b32 v2, v2, v3, v4
	s_delay_alu instid0(VALU_DEP_1)
	v_cvt_f64_f32_e32 v[58:59], v2
.LBB12_2089:
	s_or_b32 exec_lo, exec_lo, s0
.LBB12_2090:
	s_mov_b32 s0, -1
.LBB12_2091:
	s_mov_b32 s1, 0
.LBB12_2092:
	s_delay_alu instid0(SALU_CYCLE_1)
	s_and_b32 vcc_lo, exec_lo, s1
	s_cbranch_vccz .LBB12_2123
; %bb.2093:
	v_cmp_gt_i16_e64 s1, s53, 22
	s_delay_alu instid0(VALU_DEP_1)
	s_and_b32 vcc_lo, exec_lo, s1
	s_cbranch_vccz .LBB12_2105
; %bb.2094:
	v_cmp_lt_i16_e64 s0, s53, 24
	s_delay_alu instid0(VALU_DEP_1)
	s_and_b32 vcc_lo, exec_lo, s0
	s_cbranch_vccnz .LBB12_2106
; %bb.2095:
	v_cmp_gt_i16_e64 s0, s53, 24
	s_delay_alu instid0(VALU_DEP_1)
	s_and_b32 vcc_lo, exec_lo, s0
	s_cbranch_vccz .LBB12_2107
; %bb.2096:
	global_load_u8 v2, v[0:1], off
	s_mov_b32 s4, exec_lo
                                        ; implicit-def: $sgpr0_sgpr1
	s_waitcnt vmcnt(0)
	v_cmpx_lt_i16_e32 0x7f, v2
	s_xor_b32 s4, exec_lo, s4
	s_cbranch_execz .LBB12_2100
; %bb.2097:
	s_mov_b32 s5, -1
	s_mov_b32 s3, exec_lo
                                        ; implicit-def: $sgpr0_sgpr1
	v_cmpx_eq_u16_e32 0x80, v2
; %bb.2098:
	s_mov_b32 s1, 0x7ff80000
	s_brev_b32 s0, 4
	s_xor_b32 s5, exec_lo, -1
; %bb.2099:
	s_or_b32 exec_lo, exec_lo, s3
	s_delay_alu instid0(SALU_CYCLE_1)
	s_and_b32 s3, s5, exec_lo
.LBB12_2100:
	s_or_saveexec_b32 s4, s4
	v_dual_mov_b32 v59, s1 :: v_dual_mov_b32 v58, s0
	s_xor_b32 exec_lo, exec_lo, s4
; %bb.2101:
	v_cmp_ne_u16_e32 vcc_lo, 0, v2
	v_mov_b32_e32 v58, 0
	v_mov_b32_e32 v59, 0
	s_and_not1_b32 s0, s3, exec_lo
	s_and_b32 s1, vcc_lo, exec_lo
	s_delay_alu instid0(SALU_CYCLE_1)
	s_or_b32 s3, s0, s1
; %bb.2102:
	s_or_b32 exec_lo, exec_lo, s4
	s_and_saveexec_b32 s0, s3
	s_cbranch_execz .LBB12_2104
; %bb.2103:
	v_and_b32_e32 v3, 0xffff, v2
	v_lshlrev_b32_e32 v2, 24, v2
	s_delay_alu instid0(VALU_DEP_2) | instskip(NEXT) | instid1(VALU_DEP_2)
	v_and_b32_e32 v4, 3, v3
	v_and_b32_e32 v2, 0x80000000, v2
	s_delay_alu instid0(VALU_DEP_2) | instskip(NEXT) | instid1(VALU_DEP_1)
	v_clz_i32_u32_e32 v5, v4
	v_min_u32_e32 v5, 32, v5
	s_delay_alu instid0(VALU_DEP_1) | instskip(SKIP_1) | instid1(VALU_DEP_2)
	v_subrev_nc_u32_e32 v6, 29, v5
	v_sub_nc_u32_e32 v5, 30, v5
	v_lshlrev_b32_e32 v6, v6, v3
	v_bfe_u32 v3, v3, 2, 5
	s_delay_alu instid0(VALU_DEP_2) | instskip(NEXT) | instid1(VALU_DEP_2)
	v_and_b32_e32 v6, 3, v6
	v_cmp_eq_u32_e32 vcc_lo, 0, v3
	s_delay_alu instid0(VALU_DEP_2) | instskip(NEXT) | instid1(VALU_DEP_1)
	v_dual_cndmask_b32 v3, v3, v5 :: v_dual_cndmask_b32 v4, v4, v6
	v_lshl_add_u32 v3, v3, 23, 0x37800000
	s_delay_alu instid0(VALU_DEP_2) | instskip(NEXT) | instid1(VALU_DEP_1)
	v_lshlrev_b32_e32 v4, 21, v4
	v_or3_b32 v2, v2, v3, v4
	s_delay_alu instid0(VALU_DEP_1)
	v_cvt_f64_f32_e32 v[58:59], v2
.LBB12_2104:
	s_or_b32 exec_lo, exec_lo, s0
	s_mov_b32 s0, 0
	s_branch .LBB12_2108
.LBB12_2105:
	s_mov_b32 s1, -1
                                        ; implicit-def: $vgpr58_vgpr59
	s_branch .LBB12_2114
.LBB12_2106:
	s_mov_b32 s0, -1
                                        ; implicit-def: $vgpr58_vgpr59
	s_branch .LBB12_2111
.LBB12_2107:
	s_mov_b32 s0, -1
                                        ; implicit-def: $vgpr58_vgpr59
.LBB12_2108:
	s_delay_alu instid0(SALU_CYCLE_1)
	s_and_b32 vcc_lo, exec_lo, s0
	s_cbranch_vccz .LBB12_2110
; %bb.2109:
	global_load_u8 v2, v[0:1], off
	s_waitcnt vmcnt(0)
	v_lshlrev_b32_e32 v2, 24, v2
	s_delay_alu instid0(VALU_DEP_1) | instskip(NEXT) | instid1(VALU_DEP_1)
	v_and_b32_e32 v3, 0x7f000000, v2
	v_clz_i32_u32_e32 v4, v3
	v_add_nc_u32_e32 v6, 0x1000000, v3
	v_cmp_ne_u32_e32 vcc_lo, 0, v3
	s_delay_alu instid0(VALU_DEP_3) | instskip(NEXT) | instid1(VALU_DEP_1)
	v_min_u32_e32 v4, 32, v4
	v_sub_nc_u32_e64 v4, v4, 4 clamp
	s_delay_alu instid0(VALU_DEP_1) | instskip(SKIP_1) | instid1(VALU_DEP_2)
	v_lshlrev_b32_e32 v5, v4, v3
	v_lshlrev_b32_e32 v4, 23, v4
	v_lshrrev_b32_e32 v5, 4, v5
	s_delay_alu instid0(VALU_DEP_1) | instskip(SKIP_1) | instid1(VALU_DEP_2)
	v_sub_nc_u32_e32 v4, v5, v4
	v_ashrrev_i32_e32 v5, 8, v6
	v_add_nc_u32_e32 v4, 0x3c000000, v4
	s_delay_alu instid0(VALU_DEP_1) | instskip(NEXT) | instid1(VALU_DEP_1)
	v_and_or_b32 v4, 0x7f800000, v5, v4
	v_cndmask_b32_e32 v3, 0, v4, vcc_lo
	s_delay_alu instid0(VALU_DEP_1) | instskip(NEXT) | instid1(VALU_DEP_1)
	v_and_or_b32 v2, 0x80000000, v2, v3
	v_cvt_f64_f32_e32 v[58:59], v2
.LBB12_2110:
	s_mov_b32 s0, 0
.LBB12_2111:
	s_delay_alu instid0(SALU_CYCLE_1)
	s_and_not1_b32 vcc_lo, exec_lo, s0
	s_cbranch_vccnz .LBB12_2113
; %bb.2112:
	global_load_u8 v2, v[0:1], off
	s_waitcnt vmcnt(0)
	v_lshlrev_b32_e32 v3, 25, v2
	v_lshlrev_b16 v2, 8, v2
	s_delay_alu instid0(VALU_DEP_2) | instskip(NEXT) | instid1(VALU_DEP_2)
	v_lshrrev_b32_e32 v4, 4, v3
	v_and_or_b32 v5, 0x7f00, v2, 0.5
	v_bfe_i32 v2, v2, 0, 16
	s_delay_alu instid0(VALU_DEP_3) | instskip(NEXT) | instid1(VALU_DEP_1)
	v_or_b32_e32 v4, 0x70000000, v4
	v_dual_add_f32 v5, -0.5, v5 :: v_dual_mul_f32 v4, 0x7800000, v4
	v_cmp_gt_u32_e32 vcc_lo, 0x8000000, v3
	s_delay_alu instid0(VALU_DEP_2) | instskip(NEXT) | instid1(VALU_DEP_1)
	v_cndmask_b32_e32 v3, v4, v5, vcc_lo
	v_and_or_b32 v2, 0x80000000, v2, v3
	s_delay_alu instid0(VALU_DEP_1)
	v_cvt_f64_f32_e32 v[58:59], v2
.LBB12_2113:
	s_mov_b32 s1, 0
	s_mov_b32 s0, -1
.LBB12_2114:
	s_and_not1_b32 vcc_lo, exec_lo, s1
	s_mov_b32 s3, 0
	s_cbranch_vccnz .LBB12_2123
; %bb.2115:
	v_cmp_gt_i16_e64 s1, s53, 14
	s_delay_alu instid0(VALU_DEP_1)
	s_and_b32 vcc_lo, exec_lo, s1
	s_cbranch_vccz .LBB12_2118
; %bb.2116:
	v_cmp_eq_u16_e64 s1, s53, 15
	s_delay_alu instid0(VALU_DEP_1)
	s_and_b32 vcc_lo, exec_lo, s1
	s_cbranch_vccz .LBB12_2119
; %bb.2117:
	global_load_u16 v2, v[0:1], off
	s_mov_b32 s2, 0
	s_mov_b32 s0, -1
	s_waitcnt vmcnt(0)
	v_lshlrev_b32_e32 v2, 16, v2
	s_delay_alu instid0(VALU_DEP_1)
	v_cvt_f64_f32_e32 v[58:59], v2
	s_branch .LBB12_2120
.LBB12_2118:
	s_mov_b32 s1, -1
                                        ; implicit-def: $vgpr58_vgpr59
	s_branch .LBB12_2121
.LBB12_2119:
	s_mov_b32 s2, -1
                                        ; implicit-def: $vgpr58_vgpr59
.LBB12_2120:
	s_mov_b32 s1, 0
.LBB12_2121:
	s_delay_alu instid0(SALU_CYCLE_1)
	s_and_b32 vcc_lo, exec_lo, s1
	s_cbranch_vccz .LBB12_2123
; %bb.2122:
	v_cmp_ne_u16_e64 s2, s53, 11
	s_mov_b32 s3, -1
                                        ; implicit-def: $vgpr58_vgpr59
.LBB12_2123:
	s_delay_alu instid0(VALU_DEP_1)
	s_and_b32 vcc_lo, exec_lo, s2
	s_cbranch_vccnz .LBB12_2193
; %bb.2124:
	s_and_not1_b32 vcc_lo, exec_lo, s3
	s_cbranch_vccnz .LBB12_2126
.LBB12_2125:
	global_load_u8 v2, v[0:1], off
	v_mov_b32_e32 v58, 0
	s_mov_b32 s0, -1
	s_waitcnt vmcnt(0)
	v_cmp_ne_u16_e32 vcc_lo, 0, v2
	v_cndmask_b32_e64 v59, 0, 0x3ff00000, vcc_lo
.LBB12_2126:
	s_mov_b32 s1, 0
.LBB12_2127:
	s_delay_alu instid0(SALU_CYCLE_1)
	s_and_b32 vcc_lo, exec_lo, s1
	s_cbranch_vccz .LBB12_2176
; %bb.2128:
	v_cmp_lt_i16_e64 s0, s53, 5
	s_delay_alu instid0(VALU_DEP_1)
	s_and_b32 vcc_lo, exec_lo, s0
	s_cbranch_vccnz .LBB12_2133
; %bb.2129:
	v_cmp_lt_i16_e64 s0, s53, 8
	s_delay_alu instid0(VALU_DEP_1)
	s_and_b32 vcc_lo, exec_lo, s0
	s_cbranch_vccnz .LBB12_2134
	;; [unrolled: 5-line block ×3, first 2 shown]
; %bb.2131:
	v_cmp_gt_i16_e64 s0, s53, 9
	s_delay_alu instid0(VALU_DEP_1)
	s_and_b32 vcc_lo, exec_lo, s0
	s_cbranch_vccz .LBB12_2136
; %bb.2132:
	global_load_b64 v[58:59], v[0:1], off
	s_mov_b32 s0, 0
	s_branch .LBB12_2137
.LBB12_2133:
	s_mov_b32 s0, -1
                                        ; implicit-def: $vgpr58_vgpr59
	s_branch .LBB12_2155
.LBB12_2134:
	s_mov_b32 s0, -1
                                        ; implicit-def: $vgpr58_vgpr59
	s_branch .LBB12_2143
.LBB12_2135:
	s_mov_b32 s0, -1
                                        ; implicit-def: $vgpr58_vgpr59
	s_branch .LBB12_2140
.LBB12_2136:
	s_mov_b32 s0, -1
                                        ; implicit-def: $vgpr58_vgpr59
.LBB12_2137:
	s_delay_alu instid0(SALU_CYCLE_1)
	s_and_not1_b32 vcc_lo, exec_lo, s0
	s_cbranch_vccnz .LBB12_2139
; %bb.2138:
	global_load_b32 v2, v[0:1], off
	s_waitcnt vmcnt(0)
	v_cvt_f64_f32_e32 v[58:59], v2
.LBB12_2139:
	s_mov_b32 s0, 0
.LBB12_2140:
	s_delay_alu instid0(SALU_CYCLE_1)
	s_and_not1_b32 vcc_lo, exec_lo, s0
	s_cbranch_vccnz .LBB12_2142
; %bb.2141:
	global_load_b32 v2, v[0:1], off
	s_waitcnt vmcnt(0)
	v_cvt_f32_f16_e32 v2, v2
	s_delay_alu instid0(VALU_DEP_1)
	v_cvt_f64_f32_e32 v[58:59], v2
.LBB12_2142:
	s_mov_b32 s0, 0
.LBB12_2143:
	s_delay_alu instid0(SALU_CYCLE_1)
	s_and_not1_b32 vcc_lo, exec_lo, s0
	s_cbranch_vccnz .LBB12_2154
; %bb.2144:
	v_cmp_lt_i16_e64 s0, s53, 6
	s_delay_alu instid0(VALU_DEP_1)
	s_and_b32 vcc_lo, exec_lo, s0
	s_cbranch_vccnz .LBB12_2147
; %bb.2145:
	v_cmp_gt_i16_e64 s0, s53, 6
	s_delay_alu instid0(VALU_DEP_1)
	s_and_b32 vcc_lo, exec_lo, s0
	s_cbranch_vccz .LBB12_2148
; %bb.2146:
	global_load_b64 v[58:59], v[0:1], off
	s_mov_b32 s0, 0
	s_branch .LBB12_2149
.LBB12_2147:
	s_mov_b32 s0, -1
                                        ; implicit-def: $vgpr58_vgpr59
	s_branch .LBB12_2152
.LBB12_2148:
	s_mov_b32 s0, -1
                                        ; implicit-def: $vgpr58_vgpr59
.LBB12_2149:
	s_delay_alu instid0(SALU_CYCLE_1)
	s_and_not1_b32 vcc_lo, exec_lo, s0
	s_cbranch_vccnz .LBB12_2151
; %bb.2150:
	global_load_b32 v2, v[0:1], off
	s_waitcnt vmcnt(0)
	v_cvt_f64_f32_e32 v[58:59], v2
.LBB12_2151:
	s_mov_b32 s0, 0
.LBB12_2152:
	s_delay_alu instid0(SALU_CYCLE_1)
	s_and_not1_b32 vcc_lo, exec_lo, s0
	s_cbranch_vccnz .LBB12_2154
; %bb.2153:
	global_load_u16 v2, v[0:1], off
	s_waitcnt vmcnt(0)
	v_cvt_f32_f16_e32 v2, v2
	s_delay_alu instid0(VALU_DEP_1)
	v_cvt_f64_f32_e32 v[58:59], v2
.LBB12_2154:
	s_mov_b32 s0, 0
.LBB12_2155:
	s_delay_alu instid0(SALU_CYCLE_1)
	s_and_not1_b32 vcc_lo, exec_lo, s0
	s_cbranch_vccnz .LBB12_2175
; %bb.2156:
	v_cmp_lt_i16_e64 s0, s53, 2
	s_delay_alu instid0(VALU_DEP_1)
	s_and_b32 vcc_lo, exec_lo, s0
	s_cbranch_vccnz .LBB12_2160
; %bb.2157:
	v_cmp_lt_i16_e64 s0, s53, 3
	s_delay_alu instid0(VALU_DEP_1)
	s_and_b32 vcc_lo, exec_lo, s0
	s_cbranch_vccnz .LBB12_2161
; %bb.2158:
	v_cmp_gt_i16_e64 s0, s53, 3
	s_delay_alu instid0(VALU_DEP_1)
	s_and_b32 vcc_lo, exec_lo, s0
	s_cbranch_vccz .LBB12_2162
; %bb.2159:
	global_load_b64 v[2:3], v[0:1], off
	s_mov_b32 s0, 0
	s_waitcnt vmcnt(0)
	v_cvt_f64_i32_e32 v[3:4], v3
	v_cvt_f64_u32_e32 v[5:6], v2
	s_delay_alu instid0(VALU_DEP_2) | instskip(NEXT) | instid1(VALU_DEP_1)
	v_ldexp_f64 v[3:4], v[3:4], 32
	v_add_f64 v[58:59], v[3:4], v[5:6]
	s_branch .LBB12_2163
.LBB12_2160:
	s_mov_b32 s0, -1
                                        ; implicit-def: $vgpr58_vgpr59
	s_branch .LBB12_2169
.LBB12_2161:
	s_mov_b32 s0, -1
                                        ; implicit-def: $vgpr58_vgpr59
	s_branch .LBB12_2166
.LBB12_2162:
	s_mov_b32 s0, -1
                                        ; implicit-def: $vgpr58_vgpr59
.LBB12_2163:
	s_delay_alu instid0(SALU_CYCLE_1)
	s_and_not1_b32 vcc_lo, exec_lo, s0
	s_cbranch_vccnz .LBB12_2165
; %bb.2164:
	global_load_b32 v2, v[0:1], off
	s_waitcnt vmcnt(0)
	v_cvt_f64_i32_e32 v[58:59], v2
.LBB12_2165:
	s_mov_b32 s0, 0
.LBB12_2166:
	s_delay_alu instid0(SALU_CYCLE_1)
	s_and_not1_b32 vcc_lo, exec_lo, s0
	s_cbranch_vccnz .LBB12_2168
; %bb.2167:
	global_load_i16 v2, v[0:1], off
	s_waitcnt vmcnt(0)
	v_cvt_f64_i32_e32 v[58:59], v2
.LBB12_2168:
	s_mov_b32 s0, 0
.LBB12_2169:
	s_delay_alu instid0(SALU_CYCLE_1)
	s_and_not1_b32 vcc_lo, exec_lo, s0
	s_cbranch_vccnz .LBB12_2175
; %bb.2170:
	v_cmp_gt_i16_e64 s0, s53, 0
	s_delay_alu instid0(VALU_DEP_1)
	s_and_b32 vcc_lo, exec_lo, s0
	s_mov_b32 s0, 0
	s_cbranch_vccz .LBB12_2172
; %bb.2171:
	global_load_i8 v2, v[0:1], off
	s_waitcnt vmcnt(0)
	v_cvt_f64_i32_e32 v[58:59], v2
	s_branch .LBB12_2173
.LBB12_2172:
	s_mov_b32 s0, -1
                                        ; implicit-def: $vgpr58_vgpr59
.LBB12_2173:
	s_delay_alu instid0(SALU_CYCLE_1)
	s_and_not1_b32 vcc_lo, exec_lo, s0
	s_cbranch_vccnz .LBB12_2175
; %bb.2174:
	global_load_u8 v0, v[0:1], off
	s_waitcnt vmcnt(0)
	v_cvt_f64_u32_e32 v[58:59], v0
.LBB12_2175:
	s_mov_b32 s0, -1
.LBB12_2176:
	s_delay_alu instid0(SALU_CYCLE_1)
	s_and_not1_b32 vcc_lo, exec_lo, s0
	s_cbranch_vccnz .LBB12_2727
; %bb.2177:
	s_and_b32 vcc_lo, exec_lo, s54
	s_cbranch_vccz .LBB12_2179
; %bb.2178:
	s_waitcnt vmcnt(0)
	s_delay_alu instid0(VALU_DEP_4) | instskip(NEXT) | instid1(VALU_DEP_2)
	v_dual_mov_b32 v0, v45 :: v_dual_mov_b32 v1, v46
	v_dual_mov_b32 v2, v58 :: v_dual_mov_b32 v3, v59
	s_getpc_b64 s[0:1]
	s_add_u32 s0, s0, _ZN12_GLOBAL__N_111calc_igammaIdEET_S1_S1_@rel32@lo+4
	s_addc_u32 s1, s1, _ZN12_GLOBAL__N_111calc_igammaIdEET_S1_S1_@rel32@hi+12
	s_delay_alu instid0(SALU_CYCLE_1)
	s_swappc_b64 s[30:31], s[0:1]
	v_dual_mov_b32 v56, v0 :: v_dual_mov_b32 v57, v1
	s_mov_b32 s0, 0
	s_branch .LBB12_2180
.LBB12_2179:
	s_mov_b32 s0, -1
                                        ; implicit-def: $vgpr56_vgpr57
.LBB12_2180:
	s_delay_alu instid0(SALU_CYCLE_1)
	s_and_not1_b32 vcc_lo, exec_lo, s0
	s_cbranch_vccnz .LBB12_2182
; %bb.2181:
	s_waitcnt vmcnt(0)
	s_delay_alu instid0(VALU_DEP_4) | instskip(NEXT) | instid1(VALU_DEP_2)
	v_dual_mov_b32 v0, v45 :: v_dual_mov_b32 v1, v46
	v_dual_mov_b32 v2, v58 :: v_dual_mov_b32 v3, v59
	s_getpc_b64 s[0:1]
	s_add_u32 s0, s0, _ZN12_GLOBAL__N_112calc_igammacIdEET_S1_S1_@rel32@lo+4
	s_addc_u32 s1, s1, _ZN12_GLOBAL__N_112calc_igammacIdEET_S1_S1_@rel32@hi+12
	s_delay_alu instid0(SALU_CYCLE_1)
	s_swappc_b64 s[30:31], s[0:1]
	v_dual_mov_b32 v56, v0 :: v_dual_mov_b32 v57, v1
.LBB12_2182:
	v_cmp_gt_i16_e32 vcc_lo, 11, v47
	v_add_co_u32 v0, s0, s46, v61
	s_delay_alu instid0(VALU_DEP_1)
	v_add_co_ci_u32_e64 v1, null, s47, 0, s0
	s_mov_b32 s0, 0
	s_cbranch_vccnz .LBB12_2189
; %bb.2183:
	v_cmp_lt_i16_e32 vcc_lo, 25, v47
	s_mov_b32 s3, 0
	s_cbranch_vccz .LBB12_2190
; %bb.2184:
	v_cmp_lt_i16_e32 vcc_lo, 28, v47
	s_cbranch_vccz .LBB12_2191
; %bb.2185:
	v_cmp_lt_i16_e32 vcc_lo, 43, v47
	;; [unrolled: 3-line block ×3, first 2 shown]
	s_cbranch_vccz .LBB12_2195
; %bb.2187:
	v_cmp_eq_u16_e32 vcc_lo, 46, v47
	s_mov_b32 s1, 0
	s_cbranch_vccz .LBB12_2198
; %bb.2188:
	global_load_b32 v2, v[0:1], off
	s_mov_b32 s2, 0
	s_mov_b32 s0, -1
	s_waitcnt vmcnt(0)
	v_lshlrev_b32_e32 v2, 16, v2
	s_delay_alu instid0(VALU_DEP_1)
	v_cvt_f64_f32_e32 v[45:46], v2
	s_branch .LBB12_2200
.LBB12_2189:
	s_mov_b32 s1, -1
                                        ; implicit-def: $vgpr45_vgpr46
	s_branch .LBB12_2266
.LBB12_2190:
	s_mov_b32 s1, -1
	s_mov_b32 s2, 0
                                        ; implicit-def: $vgpr45_vgpr46
	s_branch .LBB12_2231
.LBB12_2191:
	s_mov_b32 s1, -1
	s_mov_b32 s2, 0
                                        ; implicit-def: $vgpr45_vgpr46
	s_branch .LBB12_2210
.LBB12_2192:
	s_mov_b32 s1, -1
	s_mov_b32 s2, 0
                                        ; implicit-def: $vgpr45_vgpr46
	s_branch .LBB12_2205
.LBB12_2193:
	s_cbranch_execnz .LBB12_2196
; %bb.2194:
	s_or_b32 s43, s43, exec_lo
                                        ; implicit-def: $vgpr58_vgpr59
	s_cbranch_execz .LBB12_2125
	s_branch .LBB12_2126
.LBB12_2195:
	s_mov_b32 s1, -1
	s_mov_b32 s2, 0
	s_branch .LBB12_2199
.LBB12_2196:
	s_trap 2
	s_sendmsg_rtn_b32 s0, sendmsg(MSG_RTN_GET_DOORBELL)
	s_mov_b32 ttmp2, m0
	s_waitcnt lgkmcnt(0)
	s_and_b32 s0, s0, 0x3ff
	s_delay_alu instid0(SALU_CYCLE_1) | instskip(NEXT) | instid1(SALU_CYCLE_1)
	s_bitset1_b32 s0, 10
	s_mov_b32 m0, s0
	s_sendmsg sendmsg(MSG_INTERRUPT)
	s_mov_b32 m0, ttmp2
.LBB12_2197:                            ; =>This Inner Loop Header: Depth=1
	s_sethalt 5
	s_branch .LBB12_2197
.LBB12_2198:
	s_mov_b32 s2, -1
.LBB12_2199:
                                        ; implicit-def: $vgpr45_vgpr46
.LBB12_2200:
	s_and_b32 vcc_lo, exec_lo, s1
	s_cbranch_vccz .LBB12_2204
; %bb.2201:
	v_cmp_eq_u16_e32 vcc_lo, 44, v47
	s_cbranch_vccz .LBB12_2203
; %bb.2202:
	global_load_u8 v4, v[0:1], off
	s_mov_b32 s2, 0
	s_mov_b32 s0, -1
	s_waitcnt vmcnt(0)
	v_cmp_ne_u32_e32 vcc_lo, 0xff, v4
	v_lshlrev_b32_e32 v2, 23, v4
	s_delay_alu instid0(VALU_DEP_1) | instskip(NEXT) | instid1(VALU_DEP_1)
	v_cvt_f64_f32_e32 v[2:3], v2
	v_cndmask_b32_e32 v3, 0x7ff80000, v3, vcc_lo
	s_delay_alu instid0(VALU_DEP_2) | instskip(SKIP_1) | instid1(VALU_DEP_3)
	v_cndmask_b32_e32 v2, 0x20000000, v2, vcc_lo
	v_cmp_ne_u32_e32 vcc_lo, 0, v4
	v_cndmask_b32_e32 v46, 0x38000000, v3, vcc_lo
	s_delay_alu instid0(VALU_DEP_3)
	v_cndmask_b32_e32 v45, 0, v2, vcc_lo
	s_branch .LBB12_2204
.LBB12_2203:
	s_mov_b32 s2, -1
                                        ; implicit-def: $vgpr45_vgpr46
.LBB12_2204:
	s_mov_b32 s1, 0
.LBB12_2205:
	s_delay_alu instid0(SALU_CYCLE_1)
	s_and_b32 vcc_lo, exec_lo, s1
	s_cbranch_vccz .LBB12_2209
; %bb.2206:
	v_cmp_eq_u16_e32 vcc_lo, 29, v47
	s_cbranch_vccz .LBB12_2208
; %bb.2207:
	global_load_b64 v[2:3], v[0:1], off
	s_mov_b32 s2, 0
	s_mov_b32 s0, -1
	s_mov_b32 s1, 0
	s_waitcnt vmcnt(0)
	v_cvt_f64_u32_e32 v[3:4], v3
	v_cvt_f64_u32_e32 v[5:6], v2
	s_delay_alu instid0(VALU_DEP_2) | instskip(NEXT) | instid1(VALU_DEP_1)
	v_ldexp_f64 v[3:4], v[3:4], 32
	v_add_f64 v[45:46], v[3:4], v[5:6]
	s_branch .LBB12_2210
.LBB12_2208:
	s_mov_b32 s2, -1
                                        ; implicit-def: $vgpr45_vgpr46
.LBB12_2209:
	s_mov_b32 s1, 0
.LBB12_2210:
	s_delay_alu instid0(SALU_CYCLE_1)
	s_and_b32 vcc_lo, exec_lo, s1
	s_cbranch_vccz .LBB12_2230
; %bb.2211:
	v_cmp_gt_i16_e32 vcc_lo, 27, v47
	s_cbranch_vccnz .LBB12_2214
; %bb.2212:
	v_cmp_lt_i16_e32 vcc_lo, 27, v47
	s_cbranch_vccz .LBB12_2215
; %bb.2213:
	global_load_b32 v2, v[0:1], off
	s_mov_b32 s0, 0
	s_waitcnt vmcnt(0)
	v_cvt_f64_u32_e32 v[45:46], v2
	s_branch .LBB12_2216
.LBB12_2214:
	s_mov_b32 s0, -1
                                        ; implicit-def: $vgpr45_vgpr46
	s_branch .LBB12_2219
.LBB12_2215:
	s_mov_b32 s0, -1
                                        ; implicit-def: $vgpr45_vgpr46
.LBB12_2216:
	s_delay_alu instid0(SALU_CYCLE_1)
	s_and_not1_b32 vcc_lo, exec_lo, s0
	s_cbranch_vccnz .LBB12_2218
; %bb.2217:
	global_load_u16 v2, v[0:1], off
	s_waitcnt vmcnt(0)
	v_cvt_f64_u32_e32 v[45:46], v2
.LBB12_2218:
	s_mov_b32 s0, 0
.LBB12_2219:
	s_delay_alu instid0(SALU_CYCLE_1)
	s_and_not1_b32 vcc_lo, exec_lo, s0
	s_cbranch_vccnz .LBB12_2229
; %bb.2220:
	global_load_u8 v2, v[0:1], off
	s_mov_b32 s4, 0
	s_mov_b32 s5, exec_lo
                                        ; implicit-def: $sgpr0_sgpr1
	s_waitcnt vmcnt(0)
	v_cmpx_lt_i16_e32 0x7f, v2
	s_xor_b32 s5, exec_lo, s5
	s_cbranch_execz .LBB12_2224
; %bb.2221:
	s_mov_b32 s6, -1
	s_mov_b32 s4, exec_lo
                                        ; implicit-def: $sgpr0_sgpr1
	v_cmpx_eq_u16_e32 0x80, v2
; %bb.2222:
	s_mov_b32 s1, 0x7ff80000
	s_brev_b32 s0, 4
	s_xor_b32 s6, exec_lo, -1
; %bb.2223:
	s_or_b32 exec_lo, exec_lo, s4
	s_delay_alu instid0(SALU_CYCLE_1)
	s_and_b32 s4, s6, exec_lo
.LBB12_2224:
	s_or_saveexec_b32 s5, s5
	v_dual_mov_b32 v46, s1 :: v_dual_mov_b32 v45, s0
	s_xor_b32 exec_lo, exec_lo, s5
; %bb.2225:
	v_cmp_ne_u16_e32 vcc_lo, 0, v2
	v_mov_b32_e32 v45, 0
	v_mov_b32_e32 v46, 0
	s_and_not1_b32 s0, s4, exec_lo
	s_and_b32 s1, vcc_lo, exec_lo
	s_delay_alu instid0(SALU_CYCLE_1)
	s_or_b32 s4, s0, s1
; %bb.2226:
	s_or_b32 exec_lo, exec_lo, s5
	s_and_saveexec_b32 s0, s4
	s_cbranch_execz .LBB12_2228
; %bb.2227:
	v_and_b32_e32 v3, 0xffff, v2
	v_lshlrev_b32_e32 v2, 24, v2
	s_delay_alu instid0(VALU_DEP_2) | instskip(NEXT) | instid1(VALU_DEP_2)
	v_and_b32_e32 v4, 7, v3
	v_and_b32_e32 v2, 0x80000000, v2
	s_delay_alu instid0(VALU_DEP_2) | instskip(NEXT) | instid1(VALU_DEP_1)
	v_clz_i32_u32_e32 v5, v4
	v_min_u32_e32 v5, 32, v5
	s_delay_alu instid0(VALU_DEP_1) | instskip(SKIP_1) | instid1(VALU_DEP_2)
	v_subrev_nc_u32_e32 v6, 28, v5
	v_sub_nc_u32_e32 v5, 29, v5
	v_lshlrev_b32_e32 v6, v6, v3
	v_bfe_u32 v3, v3, 3, 4
	s_delay_alu instid0(VALU_DEP_2) | instskip(NEXT) | instid1(VALU_DEP_2)
	v_and_b32_e32 v6, 7, v6
	v_cmp_eq_u32_e32 vcc_lo, 0, v3
	s_delay_alu instid0(VALU_DEP_2) | instskip(NEXT) | instid1(VALU_DEP_1)
	v_dual_cndmask_b32 v3, v3, v5 :: v_dual_cndmask_b32 v4, v4, v6
	v_lshl_add_u32 v3, v3, 23, 0x3b800000
	s_delay_alu instid0(VALU_DEP_2) | instskip(NEXT) | instid1(VALU_DEP_1)
	v_lshlrev_b32_e32 v4, 20, v4
	v_or3_b32 v2, v2, v3, v4
	s_delay_alu instid0(VALU_DEP_1)
	v_cvt_f64_f32_e32 v[45:46], v2
.LBB12_2228:
	s_or_b32 exec_lo, exec_lo, s0
.LBB12_2229:
	s_mov_b32 s0, -1
.LBB12_2230:
	s_mov_b32 s1, 0
.LBB12_2231:
	s_delay_alu instid0(SALU_CYCLE_1)
	s_and_b32 vcc_lo, exec_lo, s1
	s_cbranch_vccz .LBB12_2262
; %bb.2232:
	v_cmp_lt_i16_e32 vcc_lo, 22, v47
	s_cbranch_vccz .LBB12_2244
; %bb.2233:
	v_cmp_gt_i16_e32 vcc_lo, 24, v47
	s_cbranch_vccnz .LBB12_2245
; %bb.2234:
	v_cmp_lt_i16_e32 vcc_lo, 24, v47
	s_cbranch_vccz .LBB12_2246
; %bb.2235:
	global_load_u8 v2, v[0:1], off
	s_mov_b32 s4, exec_lo
                                        ; implicit-def: $sgpr0_sgpr1
	s_waitcnt vmcnt(0)
	v_cmpx_lt_i16_e32 0x7f, v2
	s_xor_b32 s4, exec_lo, s4
	s_cbranch_execz .LBB12_2239
; %bb.2236:
	s_mov_b32 s5, -1
	s_mov_b32 s3, exec_lo
                                        ; implicit-def: $sgpr0_sgpr1
	v_cmpx_eq_u16_e32 0x80, v2
; %bb.2237:
	s_mov_b32 s1, 0x7ff80000
	s_brev_b32 s0, 4
	s_xor_b32 s5, exec_lo, -1
; %bb.2238:
	s_or_b32 exec_lo, exec_lo, s3
	s_delay_alu instid0(SALU_CYCLE_1)
	s_and_b32 s3, s5, exec_lo
.LBB12_2239:
	s_or_saveexec_b32 s4, s4
	v_dual_mov_b32 v46, s1 :: v_dual_mov_b32 v45, s0
	s_xor_b32 exec_lo, exec_lo, s4
; %bb.2240:
	v_cmp_ne_u16_e32 vcc_lo, 0, v2
	v_mov_b32_e32 v45, 0
	v_mov_b32_e32 v46, 0
	s_and_not1_b32 s0, s3, exec_lo
	s_and_b32 s1, vcc_lo, exec_lo
	s_delay_alu instid0(SALU_CYCLE_1)
	s_or_b32 s3, s0, s1
; %bb.2241:
	s_or_b32 exec_lo, exec_lo, s4
	s_and_saveexec_b32 s0, s3
	s_cbranch_execz .LBB12_2243
; %bb.2242:
	v_and_b32_e32 v3, 0xffff, v2
	v_lshlrev_b32_e32 v2, 24, v2
	s_delay_alu instid0(VALU_DEP_2) | instskip(NEXT) | instid1(VALU_DEP_2)
	v_and_b32_e32 v4, 3, v3
	v_and_b32_e32 v2, 0x80000000, v2
	s_delay_alu instid0(VALU_DEP_2) | instskip(NEXT) | instid1(VALU_DEP_1)
	v_clz_i32_u32_e32 v5, v4
	v_min_u32_e32 v5, 32, v5
	s_delay_alu instid0(VALU_DEP_1) | instskip(SKIP_1) | instid1(VALU_DEP_2)
	v_subrev_nc_u32_e32 v6, 29, v5
	v_sub_nc_u32_e32 v5, 30, v5
	v_lshlrev_b32_e32 v6, v6, v3
	v_bfe_u32 v3, v3, 2, 5
	s_delay_alu instid0(VALU_DEP_2) | instskip(NEXT) | instid1(VALU_DEP_2)
	v_and_b32_e32 v6, 3, v6
	v_cmp_eq_u32_e32 vcc_lo, 0, v3
	s_delay_alu instid0(VALU_DEP_2) | instskip(NEXT) | instid1(VALU_DEP_1)
	v_dual_cndmask_b32 v3, v3, v5 :: v_dual_cndmask_b32 v4, v4, v6
	v_lshl_add_u32 v3, v3, 23, 0x37800000
	s_delay_alu instid0(VALU_DEP_2) | instskip(NEXT) | instid1(VALU_DEP_1)
	v_lshlrev_b32_e32 v4, 21, v4
	v_or3_b32 v2, v2, v3, v4
	s_delay_alu instid0(VALU_DEP_1)
	v_cvt_f64_f32_e32 v[45:46], v2
.LBB12_2243:
	s_or_b32 exec_lo, exec_lo, s0
	s_mov_b32 s0, 0
	s_branch .LBB12_2247
.LBB12_2244:
	s_mov_b32 s1, -1
                                        ; implicit-def: $vgpr45_vgpr46
	s_branch .LBB12_2253
.LBB12_2245:
	s_mov_b32 s0, -1
                                        ; implicit-def: $vgpr45_vgpr46
	s_branch .LBB12_2250
.LBB12_2246:
	s_mov_b32 s0, -1
                                        ; implicit-def: $vgpr45_vgpr46
.LBB12_2247:
	s_delay_alu instid0(SALU_CYCLE_1)
	s_and_b32 vcc_lo, exec_lo, s0
	s_cbranch_vccz .LBB12_2249
; %bb.2248:
	global_load_u8 v2, v[0:1], off
	s_waitcnt vmcnt(0)
	v_lshlrev_b32_e32 v2, 24, v2
	s_delay_alu instid0(VALU_DEP_1) | instskip(NEXT) | instid1(VALU_DEP_1)
	v_and_b32_e32 v3, 0x7f000000, v2
	v_clz_i32_u32_e32 v4, v3
	v_add_nc_u32_e32 v6, 0x1000000, v3
	v_cmp_ne_u32_e32 vcc_lo, 0, v3
	s_delay_alu instid0(VALU_DEP_3) | instskip(NEXT) | instid1(VALU_DEP_1)
	v_min_u32_e32 v4, 32, v4
	v_sub_nc_u32_e64 v4, v4, 4 clamp
	s_delay_alu instid0(VALU_DEP_1) | instskip(SKIP_1) | instid1(VALU_DEP_2)
	v_lshlrev_b32_e32 v5, v4, v3
	v_lshlrev_b32_e32 v4, 23, v4
	v_lshrrev_b32_e32 v5, 4, v5
	s_delay_alu instid0(VALU_DEP_1) | instskip(SKIP_1) | instid1(VALU_DEP_2)
	v_sub_nc_u32_e32 v4, v5, v4
	v_ashrrev_i32_e32 v5, 8, v6
	v_add_nc_u32_e32 v4, 0x3c000000, v4
	s_delay_alu instid0(VALU_DEP_1) | instskip(NEXT) | instid1(VALU_DEP_1)
	v_and_or_b32 v4, 0x7f800000, v5, v4
	v_cndmask_b32_e32 v3, 0, v4, vcc_lo
	s_delay_alu instid0(VALU_DEP_1) | instskip(NEXT) | instid1(VALU_DEP_1)
	v_and_or_b32 v2, 0x80000000, v2, v3
	v_cvt_f64_f32_e32 v[45:46], v2
.LBB12_2249:
	s_mov_b32 s0, 0
.LBB12_2250:
	s_delay_alu instid0(SALU_CYCLE_1)
	s_and_not1_b32 vcc_lo, exec_lo, s0
	s_cbranch_vccnz .LBB12_2252
; %bb.2251:
	global_load_u8 v2, v[0:1], off
	s_waitcnt vmcnt(0)
	v_lshlrev_b32_e32 v3, 25, v2
	v_lshlrev_b16 v2, 8, v2
	s_delay_alu instid0(VALU_DEP_2) | instskip(NEXT) | instid1(VALU_DEP_2)
	v_lshrrev_b32_e32 v4, 4, v3
	v_and_or_b32 v5, 0x7f00, v2, 0.5
	v_bfe_i32 v2, v2, 0, 16
	s_delay_alu instid0(VALU_DEP_3) | instskip(NEXT) | instid1(VALU_DEP_1)
	v_or_b32_e32 v4, 0x70000000, v4
	v_dual_add_f32 v5, -0.5, v5 :: v_dual_mul_f32 v4, 0x7800000, v4
	v_cmp_gt_u32_e32 vcc_lo, 0x8000000, v3
	s_delay_alu instid0(VALU_DEP_2) | instskip(NEXT) | instid1(VALU_DEP_1)
	v_cndmask_b32_e32 v3, v4, v5, vcc_lo
	v_and_or_b32 v2, 0x80000000, v2, v3
	s_delay_alu instid0(VALU_DEP_1)
	v_cvt_f64_f32_e32 v[45:46], v2
.LBB12_2252:
	s_mov_b32 s1, 0
	s_mov_b32 s0, -1
.LBB12_2253:
	s_and_not1_b32 vcc_lo, exec_lo, s1
	s_mov_b32 s3, 0
	s_cbranch_vccnz .LBB12_2262
; %bb.2254:
	v_cmp_lt_i16_e32 vcc_lo, 14, v47
	s_cbranch_vccz .LBB12_2257
; %bb.2255:
	v_cmp_eq_u16_e32 vcc_lo, 15, v47
	s_cbranch_vccz .LBB12_2258
; %bb.2256:
	global_load_u16 v2, v[0:1], off
	s_mov_b32 s2, 0
	s_mov_b32 s0, -1
	s_waitcnt vmcnt(0)
	v_lshlrev_b32_e32 v2, 16, v2
	s_delay_alu instid0(VALU_DEP_1)
	v_cvt_f64_f32_e32 v[45:46], v2
	s_branch .LBB12_2259
.LBB12_2257:
	s_mov_b32 s1, -1
                                        ; implicit-def: $vgpr45_vgpr46
	s_branch .LBB12_2260
.LBB12_2258:
	s_mov_b32 s2, -1
                                        ; implicit-def: $vgpr45_vgpr46
.LBB12_2259:
	s_mov_b32 s1, 0
.LBB12_2260:
	s_delay_alu instid0(SALU_CYCLE_1)
	s_and_b32 vcc_lo, exec_lo, s1
	s_cbranch_vccz .LBB12_2262
; %bb.2261:
	v_cmp_ne_u16_e64 s2, 11, v47
	s_mov_b32 s3, -1
                                        ; implicit-def: $vgpr45_vgpr46
.LBB12_2262:
	s_delay_alu instid0(VALU_DEP_1)
	s_and_b32 vcc_lo, exec_lo, s2
	s_cbranch_vccnz .LBB12_2327
; %bb.2263:
	s_and_not1_b32 vcc_lo, exec_lo, s3
	s_cbranch_vccnz .LBB12_2265
.LBB12_2264:
	global_load_u8 v2, v[0:1], off
	s_waitcnt vmcnt(1)
	v_mov_b32_e32 v45, 0
	s_mov_b32 s0, -1
	s_waitcnt vmcnt(0)
	v_cmp_ne_u16_e32 vcc_lo, 0, v2
	v_cndmask_b32_e64 v46, 0, 0x3ff00000, vcc_lo
.LBB12_2265:
	s_mov_b32 s1, 0
.LBB12_2266:
	s_delay_alu instid0(SALU_CYCLE_1)
	s_and_b32 vcc_lo, exec_lo, s1
	s_cbranch_vccz .LBB12_2315
; %bb.2267:
	v_cmp_gt_i16_e32 vcc_lo, 5, v47
	s_cbranch_vccnz .LBB12_2272
; %bb.2268:
	v_cmp_gt_i16_e32 vcc_lo, 8, v47
	s_cbranch_vccnz .LBB12_2273
	;; [unrolled: 3-line block ×3, first 2 shown]
; %bb.2270:
	v_cmp_lt_i16_e32 vcc_lo, 9, v47
	s_cbranch_vccz .LBB12_2275
; %bb.2271:
	global_load_b64 v[45:46], v[0:1], off
	s_mov_b32 s0, 0
	s_branch .LBB12_2276
.LBB12_2272:
	s_mov_b32 s0, -1
                                        ; implicit-def: $vgpr45_vgpr46
	s_branch .LBB12_2294
.LBB12_2273:
	s_mov_b32 s0, -1
                                        ; implicit-def: $vgpr45_vgpr46
	s_branch .LBB12_2282
.LBB12_2274:
	s_mov_b32 s0, -1
                                        ; implicit-def: $vgpr45_vgpr46
	s_branch .LBB12_2279
.LBB12_2275:
	s_mov_b32 s0, -1
                                        ; implicit-def: $vgpr45_vgpr46
.LBB12_2276:
	s_delay_alu instid0(SALU_CYCLE_1)
	s_and_not1_b32 vcc_lo, exec_lo, s0
	s_cbranch_vccnz .LBB12_2278
; %bb.2277:
	global_load_b32 v2, v[0:1], off
	s_waitcnt vmcnt(0)
	v_cvt_f64_f32_e32 v[45:46], v2
.LBB12_2278:
	s_mov_b32 s0, 0
.LBB12_2279:
	s_delay_alu instid0(SALU_CYCLE_1)
	s_and_not1_b32 vcc_lo, exec_lo, s0
	s_cbranch_vccnz .LBB12_2281
; %bb.2280:
	global_load_b32 v2, v[0:1], off
	s_waitcnt vmcnt(0)
	v_cvt_f32_f16_e32 v2, v2
	s_delay_alu instid0(VALU_DEP_1)
	v_cvt_f64_f32_e32 v[45:46], v2
.LBB12_2281:
	s_mov_b32 s0, 0
.LBB12_2282:
	s_delay_alu instid0(SALU_CYCLE_1)
	s_and_not1_b32 vcc_lo, exec_lo, s0
	s_cbranch_vccnz .LBB12_2293
; %bb.2283:
	v_cmp_gt_i16_e32 vcc_lo, 6, v47
	s_cbranch_vccnz .LBB12_2286
; %bb.2284:
	v_cmp_lt_i16_e32 vcc_lo, 6, v47
	s_cbranch_vccz .LBB12_2287
; %bb.2285:
	global_load_b64 v[45:46], v[0:1], off
	s_mov_b32 s0, 0
	s_branch .LBB12_2288
.LBB12_2286:
	s_mov_b32 s0, -1
                                        ; implicit-def: $vgpr45_vgpr46
	s_branch .LBB12_2291
.LBB12_2287:
	s_mov_b32 s0, -1
                                        ; implicit-def: $vgpr45_vgpr46
.LBB12_2288:
	s_delay_alu instid0(SALU_CYCLE_1)
	s_and_not1_b32 vcc_lo, exec_lo, s0
	s_cbranch_vccnz .LBB12_2290
; %bb.2289:
	global_load_b32 v2, v[0:1], off
	s_waitcnt vmcnt(0)
	v_cvt_f64_f32_e32 v[45:46], v2
.LBB12_2290:
	s_mov_b32 s0, 0
.LBB12_2291:
	s_delay_alu instid0(SALU_CYCLE_1)
	s_and_not1_b32 vcc_lo, exec_lo, s0
	s_cbranch_vccnz .LBB12_2293
; %bb.2292:
	global_load_u16 v2, v[0:1], off
	s_waitcnt vmcnt(0)
	v_cvt_f32_f16_e32 v2, v2
	s_delay_alu instid0(VALU_DEP_1)
	v_cvt_f64_f32_e32 v[45:46], v2
.LBB12_2293:
	s_mov_b32 s0, 0
.LBB12_2294:
	s_delay_alu instid0(SALU_CYCLE_1)
	s_and_not1_b32 vcc_lo, exec_lo, s0
	s_cbranch_vccnz .LBB12_2314
; %bb.2295:
	v_cmp_gt_i16_e32 vcc_lo, 2, v47
	s_cbranch_vccnz .LBB12_2299
; %bb.2296:
	v_cmp_gt_i16_e32 vcc_lo, 3, v47
	s_cbranch_vccnz .LBB12_2300
; %bb.2297:
	v_cmp_lt_i16_e32 vcc_lo, 3, v47
	s_cbranch_vccz .LBB12_2301
; %bb.2298:
	global_load_b64 v[2:3], v[0:1], off
	s_mov_b32 s0, 0
	s_waitcnt vmcnt(0)
	v_cvt_f64_i32_e32 v[3:4], v3
	v_cvt_f64_u32_e32 v[5:6], v2
	s_delay_alu instid0(VALU_DEP_2) | instskip(NEXT) | instid1(VALU_DEP_1)
	v_ldexp_f64 v[3:4], v[3:4], 32
	v_add_f64 v[45:46], v[3:4], v[5:6]
	s_branch .LBB12_2302
.LBB12_2299:
	s_mov_b32 s0, -1
                                        ; implicit-def: $vgpr45_vgpr46
	s_branch .LBB12_2308
.LBB12_2300:
	s_mov_b32 s0, -1
                                        ; implicit-def: $vgpr45_vgpr46
	s_branch .LBB12_2305
.LBB12_2301:
	s_mov_b32 s0, -1
                                        ; implicit-def: $vgpr45_vgpr46
.LBB12_2302:
	s_delay_alu instid0(SALU_CYCLE_1)
	s_and_not1_b32 vcc_lo, exec_lo, s0
	s_cbranch_vccnz .LBB12_2304
; %bb.2303:
	global_load_b32 v2, v[0:1], off
	s_waitcnt vmcnt(0)
	v_cvt_f64_i32_e32 v[45:46], v2
.LBB12_2304:
	s_mov_b32 s0, 0
.LBB12_2305:
	s_delay_alu instid0(SALU_CYCLE_1)
	s_and_not1_b32 vcc_lo, exec_lo, s0
	s_cbranch_vccnz .LBB12_2307
; %bb.2306:
	global_load_i16 v2, v[0:1], off
	s_waitcnt vmcnt(0)
	v_cvt_f64_i32_e32 v[45:46], v2
.LBB12_2307:
	s_mov_b32 s0, 0
.LBB12_2308:
	s_delay_alu instid0(SALU_CYCLE_1)
	s_and_not1_b32 vcc_lo, exec_lo, s0
	s_cbranch_vccnz .LBB12_2314
; %bb.2309:
	v_cmp_lt_i16_e32 vcc_lo, 0, v47
	s_mov_b32 s0, 0
	s_cbranch_vccz .LBB12_2311
; %bb.2310:
	global_load_i8 v2, v[0:1], off
	s_waitcnt vmcnt(0)
	v_cvt_f64_i32_e32 v[45:46], v2
	s_branch .LBB12_2312
.LBB12_2311:
	s_mov_b32 s0, -1
                                        ; implicit-def: $vgpr45_vgpr46
.LBB12_2312:
	s_delay_alu instid0(SALU_CYCLE_1)
	s_and_not1_b32 vcc_lo, exec_lo, s0
	s_cbranch_vccnz .LBB12_2314
; %bb.2313:
	global_load_u8 v0, v[0:1], off
	s_waitcnt vmcnt(0)
	v_cvt_f64_u32_e32 v[45:46], v0
.LBB12_2314:
	s_mov_b32 s0, -1
.LBB12_2315:
	s_delay_alu instid0(SALU_CYCLE_1)
	s_and_not1_b32 vcc_lo, exec_lo, s0
	s_cbranch_vccnz .LBB12_2727
; %bb.2316:
	v_cmp_lt_i16_e64 s0, s53, 11
	v_add_co_u32 v0, s1, s48, v60
	s_delay_alu instid0(VALU_DEP_1) | instskip(NEXT) | instid1(VALU_DEP_3)
	v_add_co_ci_u32_e64 v1, null, s49, 0, s1
	s_and_b32 vcc_lo, exec_lo, s0
	s_mov_b32 s0, 0
	s_cbranch_vccnz .LBB12_2323
; %bb.2317:
	v_cmp_gt_i16_e64 s0, s53, 25
	s_mov_b32 s3, 0
	s_delay_alu instid0(VALU_DEP_1)
	s_and_b32 vcc_lo, exec_lo, s0
	s_cbranch_vccz .LBB12_2324
; %bb.2318:
	v_cmp_gt_i16_e64 s0, s53, 28
	s_delay_alu instid0(VALU_DEP_1)
	s_and_b32 vcc_lo, exec_lo, s0
	s_cbranch_vccz .LBB12_2325
; %bb.2319:
	v_cmp_gt_i16_e64 s0, s53, 43
	;; [unrolled: 5-line block ×3, first 2 shown]
	s_delay_alu instid0(VALU_DEP_1)
	s_and_b32 vcc_lo, exec_lo, s0
	s_cbranch_vccz .LBB12_2329
; %bb.2321:
	v_cmp_eq_u16_e64 s0, s53, 46
	s_mov_b32 s1, 0
	s_delay_alu instid0(VALU_DEP_1)
	s_and_b32 vcc_lo, exec_lo, s0
	s_cbranch_vccz .LBB12_2334
; %bb.2322:
	global_load_b32 v2, v[0:1], off
	s_mov_b32 s2, 0
	s_mov_b32 s0, -1
	s_waitcnt vmcnt(0)
	v_lshlrev_b32_e32 v2, 16, v2
	s_delay_alu instid0(VALU_DEP_1)
	v_cvt_f64_f32_e32 v[58:59], v2
	s_branch .LBB12_2336
.LBB12_2323:
	s_mov_b32 s1, -1
                                        ; implicit-def: $vgpr58_vgpr59
	s_branch .LBB12_2402
.LBB12_2324:
	s_mov_b32 s1, -1
	s_mov_b32 s0, 0
	s_mov_b32 s2, 0
                                        ; implicit-def: $vgpr58_vgpr59
	s_branch .LBB12_2367
.LBB12_2325:
	s_mov_b32 s1, -1
	s_mov_b32 s0, 0
	s_mov_b32 s2, 0
                                        ; implicit-def: $vgpr58_vgpr59
	s_branch .LBB12_2346
.LBB12_2326:
	s_mov_b32 s1, -1
	s_mov_b32 s0, 0
	s_mov_b32 s2, 0
                                        ; implicit-def: $vgpr58_vgpr59
	s_branch .LBB12_2341
.LBB12_2327:
	s_cbranch_execnz .LBB12_2330
; %bb.2328:
	s_or_b32 s43, s43, exec_lo
                                        ; implicit-def: $vgpr45_vgpr46
	s_cbranch_execz .LBB12_2264
	s_branch .LBB12_2265
.LBB12_2329:
	s_mov_b32 s1, -1
	s_mov_b32 s0, 0
	s_mov_b32 s2, 0
	s_branch .LBB12_2335
.LBB12_2330:
	s_trap 2
	s_sendmsg_rtn_b32 s0, sendmsg(MSG_RTN_GET_DOORBELL)
	s_mov_b32 ttmp2, m0
	s_waitcnt lgkmcnt(0)
	s_and_b32 s0, s0, 0x3ff
	s_delay_alu instid0(SALU_CYCLE_1) | instskip(NEXT) | instid1(SALU_CYCLE_1)
	s_bitset1_b32 s0, 10
	s_mov_b32 m0, s0
	s_sendmsg sendmsg(MSG_INTERRUPT)
	s_mov_b32 m0, ttmp2
.LBB12_2331:                            ; =>This Inner Loop Header: Depth=1
	s_sethalt 5
	s_branch .LBB12_2331
.LBB12_2332:
	s_or_saveexec_b32 s5, s5
                                        ; implicit-def: $sgpr6
	s_delay_alu instid0(SALU_CYCLE_1)
	s_xor_b32 exec_lo, exec_lo, s5
	s_cbranch_execz .LBB12_1188
.LBB12_2333:
	v_add_f32_e64 v3, 0x42800000, |v2|
	s_and_not1_b32 s4, s4, exec_lo
	s_mov_b32 s6, 0
	s_delay_alu instid0(VALU_DEP_1) | instskip(NEXT) | instid1(VALU_DEP_1)
	v_and_b32_e32 v3, 0xff, v3
	v_cmp_ne_u32_e32 vcc_lo, 0, v3
	s_and_b32 s7, vcc_lo, exec_lo
	s_delay_alu instid0(SALU_CYCLE_1)
	s_or_b32 s4, s4, s7
	s_or_b32 exec_lo, exec_lo, s5
	v_mov_b32_e32 v7, s6
	s_and_saveexec_b32 s5, s4
	s_cbranch_execnz .LBB12_1189
	s_branch .LBB12_1190
.LBB12_2334:
	s_mov_b32 s2, -1
	s_mov_b32 s0, 0
.LBB12_2335:
                                        ; implicit-def: $vgpr58_vgpr59
.LBB12_2336:
	s_and_b32 vcc_lo, exec_lo, s1
	s_cbranch_vccz .LBB12_2340
; %bb.2337:
	v_cmp_eq_u16_e64 s1, s53, 44
	s_delay_alu instid0(VALU_DEP_1)
	s_and_b32 vcc_lo, exec_lo, s1
	s_cbranch_vccz .LBB12_2339
; %bb.2338:
	global_load_u8 v4, v[0:1], off
	s_mov_b32 s2, 0
	s_mov_b32 s0, -1
	s_waitcnt vmcnt(0)
	v_cmp_ne_u32_e32 vcc_lo, 0xff, v4
	v_lshlrev_b32_e32 v2, 23, v4
	s_delay_alu instid0(VALU_DEP_1) | instskip(NEXT) | instid1(VALU_DEP_1)
	v_cvt_f64_f32_e32 v[2:3], v2
	v_cndmask_b32_e32 v3, 0x7ff80000, v3, vcc_lo
	s_delay_alu instid0(VALU_DEP_2) | instskip(SKIP_1) | instid1(VALU_DEP_3)
	v_cndmask_b32_e32 v2, 0x20000000, v2, vcc_lo
	v_cmp_ne_u32_e32 vcc_lo, 0, v4
	v_cndmask_b32_e32 v59, 0x38000000, v3, vcc_lo
	s_delay_alu instid0(VALU_DEP_3)
	v_cndmask_b32_e32 v58, 0, v2, vcc_lo
	s_branch .LBB12_2340
.LBB12_2339:
	s_mov_b32 s2, -1
                                        ; implicit-def: $vgpr58_vgpr59
.LBB12_2340:
	s_mov_b32 s1, 0
.LBB12_2341:
	s_delay_alu instid0(SALU_CYCLE_1)
	s_and_b32 vcc_lo, exec_lo, s1
	s_cbranch_vccz .LBB12_2345
; %bb.2342:
	v_cmp_eq_u16_e64 s1, s53, 29
	s_delay_alu instid0(VALU_DEP_1)
	s_and_b32 vcc_lo, exec_lo, s1
	s_cbranch_vccz .LBB12_2344
; %bb.2343:
	global_load_b64 v[2:3], v[0:1], off
	s_mov_b32 s2, 0
	s_mov_b32 s0, -1
	s_mov_b32 s1, 0
	s_waitcnt vmcnt(0)
	v_cvt_f64_u32_e32 v[3:4], v3
	v_cvt_f64_u32_e32 v[5:6], v2
	s_delay_alu instid0(VALU_DEP_2) | instskip(NEXT) | instid1(VALU_DEP_1)
	v_ldexp_f64 v[3:4], v[3:4], 32
	v_add_f64 v[58:59], v[3:4], v[5:6]
	s_branch .LBB12_2346
.LBB12_2344:
	s_mov_b32 s2, -1
                                        ; implicit-def: $vgpr58_vgpr59
.LBB12_2345:
	s_mov_b32 s1, 0
.LBB12_2346:
	s_delay_alu instid0(SALU_CYCLE_1)
	s_and_b32 vcc_lo, exec_lo, s1
	s_cbranch_vccz .LBB12_2366
; %bb.2347:
	v_cmp_lt_i16_e64 s0, s53, 27
	s_delay_alu instid0(VALU_DEP_1)
	s_and_b32 vcc_lo, exec_lo, s0
	s_cbranch_vccnz .LBB12_2350
; %bb.2348:
	v_cmp_gt_i16_e64 s0, s53, 27
	s_delay_alu instid0(VALU_DEP_1)
	s_and_b32 vcc_lo, exec_lo, s0
	s_cbranch_vccz .LBB12_2351
; %bb.2349:
	global_load_b32 v2, v[0:1], off
	s_mov_b32 s0, 0
	s_waitcnt vmcnt(0)
	v_cvt_f64_u32_e32 v[58:59], v2
	s_branch .LBB12_2352
.LBB12_2350:
	s_mov_b32 s0, -1
                                        ; implicit-def: $vgpr58_vgpr59
	s_branch .LBB12_2355
.LBB12_2351:
	s_mov_b32 s0, -1
                                        ; implicit-def: $vgpr58_vgpr59
.LBB12_2352:
	s_delay_alu instid0(SALU_CYCLE_1)
	s_and_not1_b32 vcc_lo, exec_lo, s0
	s_cbranch_vccnz .LBB12_2354
; %bb.2353:
	global_load_u16 v2, v[0:1], off
	s_waitcnt vmcnt(0)
	v_cvt_f64_u32_e32 v[58:59], v2
.LBB12_2354:
	s_mov_b32 s0, 0
.LBB12_2355:
	s_delay_alu instid0(SALU_CYCLE_1)
	s_and_not1_b32 vcc_lo, exec_lo, s0
	s_cbranch_vccnz .LBB12_2365
; %bb.2356:
	global_load_u8 v2, v[0:1], off
	s_mov_b32 s4, 0
	s_mov_b32 s5, exec_lo
                                        ; implicit-def: $sgpr0_sgpr1
	s_waitcnt vmcnt(0)
	v_cmpx_lt_i16_e32 0x7f, v2
	s_xor_b32 s5, exec_lo, s5
	s_cbranch_execz .LBB12_2360
; %bb.2357:
	s_mov_b32 s6, -1
	s_mov_b32 s4, exec_lo
                                        ; implicit-def: $sgpr0_sgpr1
	v_cmpx_eq_u16_e32 0x80, v2
; %bb.2358:
	s_mov_b32 s1, 0x7ff80000
	s_brev_b32 s0, 4
	s_xor_b32 s6, exec_lo, -1
; %bb.2359:
	s_or_b32 exec_lo, exec_lo, s4
	s_delay_alu instid0(SALU_CYCLE_1)
	s_and_b32 s4, s6, exec_lo
.LBB12_2360:
	s_or_saveexec_b32 s5, s5
	v_dual_mov_b32 v59, s1 :: v_dual_mov_b32 v58, s0
	s_xor_b32 exec_lo, exec_lo, s5
; %bb.2361:
	v_cmp_ne_u16_e32 vcc_lo, 0, v2
	v_mov_b32_e32 v58, 0
	v_mov_b32_e32 v59, 0
	s_and_not1_b32 s0, s4, exec_lo
	s_and_b32 s1, vcc_lo, exec_lo
	s_delay_alu instid0(SALU_CYCLE_1)
	s_or_b32 s4, s0, s1
; %bb.2362:
	s_or_b32 exec_lo, exec_lo, s5
	s_and_saveexec_b32 s0, s4
	s_cbranch_execz .LBB12_2364
; %bb.2363:
	v_and_b32_e32 v3, 0xffff, v2
	v_lshlrev_b32_e32 v2, 24, v2
	s_delay_alu instid0(VALU_DEP_2) | instskip(NEXT) | instid1(VALU_DEP_2)
	v_and_b32_e32 v4, 7, v3
	v_and_b32_e32 v2, 0x80000000, v2
	s_delay_alu instid0(VALU_DEP_2) | instskip(NEXT) | instid1(VALU_DEP_1)
	v_clz_i32_u32_e32 v5, v4
	v_min_u32_e32 v5, 32, v5
	s_delay_alu instid0(VALU_DEP_1) | instskip(SKIP_1) | instid1(VALU_DEP_2)
	v_subrev_nc_u32_e32 v6, 28, v5
	v_sub_nc_u32_e32 v5, 29, v5
	v_lshlrev_b32_e32 v6, v6, v3
	v_bfe_u32 v3, v3, 3, 4
	s_delay_alu instid0(VALU_DEP_2) | instskip(NEXT) | instid1(VALU_DEP_2)
	v_and_b32_e32 v6, 7, v6
	v_cmp_eq_u32_e32 vcc_lo, 0, v3
	s_delay_alu instid0(VALU_DEP_2) | instskip(NEXT) | instid1(VALU_DEP_1)
	v_dual_cndmask_b32 v3, v3, v5 :: v_dual_cndmask_b32 v4, v4, v6
	v_lshl_add_u32 v3, v3, 23, 0x3b800000
	s_delay_alu instid0(VALU_DEP_2) | instskip(NEXT) | instid1(VALU_DEP_1)
	v_lshlrev_b32_e32 v4, 20, v4
	v_or3_b32 v2, v2, v3, v4
	s_delay_alu instid0(VALU_DEP_1)
	v_cvt_f64_f32_e32 v[58:59], v2
.LBB12_2364:
	s_or_b32 exec_lo, exec_lo, s0
.LBB12_2365:
	s_mov_b32 s0, -1
.LBB12_2366:
	s_mov_b32 s1, 0
.LBB12_2367:
	s_delay_alu instid0(SALU_CYCLE_1)
	s_and_b32 vcc_lo, exec_lo, s1
	s_cbranch_vccz .LBB12_2398
; %bb.2368:
	v_cmp_gt_i16_e64 s1, s53, 22
	s_delay_alu instid0(VALU_DEP_1)
	s_and_b32 vcc_lo, exec_lo, s1
	s_cbranch_vccz .LBB12_2380
; %bb.2369:
	v_cmp_lt_i16_e64 s0, s53, 24
	s_delay_alu instid0(VALU_DEP_1)
	s_and_b32 vcc_lo, exec_lo, s0
	s_cbranch_vccnz .LBB12_2381
; %bb.2370:
	v_cmp_gt_i16_e64 s0, s53, 24
	s_delay_alu instid0(VALU_DEP_1)
	s_and_b32 vcc_lo, exec_lo, s0
	s_cbranch_vccz .LBB12_2382
; %bb.2371:
	global_load_u8 v2, v[0:1], off
	s_mov_b32 s4, exec_lo
                                        ; implicit-def: $sgpr0_sgpr1
	s_waitcnt vmcnt(0)
	v_cmpx_lt_i16_e32 0x7f, v2
	s_xor_b32 s4, exec_lo, s4
	s_cbranch_execz .LBB12_2375
; %bb.2372:
	s_mov_b32 s5, -1
	s_mov_b32 s3, exec_lo
                                        ; implicit-def: $sgpr0_sgpr1
	v_cmpx_eq_u16_e32 0x80, v2
; %bb.2373:
	s_mov_b32 s1, 0x7ff80000
	s_brev_b32 s0, 4
	s_xor_b32 s5, exec_lo, -1
; %bb.2374:
	s_or_b32 exec_lo, exec_lo, s3
	s_delay_alu instid0(SALU_CYCLE_1)
	s_and_b32 s3, s5, exec_lo
.LBB12_2375:
	s_or_saveexec_b32 s4, s4
	v_dual_mov_b32 v59, s1 :: v_dual_mov_b32 v58, s0
	s_xor_b32 exec_lo, exec_lo, s4
; %bb.2376:
	v_cmp_ne_u16_e32 vcc_lo, 0, v2
	v_mov_b32_e32 v58, 0
	v_mov_b32_e32 v59, 0
	s_and_not1_b32 s0, s3, exec_lo
	s_and_b32 s1, vcc_lo, exec_lo
	s_delay_alu instid0(SALU_CYCLE_1)
	s_or_b32 s3, s0, s1
; %bb.2377:
	s_or_b32 exec_lo, exec_lo, s4
	s_and_saveexec_b32 s0, s3
	s_cbranch_execz .LBB12_2379
; %bb.2378:
	v_and_b32_e32 v3, 0xffff, v2
	v_lshlrev_b32_e32 v2, 24, v2
	s_delay_alu instid0(VALU_DEP_2) | instskip(NEXT) | instid1(VALU_DEP_2)
	v_and_b32_e32 v4, 3, v3
	v_and_b32_e32 v2, 0x80000000, v2
	s_delay_alu instid0(VALU_DEP_2) | instskip(NEXT) | instid1(VALU_DEP_1)
	v_clz_i32_u32_e32 v5, v4
	v_min_u32_e32 v5, 32, v5
	s_delay_alu instid0(VALU_DEP_1) | instskip(SKIP_1) | instid1(VALU_DEP_2)
	v_subrev_nc_u32_e32 v6, 29, v5
	v_sub_nc_u32_e32 v5, 30, v5
	v_lshlrev_b32_e32 v6, v6, v3
	v_bfe_u32 v3, v3, 2, 5
	s_delay_alu instid0(VALU_DEP_2) | instskip(NEXT) | instid1(VALU_DEP_2)
	v_and_b32_e32 v6, 3, v6
	v_cmp_eq_u32_e32 vcc_lo, 0, v3
	s_delay_alu instid0(VALU_DEP_2) | instskip(NEXT) | instid1(VALU_DEP_1)
	v_dual_cndmask_b32 v3, v3, v5 :: v_dual_cndmask_b32 v4, v4, v6
	v_lshl_add_u32 v3, v3, 23, 0x37800000
	s_delay_alu instid0(VALU_DEP_2) | instskip(NEXT) | instid1(VALU_DEP_1)
	v_lshlrev_b32_e32 v4, 21, v4
	v_or3_b32 v2, v2, v3, v4
	s_delay_alu instid0(VALU_DEP_1)
	v_cvt_f64_f32_e32 v[58:59], v2
.LBB12_2379:
	s_or_b32 exec_lo, exec_lo, s0
	s_mov_b32 s0, 0
	s_branch .LBB12_2383
.LBB12_2380:
	s_mov_b32 s1, -1
                                        ; implicit-def: $vgpr58_vgpr59
	s_branch .LBB12_2389
.LBB12_2381:
	s_mov_b32 s0, -1
                                        ; implicit-def: $vgpr58_vgpr59
	s_branch .LBB12_2386
.LBB12_2382:
	s_mov_b32 s0, -1
                                        ; implicit-def: $vgpr58_vgpr59
.LBB12_2383:
	s_delay_alu instid0(SALU_CYCLE_1)
	s_and_b32 vcc_lo, exec_lo, s0
	s_cbranch_vccz .LBB12_2385
; %bb.2384:
	global_load_u8 v2, v[0:1], off
	s_waitcnt vmcnt(0)
	v_lshlrev_b32_e32 v2, 24, v2
	s_delay_alu instid0(VALU_DEP_1) | instskip(NEXT) | instid1(VALU_DEP_1)
	v_and_b32_e32 v3, 0x7f000000, v2
	v_clz_i32_u32_e32 v4, v3
	v_add_nc_u32_e32 v6, 0x1000000, v3
	v_cmp_ne_u32_e32 vcc_lo, 0, v3
	s_delay_alu instid0(VALU_DEP_3) | instskip(NEXT) | instid1(VALU_DEP_1)
	v_min_u32_e32 v4, 32, v4
	v_sub_nc_u32_e64 v4, v4, 4 clamp
	s_delay_alu instid0(VALU_DEP_1) | instskip(SKIP_1) | instid1(VALU_DEP_2)
	v_lshlrev_b32_e32 v5, v4, v3
	v_lshlrev_b32_e32 v4, 23, v4
	v_lshrrev_b32_e32 v5, 4, v5
	s_delay_alu instid0(VALU_DEP_1) | instskip(SKIP_1) | instid1(VALU_DEP_2)
	v_sub_nc_u32_e32 v4, v5, v4
	v_ashrrev_i32_e32 v5, 8, v6
	v_add_nc_u32_e32 v4, 0x3c000000, v4
	s_delay_alu instid0(VALU_DEP_1) | instskip(NEXT) | instid1(VALU_DEP_1)
	v_and_or_b32 v4, 0x7f800000, v5, v4
	v_cndmask_b32_e32 v3, 0, v4, vcc_lo
	s_delay_alu instid0(VALU_DEP_1) | instskip(NEXT) | instid1(VALU_DEP_1)
	v_and_or_b32 v2, 0x80000000, v2, v3
	v_cvt_f64_f32_e32 v[58:59], v2
.LBB12_2385:
	s_mov_b32 s0, 0
.LBB12_2386:
	s_delay_alu instid0(SALU_CYCLE_1)
	s_and_not1_b32 vcc_lo, exec_lo, s0
	s_cbranch_vccnz .LBB12_2388
; %bb.2387:
	global_load_u8 v2, v[0:1], off
	s_waitcnt vmcnt(0)
	v_lshlrev_b32_e32 v3, 25, v2
	v_lshlrev_b16 v2, 8, v2
	s_delay_alu instid0(VALU_DEP_2) | instskip(NEXT) | instid1(VALU_DEP_2)
	v_lshrrev_b32_e32 v4, 4, v3
	v_and_or_b32 v5, 0x7f00, v2, 0.5
	v_bfe_i32 v2, v2, 0, 16
	s_delay_alu instid0(VALU_DEP_3) | instskip(NEXT) | instid1(VALU_DEP_1)
	v_or_b32_e32 v4, 0x70000000, v4
	v_dual_add_f32 v5, -0.5, v5 :: v_dual_mul_f32 v4, 0x7800000, v4
	v_cmp_gt_u32_e32 vcc_lo, 0x8000000, v3
	s_delay_alu instid0(VALU_DEP_2) | instskip(NEXT) | instid1(VALU_DEP_1)
	v_cndmask_b32_e32 v3, v4, v5, vcc_lo
	v_and_or_b32 v2, 0x80000000, v2, v3
	s_delay_alu instid0(VALU_DEP_1)
	v_cvt_f64_f32_e32 v[58:59], v2
.LBB12_2388:
	s_mov_b32 s1, 0
	s_mov_b32 s0, -1
.LBB12_2389:
	s_and_not1_b32 vcc_lo, exec_lo, s1
	s_mov_b32 s3, 0
	s_cbranch_vccnz .LBB12_2398
; %bb.2390:
	v_cmp_gt_i16_e64 s1, s53, 14
	s_delay_alu instid0(VALU_DEP_1)
	s_and_b32 vcc_lo, exec_lo, s1
	s_cbranch_vccz .LBB12_2393
; %bb.2391:
	v_cmp_eq_u16_e64 s1, s53, 15
	s_delay_alu instid0(VALU_DEP_1)
	s_and_b32 vcc_lo, exec_lo, s1
	s_cbranch_vccz .LBB12_2394
; %bb.2392:
	global_load_u16 v2, v[0:1], off
	s_mov_b32 s2, 0
	s_mov_b32 s0, -1
	s_waitcnt vmcnt(0)
	v_lshlrev_b32_e32 v2, 16, v2
	s_delay_alu instid0(VALU_DEP_1)
	v_cvt_f64_f32_e32 v[58:59], v2
	s_branch .LBB12_2395
.LBB12_2393:
	s_mov_b32 s1, -1
                                        ; implicit-def: $vgpr58_vgpr59
	s_branch .LBB12_2396
.LBB12_2394:
	s_mov_b32 s2, -1
                                        ; implicit-def: $vgpr58_vgpr59
.LBB12_2395:
	s_mov_b32 s1, 0
.LBB12_2396:
	s_delay_alu instid0(SALU_CYCLE_1)
	s_and_b32 vcc_lo, exec_lo, s1
	s_cbranch_vccz .LBB12_2398
; %bb.2397:
	v_cmp_ne_u16_e64 s2, s53, 11
	s_mov_b32 s3, -1
                                        ; implicit-def: $vgpr58_vgpr59
.LBB12_2398:
	s_delay_alu instid0(VALU_DEP_1)
	s_and_b32 vcc_lo, exec_lo, s2
	s_cbranch_vccnz .LBB12_2468
; %bb.2399:
	s_and_not1_b32 vcc_lo, exec_lo, s3
	s_cbranch_vccnz .LBB12_2401
.LBB12_2400:
	global_load_u8 v2, v[0:1], off
	s_waitcnt vmcnt(1)
	v_mov_b32_e32 v58, 0
	s_mov_b32 s0, -1
	s_waitcnt vmcnt(0)
	v_cmp_ne_u16_e32 vcc_lo, 0, v2
	v_cndmask_b32_e64 v59, 0, 0x3ff00000, vcc_lo
.LBB12_2401:
	s_mov_b32 s1, 0
.LBB12_2402:
	s_delay_alu instid0(SALU_CYCLE_1)
	s_and_b32 vcc_lo, exec_lo, s1
	s_cbranch_vccz .LBB12_2451
; %bb.2403:
	v_cmp_lt_i16_e64 s0, s53, 5
	s_delay_alu instid0(VALU_DEP_1)
	s_and_b32 vcc_lo, exec_lo, s0
	s_cbranch_vccnz .LBB12_2408
; %bb.2404:
	v_cmp_lt_i16_e64 s0, s53, 8
	s_delay_alu instid0(VALU_DEP_1)
	s_and_b32 vcc_lo, exec_lo, s0
	s_cbranch_vccnz .LBB12_2409
	;; [unrolled: 5-line block ×3, first 2 shown]
; %bb.2406:
	v_cmp_gt_i16_e64 s0, s53, 9
	s_delay_alu instid0(VALU_DEP_1)
	s_and_b32 vcc_lo, exec_lo, s0
	s_cbranch_vccz .LBB12_2411
; %bb.2407:
	global_load_b64 v[58:59], v[0:1], off
	s_mov_b32 s0, 0
	s_branch .LBB12_2412
.LBB12_2408:
	s_mov_b32 s0, -1
                                        ; implicit-def: $vgpr58_vgpr59
	s_branch .LBB12_2430
.LBB12_2409:
	s_mov_b32 s0, -1
                                        ; implicit-def: $vgpr58_vgpr59
	s_branch .LBB12_2418
.LBB12_2410:
	s_mov_b32 s0, -1
                                        ; implicit-def: $vgpr58_vgpr59
	s_branch .LBB12_2415
.LBB12_2411:
	s_mov_b32 s0, -1
                                        ; implicit-def: $vgpr58_vgpr59
.LBB12_2412:
	s_delay_alu instid0(SALU_CYCLE_1)
	s_and_not1_b32 vcc_lo, exec_lo, s0
	s_cbranch_vccnz .LBB12_2414
; %bb.2413:
	global_load_b32 v2, v[0:1], off
	s_waitcnt vmcnt(0)
	v_cvt_f64_f32_e32 v[58:59], v2
.LBB12_2414:
	s_mov_b32 s0, 0
.LBB12_2415:
	s_delay_alu instid0(SALU_CYCLE_1)
	s_and_not1_b32 vcc_lo, exec_lo, s0
	s_cbranch_vccnz .LBB12_2417
; %bb.2416:
	global_load_b32 v2, v[0:1], off
	s_waitcnt vmcnt(0)
	v_cvt_f32_f16_e32 v2, v2
	s_delay_alu instid0(VALU_DEP_1)
	v_cvt_f64_f32_e32 v[58:59], v2
.LBB12_2417:
	s_mov_b32 s0, 0
.LBB12_2418:
	s_delay_alu instid0(SALU_CYCLE_1)
	s_and_not1_b32 vcc_lo, exec_lo, s0
	s_cbranch_vccnz .LBB12_2429
; %bb.2419:
	v_cmp_lt_i16_e64 s0, s53, 6
	s_delay_alu instid0(VALU_DEP_1)
	s_and_b32 vcc_lo, exec_lo, s0
	s_cbranch_vccnz .LBB12_2422
; %bb.2420:
	v_cmp_gt_i16_e64 s0, s53, 6
	s_delay_alu instid0(VALU_DEP_1)
	s_and_b32 vcc_lo, exec_lo, s0
	s_cbranch_vccz .LBB12_2423
; %bb.2421:
	global_load_b64 v[58:59], v[0:1], off
	s_mov_b32 s0, 0
	s_branch .LBB12_2424
.LBB12_2422:
	s_mov_b32 s0, -1
                                        ; implicit-def: $vgpr58_vgpr59
	s_branch .LBB12_2427
.LBB12_2423:
	s_mov_b32 s0, -1
                                        ; implicit-def: $vgpr58_vgpr59
.LBB12_2424:
	s_delay_alu instid0(SALU_CYCLE_1)
	s_and_not1_b32 vcc_lo, exec_lo, s0
	s_cbranch_vccnz .LBB12_2426
; %bb.2425:
	global_load_b32 v2, v[0:1], off
	s_waitcnt vmcnt(0)
	v_cvt_f64_f32_e32 v[58:59], v2
.LBB12_2426:
	s_mov_b32 s0, 0
.LBB12_2427:
	s_delay_alu instid0(SALU_CYCLE_1)
	s_and_not1_b32 vcc_lo, exec_lo, s0
	s_cbranch_vccnz .LBB12_2429
; %bb.2428:
	global_load_u16 v2, v[0:1], off
	s_waitcnt vmcnt(0)
	v_cvt_f32_f16_e32 v2, v2
	s_delay_alu instid0(VALU_DEP_1)
	v_cvt_f64_f32_e32 v[58:59], v2
.LBB12_2429:
	s_mov_b32 s0, 0
.LBB12_2430:
	s_delay_alu instid0(SALU_CYCLE_1)
	s_and_not1_b32 vcc_lo, exec_lo, s0
	s_cbranch_vccnz .LBB12_2450
; %bb.2431:
	v_cmp_lt_i16_e64 s0, s53, 2
	s_delay_alu instid0(VALU_DEP_1)
	s_and_b32 vcc_lo, exec_lo, s0
	s_cbranch_vccnz .LBB12_2435
; %bb.2432:
	v_cmp_lt_i16_e64 s0, s53, 3
	s_delay_alu instid0(VALU_DEP_1)
	s_and_b32 vcc_lo, exec_lo, s0
	s_cbranch_vccnz .LBB12_2436
; %bb.2433:
	v_cmp_gt_i16_e64 s0, s53, 3
	s_delay_alu instid0(VALU_DEP_1)
	s_and_b32 vcc_lo, exec_lo, s0
	s_cbranch_vccz .LBB12_2437
; %bb.2434:
	global_load_b64 v[2:3], v[0:1], off
	s_mov_b32 s0, 0
	s_waitcnt vmcnt(0)
	v_cvt_f64_i32_e32 v[3:4], v3
	v_cvt_f64_u32_e32 v[5:6], v2
	s_delay_alu instid0(VALU_DEP_2) | instskip(NEXT) | instid1(VALU_DEP_1)
	v_ldexp_f64 v[3:4], v[3:4], 32
	v_add_f64 v[58:59], v[3:4], v[5:6]
	s_branch .LBB12_2438
.LBB12_2435:
	s_mov_b32 s0, -1
                                        ; implicit-def: $vgpr58_vgpr59
	s_branch .LBB12_2444
.LBB12_2436:
	s_mov_b32 s0, -1
                                        ; implicit-def: $vgpr58_vgpr59
	s_branch .LBB12_2441
.LBB12_2437:
	s_mov_b32 s0, -1
                                        ; implicit-def: $vgpr58_vgpr59
.LBB12_2438:
	s_delay_alu instid0(SALU_CYCLE_1)
	s_and_not1_b32 vcc_lo, exec_lo, s0
	s_cbranch_vccnz .LBB12_2440
; %bb.2439:
	global_load_b32 v2, v[0:1], off
	s_waitcnt vmcnt(0)
	v_cvt_f64_i32_e32 v[58:59], v2
.LBB12_2440:
	s_mov_b32 s0, 0
.LBB12_2441:
	s_delay_alu instid0(SALU_CYCLE_1)
	s_and_not1_b32 vcc_lo, exec_lo, s0
	s_cbranch_vccnz .LBB12_2443
; %bb.2442:
	global_load_i16 v2, v[0:1], off
	s_waitcnt vmcnt(0)
	v_cvt_f64_i32_e32 v[58:59], v2
.LBB12_2443:
	s_mov_b32 s0, 0
.LBB12_2444:
	s_delay_alu instid0(SALU_CYCLE_1)
	s_and_not1_b32 vcc_lo, exec_lo, s0
	s_cbranch_vccnz .LBB12_2450
; %bb.2445:
	v_cmp_gt_i16_e64 s0, s53, 0
	s_delay_alu instid0(VALU_DEP_1)
	s_and_b32 vcc_lo, exec_lo, s0
	s_mov_b32 s0, 0
	s_cbranch_vccz .LBB12_2447
; %bb.2446:
	global_load_i8 v2, v[0:1], off
	s_waitcnt vmcnt(0)
	v_cvt_f64_i32_e32 v[58:59], v2
	s_branch .LBB12_2448
.LBB12_2447:
	s_mov_b32 s0, -1
                                        ; implicit-def: $vgpr58_vgpr59
.LBB12_2448:
	s_delay_alu instid0(SALU_CYCLE_1)
	s_and_not1_b32 vcc_lo, exec_lo, s0
	s_cbranch_vccnz .LBB12_2450
; %bb.2449:
	global_load_u8 v0, v[0:1], off
	s_waitcnt vmcnt(0)
	v_cvt_f64_u32_e32 v[58:59], v0
.LBB12_2450:
	s_mov_b32 s0, -1
.LBB12_2451:
	s_delay_alu instid0(SALU_CYCLE_1)
	s_and_not1_b32 vcc_lo, exec_lo, s0
	s_cbranch_vccnz .LBB12_2727
; %bb.2452:
	s_and_b32 vcc_lo, exec_lo, s54
	s_cbranch_vccz .LBB12_2454
; %bb.2453:
	s_waitcnt vmcnt(0)
	s_delay_alu instid0(VALU_DEP_4) | instskip(NEXT) | instid1(VALU_DEP_2)
	v_dual_mov_b32 v0, v45 :: v_dual_mov_b32 v1, v46
	v_dual_mov_b32 v2, v58 :: v_dual_mov_b32 v3, v59
	s_getpc_b64 s[0:1]
	s_add_u32 s0, s0, _ZN12_GLOBAL__N_111calc_igammaIdEET_S1_S1_@rel32@lo+4
	s_addc_u32 s1, s1, _ZN12_GLOBAL__N_111calc_igammaIdEET_S1_S1_@rel32@hi+12
	s_delay_alu instid0(SALU_CYCLE_1)
	s_swappc_b64 s[30:31], s[0:1]
	v_dual_mov_b32 v60, v0 :: v_dual_mov_b32 v61, v1
	s_mov_b32 s0, 0
	s_branch .LBB12_2455
.LBB12_2454:
	s_mov_b32 s0, -1
                                        ; implicit-def: $vgpr60_vgpr61
.LBB12_2455:
	s_delay_alu instid0(SALU_CYCLE_1)
	s_and_not1_b32 vcc_lo, exec_lo, s0
	s_cbranch_vccnz .LBB12_2457
; %bb.2456:
	s_waitcnt vmcnt(0)
	s_delay_alu instid0(VALU_DEP_4) | instskip(NEXT) | instid1(VALU_DEP_2)
	v_dual_mov_b32 v0, v45 :: v_dual_mov_b32 v1, v46
	v_dual_mov_b32 v2, v58 :: v_dual_mov_b32 v3, v59
	s_getpc_b64 s[0:1]
	s_add_u32 s0, s0, _ZN12_GLOBAL__N_112calc_igammacIdEET_S1_S1_@rel32@lo+4
	s_addc_u32 s1, s1, _ZN12_GLOBAL__N_112calc_igammacIdEET_S1_S1_@rel32@hi+12
	s_delay_alu instid0(SALU_CYCLE_1)
	s_swappc_b64 s[30:31], s[0:1]
	v_dual_mov_b32 v60, v0 :: v_dual_mov_b32 v61, v1
.LBB12_2457:
	v_cmp_gt_i16_e32 vcc_lo, 11, v47
	v_add_co_u32 v0, s0, s46, v76
	s_delay_alu instid0(VALU_DEP_1)
	v_add_co_ci_u32_e64 v1, null, s47, 0, s0
	s_mov_b32 s0, 0
	s_cbranch_vccnz .LBB12_2464
; %bb.2458:
	v_cmp_lt_i16_e32 vcc_lo, 25, v47
	s_mov_b32 s3, 0
	s_cbranch_vccz .LBB12_2465
; %bb.2459:
	v_cmp_lt_i16_e32 vcc_lo, 28, v47
	s_cbranch_vccz .LBB12_2466
; %bb.2460:
	v_cmp_lt_i16_e32 vcc_lo, 43, v47
	;; [unrolled: 3-line block ×3, first 2 shown]
	s_cbranch_vccz .LBB12_2470
; %bb.2462:
	v_cmp_eq_u16_e32 vcc_lo, 46, v47
	s_mov_b32 s1, 0
	s_cbranch_vccz .LBB12_2473
; %bb.2463:
	global_load_b32 v2, v[0:1], off
	s_mov_b32 s2, 0
	s_mov_b32 s0, -1
	s_waitcnt vmcnt(0)
	v_lshlrev_b32_e32 v2, 16, v2
	s_delay_alu instid0(VALU_DEP_1)
	v_cvt_f64_f32_e32 v[45:46], v2
	s_branch .LBB12_2475
.LBB12_2464:
	s_mov_b32 s1, -1
                                        ; implicit-def: $vgpr45_vgpr46
	s_branch .LBB12_2541
.LBB12_2465:
	s_mov_b32 s1, -1
	s_mov_b32 s2, 0
                                        ; implicit-def: $vgpr45_vgpr46
	s_branch .LBB12_2506
.LBB12_2466:
	s_mov_b32 s1, -1
	s_mov_b32 s2, 0
                                        ; implicit-def: $vgpr45_vgpr46
	s_branch .LBB12_2485
.LBB12_2467:
	s_mov_b32 s1, -1
	s_mov_b32 s2, 0
                                        ; implicit-def: $vgpr45_vgpr46
	s_branch .LBB12_2480
.LBB12_2468:
	s_cbranch_execnz .LBB12_2471
; %bb.2469:
	s_or_b32 s43, s43, exec_lo
                                        ; implicit-def: $vgpr58_vgpr59
	s_cbranch_execz .LBB12_2400
	s_branch .LBB12_2401
.LBB12_2470:
	s_mov_b32 s1, -1
	s_mov_b32 s2, 0
	s_branch .LBB12_2474
.LBB12_2471:
	s_trap 2
	s_sendmsg_rtn_b32 s0, sendmsg(MSG_RTN_GET_DOORBELL)
	s_mov_b32 ttmp2, m0
	s_waitcnt lgkmcnt(0)
	s_and_b32 s0, s0, 0x3ff
	s_delay_alu instid0(SALU_CYCLE_1) | instskip(NEXT) | instid1(SALU_CYCLE_1)
	s_bitset1_b32 s0, 10
	s_mov_b32 m0, s0
	s_sendmsg sendmsg(MSG_INTERRUPT)
	s_mov_b32 m0, ttmp2
.LBB12_2472:                            ; =>This Inner Loop Header: Depth=1
	s_sethalt 5
	s_branch .LBB12_2472
.LBB12_2473:
	s_mov_b32 s2, -1
.LBB12_2474:
                                        ; implicit-def: $vgpr45_vgpr46
.LBB12_2475:
	s_and_b32 vcc_lo, exec_lo, s1
	s_cbranch_vccz .LBB12_2479
; %bb.2476:
	v_cmp_eq_u16_e32 vcc_lo, 44, v47
	s_cbranch_vccz .LBB12_2478
; %bb.2477:
	global_load_u8 v4, v[0:1], off
	s_mov_b32 s2, 0
	s_mov_b32 s0, -1
	s_waitcnt vmcnt(0)
	v_cmp_ne_u32_e32 vcc_lo, 0xff, v4
	v_lshlrev_b32_e32 v2, 23, v4
	s_delay_alu instid0(VALU_DEP_1) | instskip(NEXT) | instid1(VALU_DEP_1)
	v_cvt_f64_f32_e32 v[2:3], v2
	v_cndmask_b32_e32 v3, 0x7ff80000, v3, vcc_lo
	s_delay_alu instid0(VALU_DEP_2) | instskip(SKIP_1) | instid1(VALU_DEP_3)
	v_cndmask_b32_e32 v2, 0x20000000, v2, vcc_lo
	v_cmp_ne_u32_e32 vcc_lo, 0, v4
	v_cndmask_b32_e32 v46, 0x38000000, v3, vcc_lo
	s_delay_alu instid0(VALU_DEP_3)
	v_cndmask_b32_e32 v45, 0, v2, vcc_lo
	s_branch .LBB12_2479
.LBB12_2478:
	s_mov_b32 s2, -1
                                        ; implicit-def: $vgpr45_vgpr46
.LBB12_2479:
	s_mov_b32 s1, 0
.LBB12_2480:
	s_delay_alu instid0(SALU_CYCLE_1)
	s_and_b32 vcc_lo, exec_lo, s1
	s_cbranch_vccz .LBB12_2484
; %bb.2481:
	v_cmp_eq_u16_e32 vcc_lo, 29, v47
	s_cbranch_vccz .LBB12_2483
; %bb.2482:
	global_load_b64 v[2:3], v[0:1], off
	s_mov_b32 s2, 0
	s_mov_b32 s0, -1
	s_mov_b32 s1, 0
	s_waitcnt vmcnt(0)
	v_cvt_f64_u32_e32 v[3:4], v3
	v_cvt_f64_u32_e32 v[5:6], v2
	s_delay_alu instid0(VALU_DEP_2) | instskip(NEXT) | instid1(VALU_DEP_1)
	v_ldexp_f64 v[3:4], v[3:4], 32
	v_add_f64 v[45:46], v[3:4], v[5:6]
	s_branch .LBB12_2485
.LBB12_2483:
	s_mov_b32 s2, -1
                                        ; implicit-def: $vgpr45_vgpr46
.LBB12_2484:
	s_mov_b32 s1, 0
.LBB12_2485:
	s_delay_alu instid0(SALU_CYCLE_1)
	s_and_b32 vcc_lo, exec_lo, s1
	s_cbranch_vccz .LBB12_2505
; %bb.2486:
	v_cmp_gt_i16_e32 vcc_lo, 27, v47
	s_cbranch_vccnz .LBB12_2489
; %bb.2487:
	v_cmp_lt_i16_e32 vcc_lo, 27, v47
	s_cbranch_vccz .LBB12_2490
; %bb.2488:
	global_load_b32 v2, v[0:1], off
	s_mov_b32 s0, 0
	s_waitcnt vmcnt(0)
	v_cvt_f64_u32_e32 v[45:46], v2
	s_branch .LBB12_2491
.LBB12_2489:
	s_mov_b32 s0, -1
                                        ; implicit-def: $vgpr45_vgpr46
	s_branch .LBB12_2494
.LBB12_2490:
	s_mov_b32 s0, -1
                                        ; implicit-def: $vgpr45_vgpr46
.LBB12_2491:
	s_delay_alu instid0(SALU_CYCLE_1)
	s_and_not1_b32 vcc_lo, exec_lo, s0
	s_cbranch_vccnz .LBB12_2493
; %bb.2492:
	global_load_u16 v2, v[0:1], off
	s_waitcnt vmcnt(0)
	v_cvt_f64_u32_e32 v[45:46], v2
.LBB12_2493:
	s_mov_b32 s0, 0
.LBB12_2494:
	s_delay_alu instid0(SALU_CYCLE_1)
	s_and_not1_b32 vcc_lo, exec_lo, s0
	s_cbranch_vccnz .LBB12_2504
; %bb.2495:
	global_load_u8 v2, v[0:1], off
	s_mov_b32 s4, 0
	s_mov_b32 s5, exec_lo
                                        ; implicit-def: $sgpr0_sgpr1
	s_waitcnt vmcnt(0)
	v_cmpx_lt_i16_e32 0x7f, v2
	s_xor_b32 s5, exec_lo, s5
	s_cbranch_execz .LBB12_2499
; %bb.2496:
	s_mov_b32 s6, -1
	s_mov_b32 s4, exec_lo
                                        ; implicit-def: $sgpr0_sgpr1
	v_cmpx_eq_u16_e32 0x80, v2
; %bb.2497:
	s_mov_b32 s1, 0x7ff80000
	s_brev_b32 s0, 4
	s_xor_b32 s6, exec_lo, -1
; %bb.2498:
	s_or_b32 exec_lo, exec_lo, s4
	s_delay_alu instid0(SALU_CYCLE_1)
	s_and_b32 s4, s6, exec_lo
.LBB12_2499:
	s_or_saveexec_b32 s5, s5
	v_dual_mov_b32 v46, s1 :: v_dual_mov_b32 v45, s0
	s_xor_b32 exec_lo, exec_lo, s5
; %bb.2500:
	v_cmp_ne_u16_e32 vcc_lo, 0, v2
	v_mov_b32_e32 v45, 0
	v_mov_b32_e32 v46, 0
	s_and_not1_b32 s0, s4, exec_lo
	s_and_b32 s1, vcc_lo, exec_lo
	s_delay_alu instid0(SALU_CYCLE_1)
	s_or_b32 s4, s0, s1
; %bb.2501:
	s_or_b32 exec_lo, exec_lo, s5
	s_and_saveexec_b32 s0, s4
	s_cbranch_execz .LBB12_2503
; %bb.2502:
	v_and_b32_e32 v3, 0xffff, v2
	v_lshlrev_b32_e32 v2, 24, v2
	s_delay_alu instid0(VALU_DEP_2) | instskip(NEXT) | instid1(VALU_DEP_2)
	v_and_b32_e32 v4, 7, v3
	v_and_b32_e32 v2, 0x80000000, v2
	s_delay_alu instid0(VALU_DEP_2) | instskip(NEXT) | instid1(VALU_DEP_1)
	v_clz_i32_u32_e32 v5, v4
	v_min_u32_e32 v5, 32, v5
	s_delay_alu instid0(VALU_DEP_1) | instskip(SKIP_1) | instid1(VALU_DEP_2)
	v_subrev_nc_u32_e32 v6, 28, v5
	v_sub_nc_u32_e32 v5, 29, v5
	v_lshlrev_b32_e32 v6, v6, v3
	v_bfe_u32 v3, v3, 3, 4
	s_delay_alu instid0(VALU_DEP_2) | instskip(NEXT) | instid1(VALU_DEP_2)
	v_and_b32_e32 v6, 7, v6
	v_cmp_eq_u32_e32 vcc_lo, 0, v3
	s_delay_alu instid0(VALU_DEP_2) | instskip(NEXT) | instid1(VALU_DEP_1)
	v_dual_cndmask_b32 v3, v3, v5 :: v_dual_cndmask_b32 v4, v4, v6
	v_lshl_add_u32 v3, v3, 23, 0x3b800000
	s_delay_alu instid0(VALU_DEP_2) | instskip(NEXT) | instid1(VALU_DEP_1)
	v_lshlrev_b32_e32 v4, 20, v4
	v_or3_b32 v2, v2, v3, v4
	s_delay_alu instid0(VALU_DEP_1)
	v_cvt_f64_f32_e32 v[45:46], v2
.LBB12_2503:
	s_or_b32 exec_lo, exec_lo, s0
.LBB12_2504:
	s_mov_b32 s0, -1
.LBB12_2505:
	s_mov_b32 s1, 0
.LBB12_2506:
	s_delay_alu instid0(SALU_CYCLE_1)
	s_and_b32 vcc_lo, exec_lo, s1
	s_cbranch_vccz .LBB12_2537
; %bb.2507:
	v_cmp_lt_i16_e32 vcc_lo, 22, v47
	s_cbranch_vccz .LBB12_2519
; %bb.2508:
	v_cmp_gt_i16_e32 vcc_lo, 24, v47
	s_cbranch_vccnz .LBB12_2520
; %bb.2509:
	v_cmp_lt_i16_e32 vcc_lo, 24, v47
	s_cbranch_vccz .LBB12_2521
; %bb.2510:
	global_load_u8 v2, v[0:1], off
	s_mov_b32 s4, exec_lo
                                        ; implicit-def: $sgpr0_sgpr1
	s_waitcnt vmcnt(0)
	v_cmpx_lt_i16_e32 0x7f, v2
	s_xor_b32 s4, exec_lo, s4
	s_cbranch_execz .LBB12_2514
; %bb.2511:
	s_mov_b32 s5, -1
	s_mov_b32 s3, exec_lo
                                        ; implicit-def: $sgpr0_sgpr1
	v_cmpx_eq_u16_e32 0x80, v2
; %bb.2512:
	s_mov_b32 s1, 0x7ff80000
	s_brev_b32 s0, 4
	s_xor_b32 s5, exec_lo, -1
; %bb.2513:
	s_or_b32 exec_lo, exec_lo, s3
	s_delay_alu instid0(SALU_CYCLE_1)
	s_and_b32 s3, s5, exec_lo
.LBB12_2514:
	s_or_saveexec_b32 s4, s4
	v_dual_mov_b32 v46, s1 :: v_dual_mov_b32 v45, s0
	s_xor_b32 exec_lo, exec_lo, s4
; %bb.2515:
	v_cmp_ne_u16_e32 vcc_lo, 0, v2
	v_mov_b32_e32 v45, 0
	v_mov_b32_e32 v46, 0
	s_and_not1_b32 s0, s3, exec_lo
	s_and_b32 s1, vcc_lo, exec_lo
	s_delay_alu instid0(SALU_CYCLE_1)
	s_or_b32 s3, s0, s1
; %bb.2516:
	s_or_b32 exec_lo, exec_lo, s4
	s_and_saveexec_b32 s0, s3
	s_cbranch_execz .LBB12_2518
; %bb.2517:
	v_and_b32_e32 v3, 0xffff, v2
	v_lshlrev_b32_e32 v2, 24, v2
	s_delay_alu instid0(VALU_DEP_2) | instskip(NEXT) | instid1(VALU_DEP_2)
	v_and_b32_e32 v4, 3, v3
	v_and_b32_e32 v2, 0x80000000, v2
	s_delay_alu instid0(VALU_DEP_2) | instskip(NEXT) | instid1(VALU_DEP_1)
	v_clz_i32_u32_e32 v5, v4
	v_min_u32_e32 v5, 32, v5
	s_delay_alu instid0(VALU_DEP_1) | instskip(SKIP_1) | instid1(VALU_DEP_2)
	v_subrev_nc_u32_e32 v6, 29, v5
	v_sub_nc_u32_e32 v5, 30, v5
	v_lshlrev_b32_e32 v6, v6, v3
	v_bfe_u32 v3, v3, 2, 5
	s_delay_alu instid0(VALU_DEP_2) | instskip(NEXT) | instid1(VALU_DEP_2)
	v_and_b32_e32 v6, 3, v6
	v_cmp_eq_u32_e32 vcc_lo, 0, v3
	s_delay_alu instid0(VALU_DEP_2) | instskip(NEXT) | instid1(VALU_DEP_1)
	v_dual_cndmask_b32 v3, v3, v5 :: v_dual_cndmask_b32 v4, v4, v6
	v_lshl_add_u32 v3, v3, 23, 0x37800000
	s_delay_alu instid0(VALU_DEP_2) | instskip(NEXT) | instid1(VALU_DEP_1)
	v_lshlrev_b32_e32 v4, 21, v4
	v_or3_b32 v2, v2, v3, v4
	s_delay_alu instid0(VALU_DEP_1)
	v_cvt_f64_f32_e32 v[45:46], v2
.LBB12_2518:
	s_or_b32 exec_lo, exec_lo, s0
	s_mov_b32 s0, 0
	s_branch .LBB12_2522
.LBB12_2519:
	s_mov_b32 s1, -1
                                        ; implicit-def: $vgpr45_vgpr46
	s_branch .LBB12_2528
.LBB12_2520:
	s_mov_b32 s0, -1
                                        ; implicit-def: $vgpr45_vgpr46
	s_branch .LBB12_2525
.LBB12_2521:
	s_mov_b32 s0, -1
                                        ; implicit-def: $vgpr45_vgpr46
.LBB12_2522:
	s_delay_alu instid0(SALU_CYCLE_1)
	s_and_b32 vcc_lo, exec_lo, s0
	s_cbranch_vccz .LBB12_2524
; %bb.2523:
	global_load_u8 v2, v[0:1], off
	s_waitcnt vmcnt(0)
	v_lshlrev_b32_e32 v2, 24, v2
	s_delay_alu instid0(VALU_DEP_1) | instskip(NEXT) | instid1(VALU_DEP_1)
	v_and_b32_e32 v3, 0x7f000000, v2
	v_clz_i32_u32_e32 v4, v3
	v_add_nc_u32_e32 v6, 0x1000000, v3
	v_cmp_ne_u32_e32 vcc_lo, 0, v3
	s_delay_alu instid0(VALU_DEP_3) | instskip(NEXT) | instid1(VALU_DEP_1)
	v_min_u32_e32 v4, 32, v4
	v_sub_nc_u32_e64 v4, v4, 4 clamp
	s_delay_alu instid0(VALU_DEP_1) | instskip(SKIP_1) | instid1(VALU_DEP_2)
	v_lshlrev_b32_e32 v5, v4, v3
	v_lshlrev_b32_e32 v4, 23, v4
	v_lshrrev_b32_e32 v5, 4, v5
	s_delay_alu instid0(VALU_DEP_1) | instskip(SKIP_1) | instid1(VALU_DEP_2)
	v_sub_nc_u32_e32 v4, v5, v4
	v_ashrrev_i32_e32 v5, 8, v6
	v_add_nc_u32_e32 v4, 0x3c000000, v4
	s_delay_alu instid0(VALU_DEP_1) | instskip(NEXT) | instid1(VALU_DEP_1)
	v_and_or_b32 v4, 0x7f800000, v5, v4
	v_cndmask_b32_e32 v3, 0, v4, vcc_lo
	s_delay_alu instid0(VALU_DEP_1) | instskip(NEXT) | instid1(VALU_DEP_1)
	v_and_or_b32 v2, 0x80000000, v2, v3
	v_cvt_f64_f32_e32 v[45:46], v2
.LBB12_2524:
	s_mov_b32 s0, 0
.LBB12_2525:
	s_delay_alu instid0(SALU_CYCLE_1)
	s_and_not1_b32 vcc_lo, exec_lo, s0
	s_cbranch_vccnz .LBB12_2527
; %bb.2526:
	global_load_u8 v2, v[0:1], off
	s_waitcnt vmcnt(0)
	v_lshlrev_b32_e32 v3, 25, v2
	v_lshlrev_b16 v2, 8, v2
	s_delay_alu instid0(VALU_DEP_2) | instskip(NEXT) | instid1(VALU_DEP_2)
	v_lshrrev_b32_e32 v4, 4, v3
	v_and_or_b32 v5, 0x7f00, v2, 0.5
	v_bfe_i32 v2, v2, 0, 16
	s_delay_alu instid0(VALU_DEP_3) | instskip(NEXT) | instid1(VALU_DEP_1)
	v_or_b32_e32 v4, 0x70000000, v4
	v_dual_add_f32 v5, -0.5, v5 :: v_dual_mul_f32 v4, 0x7800000, v4
	v_cmp_gt_u32_e32 vcc_lo, 0x8000000, v3
	s_delay_alu instid0(VALU_DEP_2) | instskip(NEXT) | instid1(VALU_DEP_1)
	v_cndmask_b32_e32 v3, v4, v5, vcc_lo
	v_and_or_b32 v2, 0x80000000, v2, v3
	s_delay_alu instid0(VALU_DEP_1)
	v_cvt_f64_f32_e32 v[45:46], v2
.LBB12_2527:
	s_mov_b32 s1, 0
	s_mov_b32 s0, -1
.LBB12_2528:
	s_and_not1_b32 vcc_lo, exec_lo, s1
	s_mov_b32 s3, 0
	s_cbranch_vccnz .LBB12_2537
; %bb.2529:
	v_cmp_lt_i16_e32 vcc_lo, 14, v47
	s_cbranch_vccz .LBB12_2532
; %bb.2530:
	v_cmp_eq_u16_e32 vcc_lo, 15, v47
	s_cbranch_vccz .LBB12_2533
; %bb.2531:
	global_load_u16 v2, v[0:1], off
	s_mov_b32 s2, 0
	s_mov_b32 s0, -1
	s_waitcnt vmcnt(0)
	v_lshlrev_b32_e32 v2, 16, v2
	s_delay_alu instid0(VALU_DEP_1)
	v_cvt_f64_f32_e32 v[45:46], v2
	s_branch .LBB12_2534
.LBB12_2532:
	s_mov_b32 s1, -1
                                        ; implicit-def: $vgpr45_vgpr46
	s_branch .LBB12_2535
.LBB12_2533:
	s_mov_b32 s2, -1
                                        ; implicit-def: $vgpr45_vgpr46
.LBB12_2534:
	s_mov_b32 s1, 0
.LBB12_2535:
	s_delay_alu instid0(SALU_CYCLE_1)
	s_and_b32 vcc_lo, exec_lo, s1
	s_cbranch_vccz .LBB12_2537
; %bb.2536:
	v_cmp_ne_u16_e64 s2, 11, v47
	s_mov_b32 s3, -1
                                        ; implicit-def: $vgpr45_vgpr46
.LBB12_2537:
	s_delay_alu instid0(VALU_DEP_1)
	s_and_b32 vcc_lo, exec_lo, s2
	s_cbranch_vccnz .LBB12_2602
; %bb.2538:
	s_and_not1_b32 vcc_lo, exec_lo, s3
	s_cbranch_vccnz .LBB12_2540
.LBB12_2539:
	global_load_u8 v2, v[0:1], off
	s_waitcnt vmcnt(1)
	v_mov_b32_e32 v45, 0
	s_mov_b32 s0, -1
	s_waitcnt vmcnt(0)
	v_cmp_ne_u16_e32 vcc_lo, 0, v2
	v_cndmask_b32_e64 v46, 0, 0x3ff00000, vcc_lo
.LBB12_2540:
	s_mov_b32 s1, 0
.LBB12_2541:
	s_delay_alu instid0(SALU_CYCLE_1)
	s_and_b32 vcc_lo, exec_lo, s1
	s_cbranch_vccz .LBB12_2590
; %bb.2542:
	v_cmp_gt_i16_e32 vcc_lo, 5, v47
	s_cbranch_vccnz .LBB12_2547
; %bb.2543:
	v_cmp_gt_i16_e32 vcc_lo, 8, v47
	s_cbranch_vccnz .LBB12_2548
	;; [unrolled: 3-line block ×3, first 2 shown]
; %bb.2545:
	v_cmp_lt_i16_e32 vcc_lo, 9, v47
	s_cbranch_vccz .LBB12_2550
; %bb.2546:
	global_load_b64 v[45:46], v[0:1], off
	s_mov_b32 s0, 0
	s_branch .LBB12_2551
.LBB12_2547:
	s_mov_b32 s0, -1
                                        ; implicit-def: $vgpr45_vgpr46
	s_branch .LBB12_2569
.LBB12_2548:
	s_mov_b32 s0, -1
                                        ; implicit-def: $vgpr45_vgpr46
	s_branch .LBB12_2557
.LBB12_2549:
	s_mov_b32 s0, -1
                                        ; implicit-def: $vgpr45_vgpr46
	s_branch .LBB12_2554
.LBB12_2550:
	s_mov_b32 s0, -1
                                        ; implicit-def: $vgpr45_vgpr46
.LBB12_2551:
	s_delay_alu instid0(SALU_CYCLE_1)
	s_and_not1_b32 vcc_lo, exec_lo, s0
	s_cbranch_vccnz .LBB12_2553
; %bb.2552:
	global_load_b32 v2, v[0:1], off
	s_waitcnt vmcnt(0)
	v_cvt_f64_f32_e32 v[45:46], v2
.LBB12_2553:
	s_mov_b32 s0, 0
.LBB12_2554:
	s_delay_alu instid0(SALU_CYCLE_1)
	s_and_not1_b32 vcc_lo, exec_lo, s0
	s_cbranch_vccnz .LBB12_2556
; %bb.2555:
	global_load_b32 v2, v[0:1], off
	s_waitcnt vmcnt(0)
	v_cvt_f32_f16_e32 v2, v2
	s_delay_alu instid0(VALU_DEP_1)
	v_cvt_f64_f32_e32 v[45:46], v2
.LBB12_2556:
	s_mov_b32 s0, 0
.LBB12_2557:
	s_delay_alu instid0(SALU_CYCLE_1)
	s_and_not1_b32 vcc_lo, exec_lo, s0
	s_cbranch_vccnz .LBB12_2568
; %bb.2558:
	v_cmp_gt_i16_e32 vcc_lo, 6, v47
	s_cbranch_vccnz .LBB12_2561
; %bb.2559:
	v_cmp_lt_i16_e32 vcc_lo, 6, v47
	s_cbranch_vccz .LBB12_2562
; %bb.2560:
	global_load_b64 v[45:46], v[0:1], off
	s_mov_b32 s0, 0
	s_branch .LBB12_2563
.LBB12_2561:
	s_mov_b32 s0, -1
                                        ; implicit-def: $vgpr45_vgpr46
	s_branch .LBB12_2566
.LBB12_2562:
	s_mov_b32 s0, -1
                                        ; implicit-def: $vgpr45_vgpr46
.LBB12_2563:
	s_delay_alu instid0(SALU_CYCLE_1)
	s_and_not1_b32 vcc_lo, exec_lo, s0
	s_cbranch_vccnz .LBB12_2565
; %bb.2564:
	global_load_b32 v2, v[0:1], off
	s_waitcnt vmcnt(0)
	v_cvt_f64_f32_e32 v[45:46], v2
.LBB12_2565:
	s_mov_b32 s0, 0
.LBB12_2566:
	s_delay_alu instid0(SALU_CYCLE_1)
	s_and_not1_b32 vcc_lo, exec_lo, s0
	s_cbranch_vccnz .LBB12_2568
; %bb.2567:
	global_load_u16 v2, v[0:1], off
	s_waitcnt vmcnt(0)
	v_cvt_f32_f16_e32 v2, v2
	s_delay_alu instid0(VALU_DEP_1)
	v_cvt_f64_f32_e32 v[45:46], v2
.LBB12_2568:
	s_mov_b32 s0, 0
.LBB12_2569:
	s_delay_alu instid0(SALU_CYCLE_1)
	s_and_not1_b32 vcc_lo, exec_lo, s0
	s_cbranch_vccnz .LBB12_2589
; %bb.2570:
	v_cmp_gt_i16_e32 vcc_lo, 2, v47
	s_cbranch_vccnz .LBB12_2574
; %bb.2571:
	v_cmp_gt_i16_e32 vcc_lo, 3, v47
	s_cbranch_vccnz .LBB12_2575
; %bb.2572:
	v_cmp_lt_i16_e32 vcc_lo, 3, v47
	s_cbranch_vccz .LBB12_2576
; %bb.2573:
	global_load_b64 v[2:3], v[0:1], off
	s_mov_b32 s0, 0
	s_waitcnt vmcnt(0)
	v_cvt_f64_i32_e32 v[3:4], v3
	v_cvt_f64_u32_e32 v[5:6], v2
	s_delay_alu instid0(VALU_DEP_2) | instskip(NEXT) | instid1(VALU_DEP_1)
	v_ldexp_f64 v[3:4], v[3:4], 32
	v_add_f64 v[45:46], v[3:4], v[5:6]
	s_branch .LBB12_2577
.LBB12_2574:
	s_mov_b32 s0, -1
                                        ; implicit-def: $vgpr45_vgpr46
	s_branch .LBB12_2583
.LBB12_2575:
	s_mov_b32 s0, -1
                                        ; implicit-def: $vgpr45_vgpr46
	s_branch .LBB12_2580
.LBB12_2576:
	s_mov_b32 s0, -1
                                        ; implicit-def: $vgpr45_vgpr46
.LBB12_2577:
	s_delay_alu instid0(SALU_CYCLE_1)
	s_and_not1_b32 vcc_lo, exec_lo, s0
	s_cbranch_vccnz .LBB12_2579
; %bb.2578:
	global_load_b32 v2, v[0:1], off
	s_waitcnt vmcnt(0)
	v_cvt_f64_i32_e32 v[45:46], v2
.LBB12_2579:
	s_mov_b32 s0, 0
.LBB12_2580:
	s_delay_alu instid0(SALU_CYCLE_1)
	s_and_not1_b32 vcc_lo, exec_lo, s0
	s_cbranch_vccnz .LBB12_2582
; %bb.2581:
	global_load_i16 v2, v[0:1], off
	s_waitcnt vmcnt(0)
	v_cvt_f64_i32_e32 v[45:46], v2
.LBB12_2582:
	s_mov_b32 s0, 0
.LBB12_2583:
	s_delay_alu instid0(SALU_CYCLE_1)
	s_and_not1_b32 vcc_lo, exec_lo, s0
	s_cbranch_vccnz .LBB12_2589
; %bb.2584:
	v_cmp_lt_i16_e32 vcc_lo, 0, v47
	s_mov_b32 s0, 0
	s_cbranch_vccz .LBB12_2586
; %bb.2585:
	global_load_i8 v2, v[0:1], off
	s_waitcnt vmcnt(0)
	v_cvt_f64_i32_e32 v[45:46], v2
	s_branch .LBB12_2587
.LBB12_2586:
	s_mov_b32 s0, -1
                                        ; implicit-def: $vgpr45_vgpr46
.LBB12_2587:
	s_delay_alu instid0(SALU_CYCLE_1)
	s_and_not1_b32 vcc_lo, exec_lo, s0
	s_cbranch_vccnz .LBB12_2589
; %bb.2588:
	global_load_u8 v0, v[0:1], off
	s_waitcnt vmcnt(0)
	v_cvt_f64_u32_e32 v[45:46], v0
.LBB12_2589:
	s_mov_b32 s0, -1
.LBB12_2590:
	s_delay_alu instid0(SALU_CYCLE_1)
	s_and_not1_b32 vcc_lo, exec_lo, s0
	s_cbranch_vccnz .LBB12_2727
; %bb.2591:
	v_cmp_lt_i16_e64 s0, s53, 11
	v_add_co_u32 v0, s1, s48, v75
	s_delay_alu instid0(VALU_DEP_1) | instskip(NEXT) | instid1(VALU_DEP_3)
	v_add_co_ci_u32_e64 v1, null, s49, 0, s1
	s_and_b32 vcc_lo, exec_lo, s0
	s_mov_b32 s0, 0
	s_cbranch_vccnz .LBB12_2598
; %bb.2592:
	v_cmp_gt_i16_e64 s0, s53, 25
	s_mov_b32 s3, 0
	s_delay_alu instid0(VALU_DEP_1)
	s_and_b32 vcc_lo, exec_lo, s0
	s_cbranch_vccz .LBB12_2599
; %bb.2593:
	v_cmp_gt_i16_e64 s0, s53, 28
	s_delay_alu instid0(VALU_DEP_1)
	s_and_b32 vcc_lo, exec_lo, s0
	s_cbranch_vccz .LBB12_2600
; %bb.2594:
	v_cmp_gt_i16_e64 s0, s53, 43
	;; [unrolled: 5-line block ×3, first 2 shown]
	s_delay_alu instid0(VALU_DEP_1)
	s_and_b32 vcc_lo, exec_lo, s0
	s_cbranch_vccz .LBB12_2604
; %bb.2596:
	v_cmp_eq_u16_e64 s0, s53, 46
	s_mov_b32 s1, 0
	s_delay_alu instid0(VALU_DEP_1)
	s_and_b32 vcc_lo, exec_lo, s0
	s_cbranch_vccz .LBB12_2607
; %bb.2597:
	global_load_b32 v2, v[0:1], off
	s_mov_b32 s2, 0
	s_mov_b32 s0, -1
	s_waitcnt vmcnt(0)
	v_lshlrev_b32_e32 v2, 16, v2
	s_delay_alu instid0(VALU_DEP_1)
	v_cvt_f64_f32_e32 v[58:59], v2
	s_branch .LBB12_2609
.LBB12_2598:
	s_mov_b32 s1, -1
                                        ; implicit-def: $vgpr58_vgpr59
	s_branch .LBB12_2675
.LBB12_2599:
	s_mov_b32 s1, -1
	s_mov_b32 s0, 0
	s_mov_b32 s2, 0
                                        ; implicit-def: $vgpr58_vgpr59
	s_branch .LBB12_2640
.LBB12_2600:
	s_mov_b32 s1, -1
	s_mov_b32 s0, 0
	s_mov_b32 s2, 0
                                        ; implicit-def: $vgpr58_vgpr59
	s_branch .LBB12_2619
.LBB12_2601:
	s_mov_b32 s1, -1
	s_mov_b32 s0, 0
	s_mov_b32 s2, 0
                                        ; implicit-def: $vgpr58_vgpr59
	s_branch .LBB12_2614
.LBB12_2602:
	s_cbranch_execnz .LBB12_2605
; %bb.2603:
	s_or_b32 s43, s43, exec_lo
                                        ; implicit-def: $vgpr45_vgpr46
	s_cbranch_execz .LBB12_2539
	s_branch .LBB12_2540
.LBB12_2604:
	s_mov_b32 s1, -1
	s_mov_b32 s0, 0
	s_mov_b32 s2, 0
	s_branch .LBB12_2608
.LBB12_2605:
	s_trap 2
	s_sendmsg_rtn_b32 s0, sendmsg(MSG_RTN_GET_DOORBELL)
	s_mov_b32 ttmp2, m0
	s_waitcnt lgkmcnt(0)
	s_and_b32 s0, s0, 0x3ff
	s_delay_alu instid0(SALU_CYCLE_1) | instskip(NEXT) | instid1(SALU_CYCLE_1)
	s_bitset1_b32 s0, 10
	s_mov_b32 m0, s0
	s_sendmsg sendmsg(MSG_INTERRUPT)
	s_mov_b32 m0, ttmp2
.LBB12_2606:                            ; =>This Inner Loop Header: Depth=1
	s_sethalt 5
	s_branch .LBB12_2606
.LBB12_2607:
	s_mov_b32 s2, -1
	s_mov_b32 s0, 0
.LBB12_2608:
                                        ; implicit-def: $vgpr58_vgpr59
.LBB12_2609:
	s_and_b32 vcc_lo, exec_lo, s1
	s_cbranch_vccz .LBB12_2613
; %bb.2610:
	v_cmp_eq_u16_e64 s1, s53, 44
	s_delay_alu instid0(VALU_DEP_1)
	s_and_b32 vcc_lo, exec_lo, s1
	s_cbranch_vccz .LBB12_2612
; %bb.2611:
	global_load_u8 v4, v[0:1], off
	s_mov_b32 s2, 0
	s_mov_b32 s0, -1
	s_waitcnt vmcnt(0)
	v_cmp_ne_u32_e32 vcc_lo, 0xff, v4
	v_lshlrev_b32_e32 v2, 23, v4
	s_delay_alu instid0(VALU_DEP_1) | instskip(NEXT) | instid1(VALU_DEP_1)
	v_cvt_f64_f32_e32 v[2:3], v2
	v_cndmask_b32_e32 v3, 0x7ff80000, v3, vcc_lo
	s_delay_alu instid0(VALU_DEP_2) | instskip(SKIP_1) | instid1(VALU_DEP_3)
	v_cndmask_b32_e32 v2, 0x20000000, v2, vcc_lo
	v_cmp_ne_u32_e32 vcc_lo, 0, v4
	v_cndmask_b32_e32 v59, 0x38000000, v3, vcc_lo
	s_delay_alu instid0(VALU_DEP_3)
	v_cndmask_b32_e32 v58, 0, v2, vcc_lo
	s_branch .LBB12_2613
.LBB12_2612:
	s_mov_b32 s2, -1
                                        ; implicit-def: $vgpr58_vgpr59
.LBB12_2613:
	s_mov_b32 s1, 0
.LBB12_2614:
	s_delay_alu instid0(SALU_CYCLE_1)
	s_and_b32 vcc_lo, exec_lo, s1
	s_cbranch_vccz .LBB12_2618
; %bb.2615:
	v_cmp_eq_u16_e64 s1, s53, 29
	s_delay_alu instid0(VALU_DEP_1)
	s_and_b32 vcc_lo, exec_lo, s1
	s_cbranch_vccz .LBB12_2617
; %bb.2616:
	global_load_b64 v[2:3], v[0:1], off
	s_mov_b32 s2, 0
	s_mov_b32 s0, -1
	s_mov_b32 s1, 0
	s_waitcnt vmcnt(0)
	v_cvt_f64_u32_e32 v[3:4], v3
	v_cvt_f64_u32_e32 v[5:6], v2
	s_delay_alu instid0(VALU_DEP_2) | instskip(NEXT) | instid1(VALU_DEP_1)
	v_ldexp_f64 v[3:4], v[3:4], 32
	v_add_f64 v[58:59], v[3:4], v[5:6]
	s_branch .LBB12_2619
.LBB12_2617:
	s_mov_b32 s2, -1
                                        ; implicit-def: $vgpr58_vgpr59
.LBB12_2618:
	s_mov_b32 s1, 0
.LBB12_2619:
	s_delay_alu instid0(SALU_CYCLE_1)
	s_and_b32 vcc_lo, exec_lo, s1
	s_cbranch_vccz .LBB12_2639
; %bb.2620:
	v_cmp_lt_i16_e64 s0, s53, 27
	s_delay_alu instid0(VALU_DEP_1)
	s_and_b32 vcc_lo, exec_lo, s0
	s_cbranch_vccnz .LBB12_2623
; %bb.2621:
	v_cmp_gt_i16_e64 s0, s53, 27
	s_delay_alu instid0(VALU_DEP_1)
	s_and_b32 vcc_lo, exec_lo, s0
	s_cbranch_vccz .LBB12_2624
; %bb.2622:
	global_load_b32 v2, v[0:1], off
	s_mov_b32 s0, 0
	s_waitcnt vmcnt(0)
	v_cvt_f64_u32_e32 v[58:59], v2
	s_branch .LBB12_2625
.LBB12_2623:
	s_mov_b32 s0, -1
                                        ; implicit-def: $vgpr58_vgpr59
	s_branch .LBB12_2628
.LBB12_2624:
	s_mov_b32 s0, -1
                                        ; implicit-def: $vgpr58_vgpr59
.LBB12_2625:
	s_delay_alu instid0(SALU_CYCLE_1)
	s_and_not1_b32 vcc_lo, exec_lo, s0
	s_cbranch_vccnz .LBB12_2627
; %bb.2626:
	global_load_u16 v2, v[0:1], off
	s_waitcnt vmcnt(0)
	v_cvt_f64_u32_e32 v[58:59], v2
.LBB12_2627:
	s_mov_b32 s0, 0
.LBB12_2628:
	s_delay_alu instid0(SALU_CYCLE_1)
	s_and_not1_b32 vcc_lo, exec_lo, s0
	s_cbranch_vccnz .LBB12_2638
; %bb.2629:
	global_load_u8 v2, v[0:1], off
	s_mov_b32 s4, 0
	s_mov_b32 s5, exec_lo
                                        ; implicit-def: $sgpr0_sgpr1
	s_waitcnt vmcnt(0)
	v_cmpx_lt_i16_e32 0x7f, v2
	s_xor_b32 s5, exec_lo, s5
	s_cbranch_execz .LBB12_2633
; %bb.2630:
	s_mov_b32 s6, -1
	s_mov_b32 s4, exec_lo
                                        ; implicit-def: $sgpr0_sgpr1
	v_cmpx_eq_u16_e32 0x80, v2
; %bb.2631:
	s_mov_b32 s1, 0x7ff80000
	s_brev_b32 s0, 4
	s_xor_b32 s6, exec_lo, -1
; %bb.2632:
	s_or_b32 exec_lo, exec_lo, s4
	s_delay_alu instid0(SALU_CYCLE_1)
	s_and_b32 s4, s6, exec_lo
.LBB12_2633:
	s_or_saveexec_b32 s5, s5
	v_dual_mov_b32 v59, s1 :: v_dual_mov_b32 v58, s0
	s_xor_b32 exec_lo, exec_lo, s5
; %bb.2634:
	v_cmp_ne_u16_e32 vcc_lo, 0, v2
	v_mov_b32_e32 v58, 0
	v_mov_b32_e32 v59, 0
	s_and_not1_b32 s0, s4, exec_lo
	s_and_b32 s1, vcc_lo, exec_lo
	s_delay_alu instid0(SALU_CYCLE_1)
	s_or_b32 s4, s0, s1
; %bb.2635:
	s_or_b32 exec_lo, exec_lo, s5
	s_and_saveexec_b32 s0, s4
	s_cbranch_execz .LBB12_2637
; %bb.2636:
	v_and_b32_e32 v3, 0xffff, v2
	v_lshlrev_b32_e32 v2, 24, v2
	s_delay_alu instid0(VALU_DEP_2) | instskip(NEXT) | instid1(VALU_DEP_2)
	v_and_b32_e32 v4, 7, v3
	v_and_b32_e32 v2, 0x80000000, v2
	s_delay_alu instid0(VALU_DEP_2) | instskip(NEXT) | instid1(VALU_DEP_1)
	v_clz_i32_u32_e32 v5, v4
	v_min_u32_e32 v5, 32, v5
	s_delay_alu instid0(VALU_DEP_1) | instskip(SKIP_1) | instid1(VALU_DEP_2)
	v_subrev_nc_u32_e32 v6, 28, v5
	v_sub_nc_u32_e32 v5, 29, v5
	v_lshlrev_b32_e32 v6, v6, v3
	v_bfe_u32 v3, v3, 3, 4
	s_delay_alu instid0(VALU_DEP_2) | instskip(NEXT) | instid1(VALU_DEP_2)
	v_and_b32_e32 v6, 7, v6
	v_cmp_eq_u32_e32 vcc_lo, 0, v3
	s_delay_alu instid0(VALU_DEP_2) | instskip(NEXT) | instid1(VALU_DEP_1)
	v_dual_cndmask_b32 v3, v3, v5 :: v_dual_cndmask_b32 v4, v4, v6
	v_lshl_add_u32 v3, v3, 23, 0x3b800000
	s_delay_alu instid0(VALU_DEP_2) | instskip(NEXT) | instid1(VALU_DEP_1)
	v_lshlrev_b32_e32 v4, 20, v4
	v_or3_b32 v2, v2, v3, v4
	s_delay_alu instid0(VALU_DEP_1)
	v_cvt_f64_f32_e32 v[58:59], v2
.LBB12_2637:
	s_or_b32 exec_lo, exec_lo, s0
.LBB12_2638:
	s_mov_b32 s0, -1
.LBB12_2639:
	s_mov_b32 s1, 0
.LBB12_2640:
	s_delay_alu instid0(SALU_CYCLE_1)
	s_and_b32 vcc_lo, exec_lo, s1
	s_cbranch_vccz .LBB12_2671
; %bb.2641:
	v_cmp_gt_i16_e64 s1, s53, 22
	s_delay_alu instid0(VALU_DEP_1)
	s_and_b32 vcc_lo, exec_lo, s1
	s_cbranch_vccz .LBB12_2653
; %bb.2642:
	v_cmp_lt_i16_e64 s0, s53, 24
	s_delay_alu instid0(VALU_DEP_1)
	s_and_b32 vcc_lo, exec_lo, s0
	s_cbranch_vccnz .LBB12_2654
; %bb.2643:
	v_cmp_gt_i16_e64 s0, s53, 24
	s_delay_alu instid0(VALU_DEP_1)
	s_and_b32 vcc_lo, exec_lo, s0
	s_cbranch_vccz .LBB12_2655
; %bb.2644:
	global_load_u8 v2, v[0:1], off
	s_mov_b32 s4, exec_lo
                                        ; implicit-def: $sgpr0_sgpr1
	s_waitcnt vmcnt(0)
	v_cmpx_lt_i16_e32 0x7f, v2
	s_xor_b32 s4, exec_lo, s4
	s_cbranch_execz .LBB12_2648
; %bb.2645:
	s_mov_b32 s5, -1
	s_mov_b32 s3, exec_lo
                                        ; implicit-def: $sgpr0_sgpr1
	v_cmpx_eq_u16_e32 0x80, v2
; %bb.2646:
	s_mov_b32 s1, 0x7ff80000
	s_brev_b32 s0, 4
	s_xor_b32 s5, exec_lo, -1
; %bb.2647:
	s_or_b32 exec_lo, exec_lo, s3
	s_delay_alu instid0(SALU_CYCLE_1)
	s_and_b32 s3, s5, exec_lo
.LBB12_2648:
	s_or_saveexec_b32 s4, s4
	v_dual_mov_b32 v59, s1 :: v_dual_mov_b32 v58, s0
	s_xor_b32 exec_lo, exec_lo, s4
; %bb.2649:
	v_cmp_ne_u16_e32 vcc_lo, 0, v2
	v_mov_b32_e32 v58, 0
	v_mov_b32_e32 v59, 0
	s_and_not1_b32 s0, s3, exec_lo
	s_and_b32 s1, vcc_lo, exec_lo
	s_delay_alu instid0(SALU_CYCLE_1)
	s_or_b32 s3, s0, s1
; %bb.2650:
	s_or_b32 exec_lo, exec_lo, s4
	s_and_saveexec_b32 s0, s3
	s_cbranch_execz .LBB12_2652
; %bb.2651:
	v_and_b32_e32 v3, 0xffff, v2
	v_lshlrev_b32_e32 v2, 24, v2
	s_delay_alu instid0(VALU_DEP_2) | instskip(NEXT) | instid1(VALU_DEP_2)
	v_and_b32_e32 v4, 3, v3
	v_and_b32_e32 v2, 0x80000000, v2
	s_delay_alu instid0(VALU_DEP_2) | instskip(NEXT) | instid1(VALU_DEP_1)
	v_clz_i32_u32_e32 v5, v4
	v_min_u32_e32 v5, 32, v5
	s_delay_alu instid0(VALU_DEP_1) | instskip(SKIP_1) | instid1(VALU_DEP_2)
	v_subrev_nc_u32_e32 v6, 29, v5
	v_sub_nc_u32_e32 v5, 30, v5
	v_lshlrev_b32_e32 v6, v6, v3
	v_bfe_u32 v3, v3, 2, 5
	s_delay_alu instid0(VALU_DEP_2) | instskip(NEXT) | instid1(VALU_DEP_2)
	v_and_b32_e32 v6, 3, v6
	v_cmp_eq_u32_e32 vcc_lo, 0, v3
	s_delay_alu instid0(VALU_DEP_2) | instskip(NEXT) | instid1(VALU_DEP_1)
	v_dual_cndmask_b32 v3, v3, v5 :: v_dual_cndmask_b32 v4, v4, v6
	v_lshl_add_u32 v3, v3, 23, 0x37800000
	s_delay_alu instid0(VALU_DEP_2) | instskip(NEXT) | instid1(VALU_DEP_1)
	v_lshlrev_b32_e32 v4, 21, v4
	v_or3_b32 v2, v2, v3, v4
	s_delay_alu instid0(VALU_DEP_1)
	v_cvt_f64_f32_e32 v[58:59], v2
.LBB12_2652:
	s_or_b32 exec_lo, exec_lo, s0
	s_mov_b32 s0, 0
	s_branch .LBB12_2656
.LBB12_2653:
	s_mov_b32 s1, -1
                                        ; implicit-def: $vgpr58_vgpr59
	s_branch .LBB12_2662
.LBB12_2654:
	s_mov_b32 s0, -1
                                        ; implicit-def: $vgpr58_vgpr59
	s_branch .LBB12_2659
.LBB12_2655:
	s_mov_b32 s0, -1
                                        ; implicit-def: $vgpr58_vgpr59
.LBB12_2656:
	s_delay_alu instid0(SALU_CYCLE_1)
	s_and_b32 vcc_lo, exec_lo, s0
	s_cbranch_vccz .LBB12_2658
; %bb.2657:
	global_load_u8 v2, v[0:1], off
	s_waitcnt vmcnt(0)
	v_lshlrev_b32_e32 v2, 24, v2
	s_delay_alu instid0(VALU_DEP_1) | instskip(NEXT) | instid1(VALU_DEP_1)
	v_and_b32_e32 v3, 0x7f000000, v2
	v_clz_i32_u32_e32 v4, v3
	v_add_nc_u32_e32 v6, 0x1000000, v3
	v_cmp_ne_u32_e32 vcc_lo, 0, v3
	s_delay_alu instid0(VALU_DEP_3) | instskip(NEXT) | instid1(VALU_DEP_1)
	v_min_u32_e32 v4, 32, v4
	v_sub_nc_u32_e64 v4, v4, 4 clamp
	s_delay_alu instid0(VALU_DEP_1) | instskip(SKIP_1) | instid1(VALU_DEP_2)
	v_lshlrev_b32_e32 v5, v4, v3
	v_lshlrev_b32_e32 v4, 23, v4
	v_lshrrev_b32_e32 v5, 4, v5
	s_delay_alu instid0(VALU_DEP_1) | instskip(SKIP_1) | instid1(VALU_DEP_2)
	v_sub_nc_u32_e32 v4, v5, v4
	v_ashrrev_i32_e32 v5, 8, v6
	v_add_nc_u32_e32 v4, 0x3c000000, v4
	s_delay_alu instid0(VALU_DEP_1) | instskip(NEXT) | instid1(VALU_DEP_1)
	v_and_or_b32 v4, 0x7f800000, v5, v4
	v_cndmask_b32_e32 v3, 0, v4, vcc_lo
	s_delay_alu instid0(VALU_DEP_1) | instskip(NEXT) | instid1(VALU_DEP_1)
	v_and_or_b32 v2, 0x80000000, v2, v3
	v_cvt_f64_f32_e32 v[58:59], v2
.LBB12_2658:
	s_mov_b32 s0, 0
.LBB12_2659:
	s_delay_alu instid0(SALU_CYCLE_1)
	s_and_not1_b32 vcc_lo, exec_lo, s0
	s_cbranch_vccnz .LBB12_2661
; %bb.2660:
	global_load_u8 v2, v[0:1], off
	s_waitcnt vmcnt(0)
	v_lshlrev_b32_e32 v3, 25, v2
	v_lshlrev_b16 v2, 8, v2
	s_delay_alu instid0(VALU_DEP_2) | instskip(NEXT) | instid1(VALU_DEP_2)
	v_lshrrev_b32_e32 v4, 4, v3
	v_and_or_b32 v5, 0x7f00, v2, 0.5
	v_bfe_i32 v2, v2, 0, 16
	s_delay_alu instid0(VALU_DEP_3) | instskip(NEXT) | instid1(VALU_DEP_1)
	v_or_b32_e32 v4, 0x70000000, v4
	v_dual_add_f32 v5, -0.5, v5 :: v_dual_mul_f32 v4, 0x7800000, v4
	v_cmp_gt_u32_e32 vcc_lo, 0x8000000, v3
	s_delay_alu instid0(VALU_DEP_2) | instskip(NEXT) | instid1(VALU_DEP_1)
	v_cndmask_b32_e32 v3, v4, v5, vcc_lo
	v_and_or_b32 v2, 0x80000000, v2, v3
	s_delay_alu instid0(VALU_DEP_1)
	v_cvt_f64_f32_e32 v[58:59], v2
.LBB12_2661:
	s_mov_b32 s1, 0
	s_mov_b32 s0, -1
.LBB12_2662:
	s_and_not1_b32 vcc_lo, exec_lo, s1
	s_mov_b32 s3, 0
	s_cbranch_vccnz .LBB12_2671
; %bb.2663:
	v_cmp_gt_i16_e64 s1, s53, 14
	s_delay_alu instid0(VALU_DEP_1)
	s_and_b32 vcc_lo, exec_lo, s1
	s_cbranch_vccz .LBB12_2666
; %bb.2664:
	v_cmp_eq_u16_e64 s1, s53, 15
	s_delay_alu instid0(VALU_DEP_1)
	s_and_b32 vcc_lo, exec_lo, s1
	s_cbranch_vccz .LBB12_2667
; %bb.2665:
	global_load_u16 v2, v[0:1], off
	s_mov_b32 s2, 0
	s_mov_b32 s0, -1
	s_waitcnt vmcnt(0)
	v_lshlrev_b32_e32 v2, 16, v2
	s_delay_alu instid0(VALU_DEP_1)
	v_cvt_f64_f32_e32 v[58:59], v2
	s_branch .LBB12_2668
.LBB12_2666:
	s_mov_b32 s1, -1
                                        ; implicit-def: $vgpr58_vgpr59
	s_branch .LBB12_2669
.LBB12_2667:
	s_mov_b32 s2, -1
                                        ; implicit-def: $vgpr58_vgpr59
.LBB12_2668:
	s_mov_b32 s1, 0
.LBB12_2669:
	s_delay_alu instid0(SALU_CYCLE_1)
	s_and_b32 vcc_lo, exec_lo, s1
	s_cbranch_vccz .LBB12_2671
; %bb.2670:
	v_cmp_ne_u16_e64 s2, s53, 11
	s_mov_b32 s3, -1
                                        ; implicit-def: $vgpr58_vgpr59
.LBB12_2671:
	s_delay_alu instid0(VALU_DEP_1)
	s_and_b32 vcc_lo, exec_lo, s2
	s_cbranch_vccnz .LBB12_3206
; %bb.2672:
	s_and_not1_b32 vcc_lo, exec_lo, s3
	s_cbranch_vccnz .LBB12_2674
.LBB12_2673:
	global_load_u8 v2, v[0:1], off
	s_waitcnt vmcnt(1)
	v_mov_b32_e32 v58, 0
	s_mov_b32 s0, -1
	s_waitcnt vmcnt(0)
	v_cmp_ne_u16_e32 vcc_lo, 0, v2
	v_cndmask_b32_e64 v59, 0, 0x3ff00000, vcc_lo
.LBB12_2674:
	s_mov_b32 s1, 0
.LBB12_2675:
	s_delay_alu instid0(SALU_CYCLE_1)
	s_and_b32 vcc_lo, exec_lo, s1
	s_cbranch_vccz .LBB12_2724
; %bb.2676:
	v_cmp_lt_i16_e64 s0, s53, 5
	s_delay_alu instid0(VALU_DEP_1)
	s_and_b32 vcc_lo, exec_lo, s0
	s_cbranch_vccnz .LBB12_2681
; %bb.2677:
	v_cmp_lt_i16_e64 s0, s53, 8
	s_delay_alu instid0(VALU_DEP_1)
	s_and_b32 vcc_lo, exec_lo, s0
	s_cbranch_vccnz .LBB12_2682
	;; [unrolled: 5-line block ×3, first 2 shown]
; %bb.2679:
	v_cmp_gt_i16_e64 s0, s53, 9
	s_delay_alu instid0(VALU_DEP_1)
	s_and_b32 vcc_lo, exec_lo, s0
	s_cbranch_vccz .LBB12_2684
; %bb.2680:
	global_load_b64 v[58:59], v[0:1], off
	s_mov_b32 s0, 0
	s_branch .LBB12_2685
.LBB12_2681:
	s_mov_b32 s0, -1
                                        ; implicit-def: $vgpr58_vgpr59
	s_branch .LBB12_2703
.LBB12_2682:
	s_mov_b32 s0, -1
                                        ; implicit-def: $vgpr58_vgpr59
	s_branch .LBB12_2691
.LBB12_2683:
	s_mov_b32 s0, -1
                                        ; implicit-def: $vgpr58_vgpr59
	s_branch .LBB12_2688
.LBB12_2684:
	s_mov_b32 s0, -1
                                        ; implicit-def: $vgpr58_vgpr59
.LBB12_2685:
	s_delay_alu instid0(SALU_CYCLE_1)
	s_and_not1_b32 vcc_lo, exec_lo, s0
	s_cbranch_vccnz .LBB12_2687
; %bb.2686:
	global_load_b32 v2, v[0:1], off
	s_waitcnt vmcnt(0)
	v_cvt_f64_f32_e32 v[58:59], v2
.LBB12_2687:
	s_mov_b32 s0, 0
.LBB12_2688:
	s_delay_alu instid0(SALU_CYCLE_1)
	s_and_not1_b32 vcc_lo, exec_lo, s0
	s_cbranch_vccnz .LBB12_2690
; %bb.2689:
	global_load_b32 v2, v[0:1], off
	s_waitcnt vmcnt(0)
	v_cvt_f32_f16_e32 v2, v2
	s_delay_alu instid0(VALU_DEP_1)
	v_cvt_f64_f32_e32 v[58:59], v2
.LBB12_2690:
	s_mov_b32 s0, 0
.LBB12_2691:
	s_delay_alu instid0(SALU_CYCLE_1)
	s_and_not1_b32 vcc_lo, exec_lo, s0
	s_cbranch_vccnz .LBB12_2702
; %bb.2692:
	v_cmp_lt_i16_e64 s0, s53, 6
	s_delay_alu instid0(VALU_DEP_1)
	s_and_b32 vcc_lo, exec_lo, s0
	s_cbranch_vccnz .LBB12_2695
; %bb.2693:
	v_cmp_gt_i16_e64 s0, s53, 6
	s_delay_alu instid0(VALU_DEP_1)
	s_and_b32 vcc_lo, exec_lo, s0
	s_cbranch_vccz .LBB12_2696
; %bb.2694:
	global_load_b64 v[58:59], v[0:1], off
	s_mov_b32 s0, 0
	s_branch .LBB12_2697
.LBB12_2695:
	s_mov_b32 s0, -1
                                        ; implicit-def: $vgpr58_vgpr59
	s_branch .LBB12_2700
.LBB12_2696:
	s_mov_b32 s0, -1
                                        ; implicit-def: $vgpr58_vgpr59
.LBB12_2697:
	s_delay_alu instid0(SALU_CYCLE_1)
	s_and_not1_b32 vcc_lo, exec_lo, s0
	s_cbranch_vccnz .LBB12_2699
; %bb.2698:
	global_load_b32 v2, v[0:1], off
	s_waitcnt vmcnt(0)
	v_cvt_f64_f32_e32 v[58:59], v2
.LBB12_2699:
	s_mov_b32 s0, 0
.LBB12_2700:
	s_delay_alu instid0(SALU_CYCLE_1)
	s_and_not1_b32 vcc_lo, exec_lo, s0
	s_cbranch_vccnz .LBB12_2702
; %bb.2701:
	global_load_u16 v2, v[0:1], off
	s_waitcnt vmcnt(0)
	v_cvt_f32_f16_e32 v2, v2
	s_delay_alu instid0(VALU_DEP_1)
	v_cvt_f64_f32_e32 v[58:59], v2
.LBB12_2702:
	s_mov_b32 s0, 0
.LBB12_2703:
	s_delay_alu instid0(SALU_CYCLE_1)
	s_and_not1_b32 vcc_lo, exec_lo, s0
	s_cbranch_vccnz .LBB12_2723
; %bb.2704:
	v_cmp_lt_i16_e64 s0, s53, 2
	s_delay_alu instid0(VALU_DEP_1)
	s_and_b32 vcc_lo, exec_lo, s0
	s_cbranch_vccnz .LBB12_2708
; %bb.2705:
	v_cmp_lt_i16_e64 s0, s53, 3
	s_delay_alu instid0(VALU_DEP_1)
	s_and_b32 vcc_lo, exec_lo, s0
	s_cbranch_vccnz .LBB12_2709
; %bb.2706:
	v_cmp_gt_i16_e64 s0, s53, 3
	s_delay_alu instid0(VALU_DEP_1)
	s_and_b32 vcc_lo, exec_lo, s0
	s_cbranch_vccz .LBB12_2710
; %bb.2707:
	global_load_b64 v[2:3], v[0:1], off
	s_mov_b32 s0, 0
	s_waitcnt vmcnt(0)
	v_cvt_f64_i32_e32 v[3:4], v3
	v_cvt_f64_u32_e32 v[5:6], v2
	s_delay_alu instid0(VALU_DEP_2) | instskip(NEXT) | instid1(VALU_DEP_1)
	v_ldexp_f64 v[3:4], v[3:4], 32
	v_add_f64 v[58:59], v[3:4], v[5:6]
	s_branch .LBB12_2711
.LBB12_2708:
	s_mov_b32 s0, -1
                                        ; implicit-def: $vgpr58_vgpr59
	s_branch .LBB12_2717
.LBB12_2709:
	s_mov_b32 s0, -1
                                        ; implicit-def: $vgpr58_vgpr59
	s_branch .LBB12_2714
.LBB12_2710:
	s_mov_b32 s0, -1
                                        ; implicit-def: $vgpr58_vgpr59
.LBB12_2711:
	s_delay_alu instid0(SALU_CYCLE_1)
	s_and_not1_b32 vcc_lo, exec_lo, s0
	s_cbranch_vccnz .LBB12_2713
; %bb.2712:
	global_load_b32 v2, v[0:1], off
	s_waitcnt vmcnt(0)
	v_cvt_f64_i32_e32 v[58:59], v2
.LBB12_2713:
	s_mov_b32 s0, 0
.LBB12_2714:
	s_delay_alu instid0(SALU_CYCLE_1)
	s_and_not1_b32 vcc_lo, exec_lo, s0
	s_cbranch_vccnz .LBB12_2716
; %bb.2715:
	global_load_i16 v2, v[0:1], off
	s_waitcnt vmcnt(0)
	v_cvt_f64_i32_e32 v[58:59], v2
.LBB12_2716:
	s_mov_b32 s0, 0
.LBB12_2717:
	s_delay_alu instid0(SALU_CYCLE_1)
	s_and_not1_b32 vcc_lo, exec_lo, s0
	s_cbranch_vccnz .LBB12_2723
; %bb.2718:
	v_cmp_gt_i16_e64 s0, s53, 0
	s_delay_alu instid0(VALU_DEP_1)
	s_and_b32 vcc_lo, exec_lo, s0
	s_mov_b32 s0, 0
	s_cbranch_vccz .LBB12_2720
; %bb.2719:
	global_load_i8 v2, v[0:1], off
	s_waitcnt vmcnt(0)
	v_cvt_f64_i32_e32 v[58:59], v2
	s_branch .LBB12_2721
.LBB12_2720:
	s_mov_b32 s0, -1
                                        ; implicit-def: $vgpr58_vgpr59
.LBB12_2721:
	s_delay_alu instid0(SALU_CYCLE_1)
	s_and_not1_b32 vcc_lo, exec_lo, s0
	s_cbranch_vccnz .LBB12_2723
; %bb.2722:
	global_load_u8 v0, v[0:1], off
	s_waitcnt vmcnt(0)
	v_cvt_f64_u32_e32 v[58:59], v0
.LBB12_2723:
	s_mov_b32 s0, -1
.LBB12_2724:
	s_delay_alu instid0(SALU_CYCLE_1)
	s_and_not1_b32 vcc_lo, exec_lo, s0
	s_cbranch_vccnz .LBB12_2727
; %bb.2725:
	s_and_b32 vcc_lo, exec_lo, s54
	s_cbranch_vccz .LBB12_2772
; %bb.2726:
	s_waitcnt vmcnt(0)
	s_delay_alu instid0(VALU_DEP_4) | instskip(NEXT) | instid1(VALU_DEP_2)
	v_dual_mov_b32 v0, v45 :: v_dual_mov_b32 v1, v46
	v_dual_mov_b32 v2, v58 :: v_dual_mov_b32 v3, v59
	s_getpc_b64 s[0:1]
	s_add_u32 s0, s0, _ZN12_GLOBAL__N_111calc_igammaIdEET_S1_S1_@rel32@lo+4
	s_addc_u32 s1, s1, _ZN12_GLOBAL__N_111calc_igammaIdEET_S1_S1_@rel32@hi+12
	s_delay_alu instid0(SALU_CYCLE_1)
	s_swappc_b64 s[30:31], s[0:1]
	s_mov_b32 s0, 0
	s_branch .LBB12_2773
.LBB12_2727:
	s_mov_b32 s0, 0
	s_mov_b32 s1, 0
                                        ; implicit-def: $vgpr4_vgpr5
                                        ; implicit-def: $vgpr6
                                        ; implicit-def: $vgpr0_vgpr1
.LBB12_2728:
	s_and_b32 s2, s0, exec_lo
	s_and_not1_b32 s0, s50, exec_lo
	s_and_b32 s3, s43, exec_lo
	s_and_b32 s67, s1, exec_lo
	s_or_b32 s50, s0, s3
.LBB12_2729:
	s_or_b32 exec_lo, exec_lo, s51
	s_and_saveexec_b32 s0, s50
	s_cbranch_execz .LBB12_2732
; %bb.2730:
	; divergent unreachable
	s_or_b32 exec_lo, exec_lo, s0
	s_and_saveexec_b32 s0, s67
	s_delay_alu instid0(SALU_CYCLE_1)
	s_xor_b32 s0, exec_lo, s0
	s_cbranch_execnz .LBB12_2733
.LBB12_2731:
	s_or_b32 exec_lo, exec_lo, s0
	s_and_saveexec_b32 s0, s2
	s_cbranch_execnz .LBB12_2734
	s_branch .LBB12_2771
.LBB12_2732:
	s_or_b32 exec_lo, exec_lo, s0
	s_and_saveexec_b32 s0, s67
	s_delay_alu instid0(SALU_CYCLE_1)
	s_xor_b32 s0, exec_lo, s0
	s_cbranch_execz .LBB12_2731
.LBB12_2733:
	v_cmp_neq_f64_e32 vcc_lo, 0, v[0:1]
	v_cndmask_b32_e64 v2, 0, 1, vcc_lo
	global_store_b8 v[4:5], v2, off
	s_or_b32 exec_lo, exec_lo, s0
	s_and_saveexec_b32 s0, s2
	s_cbranch_execz .LBB12_2771
.LBB12_2734:
	v_cmp_gt_i16_e32 vcc_lo, 5, v6
	s_mov_b32 s0, -1
	s_cbranch_vccnz .LBB12_2755
; %bb.2735:
	v_cmp_gt_i16_e32 vcc_lo, 8, v6
	s_cbranch_vccnz .LBB12_2745
; %bb.2736:
	v_cmp_gt_i16_e32 vcc_lo, 9, v6
	s_cbranch_vccnz .LBB12_2742
; %bb.2737:
	v_cmp_lt_i16_e32 vcc_lo, 9, v6
	s_cbranch_vccz .LBB12_2739
; %bb.2738:
	v_mov_b32_e32 v2, 0
	s_mov_b32 s0, 0
	s_delay_alu instid0(VALU_DEP_1)
	v_mov_b32_e32 v3, v2
	global_store_b128 v[4:5], v[0:3], off
.LBB12_2739:
	s_and_not1_b32 vcc_lo, exec_lo, s0
	s_cbranch_vccnz .LBB12_2741
; %bb.2740:
	v_cvt_f32_f64_e32 v2, v[0:1]
	v_mov_b32_e32 v3, 0
	global_store_b64 v[4:5], v[2:3], off
.LBB12_2741:
	s_mov_b32 s0, 0
.LBB12_2742:
	s_delay_alu instid0(SALU_CYCLE_1)
	s_and_not1_b32 vcc_lo, exec_lo, s0
	s_cbranch_vccnz .LBB12_2744
; %bb.2743:
	v_cvt_f32_f64_e32 v2, v[0:1]
	s_delay_alu instid0(VALU_DEP_1) | instskip(NEXT) | instid1(VALU_DEP_1)
	v_cvt_f16_f32_e32 v2, v2
	v_and_b32_e32 v2, 0xffff, v2
	global_store_b32 v[4:5], v2, off
.LBB12_2744:
	s_mov_b32 s0, 0
.LBB12_2745:
	s_delay_alu instid0(SALU_CYCLE_1)
	s_and_not1_b32 vcc_lo, exec_lo, s0
	s_cbranch_vccnz .LBB12_2754
; %bb.2746:
	v_cmp_gt_i16_e32 vcc_lo, 6, v6
	s_mov_b32 s0, -1
	s_cbranch_vccnz .LBB12_2752
; %bb.2747:
	v_cmp_lt_i16_e32 vcc_lo, 6, v6
	s_cbranch_vccz .LBB12_2749
; %bb.2748:
	s_mov_b32 s0, 0
	global_store_b64 v[4:5], v[0:1], off
.LBB12_2749:
	s_and_not1_b32 vcc_lo, exec_lo, s0
	s_cbranch_vccnz .LBB12_2751
; %bb.2750:
	v_cvt_f32_f64_e32 v2, v[0:1]
	global_store_b32 v[4:5], v2, off
.LBB12_2751:
	s_mov_b32 s0, 0
.LBB12_2752:
	s_delay_alu instid0(SALU_CYCLE_1)
	s_and_not1_b32 vcc_lo, exec_lo, s0
	s_cbranch_vccnz .LBB12_2754
; %bb.2753:
	v_cvt_f32_f64_e32 v2, v[0:1]
	s_delay_alu instid0(VALU_DEP_1)
	v_cvt_f16_f32_e32 v2, v2
	global_store_b16 v[4:5], v2, off
.LBB12_2754:
	s_mov_b32 s0, 0
.LBB12_2755:
	s_delay_alu instid0(SALU_CYCLE_1)
	s_and_not1_b32 vcc_lo, exec_lo, s0
	s_cbranch_vccnz .LBB12_2771
; %bb.2756:
	v_cmp_gt_i16_e32 vcc_lo, 2, v6
	s_mov_b32 s0, -1
	s_cbranch_vccnz .LBB12_2766
; %bb.2757:
	v_cmp_gt_i16_e32 vcc_lo, 3, v6
	s_cbranch_vccnz .LBB12_2763
; %bb.2758:
	v_cmp_lt_i16_e32 vcc_lo, 3, v6
	s_cbranch_vccz .LBB12_2760
; %bb.2759:
	v_trunc_f64_e32 v[2:3], v[0:1]
	s_mov_b32 s0, 0
	s_delay_alu instid0(VALU_DEP_1) | instskip(NEXT) | instid1(VALU_DEP_1)
	v_ldexp_f64 v[7:8], v[2:3], 0xffffffe0
	v_floor_f64_e32 v[7:8], v[7:8]
	s_delay_alu instid0(VALU_DEP_1) | instskip(SKIP_1) | instid1(VALU_DEP_2)
	v_fma_f64 v[2:3], 0xc1f00000, v[7:8], v[2:3]
	v_cvt_i32_f64_e32 v8, v[7:8]
	v_cvt_u32_f64_e32 v7, v[2:3]
	global_store_b64 v[4:5], v[7:8], off
.LBB12_2760:
	s_and_not1_b32 vcc_lo, exec_lo, s0
	s_cbranch_vccnz .LBB12_2762
; %bb.2761:
	v_cvt_i32_f64_e32 v2, v[0:1]
	global_store_b32 v[4:5], v2, off
.LBB12_2762:
	s_mov_b32 s0, 0
.LBB12_2763:
	s_delay_alu instid0(SALU_CYCLE_1)
	s_and_not1_b32 vcc_lo, exec_lo, s0
	s_cbranch_vccnz .LBB12_2765
; %bb.2764:
	v_cvt_i32_f64_e32 v2, v[0:1]
	global_store_b16 v[4:5], v2, off
.LBB12_2765:
	s_mov_b32 s0, 0
.LBB12_2766:
	s_delay_alu instid0(SALU_CYCLE_1)
	s_and_not1_b32 vcc_lo, exec_lo, s0
	s_cbranch_vccnz .LBB12_2771
; %bb.2767:
	v_cmp_lt_i16_e32 vcc_lo, 0, v6
	s_mov_b32 s0, -1
	s_cbranch_vccz .LBB12_2769
; %bb.2768:
	v_cvt_i32_f64_e32 v2, v[0:1]
	s_mov_b32 s0, 0
	global_store_b8 v[4:5], v2, off
.LBB12_2769:
	s_and_not1_b32 vcc_lo, exec_lo, s0
	s_cbranch_vccnz .LBB12_2771
; %bb.2770:
	v_trunc_f64_e32 v[0:1], v[0:1]
	s_delay_alu instid0(VALU_DEP_1) | instskip(NEXT) | instid1(VALU_DEP_1)
	v_ldexp_f64 v[2:3], v[0:1], 0xffffffe0
	v_floor_f64_e32 v[2:3], v[2:3]
	s_delay_alu instid0(VALU_DEP_1) | instskip(NEXT) | instid1(VALU_DEP_1)
	v_fma_f64 v[0:1], 0xc1f00000, v[2:3], v[0:1]
	v_cvt_u32_f64_e32 v0, v[0:1]
	global_store_b8 v[4:5], v0, off
	s_endpgm
.LBB12_2771:
	s_endpgm
.LBB12_2772:
	s_mov_b32 s0, -1
                                        ; implicit-def: $vgpr0_vgpr1
.LBB12_2773:
	s_delay_alu instid0(SALU_CYCLE_1)
	s_and_not1_b32 vcc_lo, exec_lo, s0
	s_cbranch_vccnz .LBB12_2775
; %bb.2774:
	s_waitcnt vmcnt(0)
	s_delay_alu instid0(VALU_DEP_4) | instskip(NEXT) | instid1(VALU_DEP_2)
	v_dual_mov_b32 v0, v45 :: v_dual_mov_b32 v1, v46
	v_dual_mov_b32 v2, v58 :: v_dual_mov_b32 v3, v59
	s_getpc_b64 s[0:1]
	s_add_u32 s0, s0, _ZN12_GLOBAL__N_112calc_igammacIdEET_S1_S1_@rel32@lo+4
	s_addc_u32 s1, s1, _ZN12_GLOBAL__N_112calc_igammacIdEET_S1_S1_@rel32@hi+12
	s_delay_alu instid0(SALU_CYCLE_1)
	s_swappc_b64 s[30:31], s[0:1]
.LBB12_2775:
	s_lshr_b32 s0, s52, 8
	s_mov_b32 s2, 0
	v_and_b32_e64 v6, 0xff, s0
	v_add_co_u32 v2, s0, s44, v74
	s_delay_alu instid0(VALU_DEP_1) | instskip(NEXT) | instid1(VALU_DEP_3)
	v_add_co_ci_u32_e64 v3, null, s45, 0, s0
	v_cmp_gt_i16_e32 vcc_lo, 11, v6
	s_mov_b32 s0, -1
	s_cbranch_vccnz .LBB12_2853
; %bb.2776:
	v_cmp_lt_i16_e32 vcc_lo, 25, v6
	s_mov_b32 s3, -1
	s_mov_b32 s1, 0
	s_mov_b32 s0, 0
	s_cbranch_vccz .LBB12_2809
; %bb.2777:
	v_cmp_lt_i16_e32 vcc_lo, 28, v6
	s_cbranch_vccz .LBB12_2792
; %bb.2778:
	v_cmp_lt_i16_e32 vcc_lo, 43, v6
	;; [unrolled: 3-line block ×3, first 2 shown]
	s_cbranch_vccz .LBB12_2782
; %bb.2780:
	v_cmp_eq_u16_e32 vcc_lo, 46, v6
	s_mov_b32 s0, -1
	s_mov_b32 s3, 0
	s_cbranch_vccz .LBB12_2782
; %bb.2781:
	s_waitcnt vmcnt(0)
	v_cvt_f32_f64_e32 v4, v[43:44]
	s_mov_b32 s0, 0
	s_mov_b32 s2, -1
	s_delay_alu instid0(VALU_DEP_1) | instskip(SKIP_1) | instid1(VALU_DEP_2)
	v_bfe_u32 v5, v4, 16, 1
	v_cmp_o_f32_e32 vcc_lo, v4, v4
	v_add3_u32 v5, v4, v5, 0x7fff
	s_delay_alu instid0(VALU_DEP_1) | instskip(NEXT) | instid1(VALU_DEP_1)
	v_lshrrev_b32_e32 v5, 16, v5
	v_cndmask_b32_e32 v4, 0x7fc0, v5, vcc_lo
	global_store_b32 v[2:3], v4, off
.LBB12_2782:
	s_and_b32 vcc_lo, exec_lo, s3
	s_cbranch_vccz .LBB12_2787
; %bb.2783:
	v_cmp_eq_u16_e32 vcc_lo, 44, v6
	s_mov_b32 s0, -1
	s_cbranch_vccz .LBB12_2787
; %bb.2784:
	s_waitcnt vmcnt(0)
	v_cvt_f32_f64_e32 v4, v[43:44]
	v_mov_b32_e32 v5, 0xff
	s_mov_b32 s2, exec_lo
	s_delay_alu instid0(VALU_DEP_2) | instskip(NEXT) | instid1(VALU_DEP_1)
	v_bfe_u32 v7, v4, 23, 8
	v_cmpx_ne_u32_e32 0xff, v7
; %bb.2785:
	v_and_b32_e32 v5, 0x400000, v4
	v_and_or_b32 v7, 0x3fffff, v4, v7
	v_lshrrev_b32_e32 v4, 23, v4
	s_delay_alu instid0(VALU_DEP_3) | instskip(NEXT) | instid1(VALU_DEP_3)
	v_cmp_ne_u32_e32 vcc_lo, 0, v5
	v_cmp_ne_u32_e64 s0, 0, v7
	s_delay_alu instid0(VALU_DEP_1) | instskip(NEXT) | instid1(SALU_CYCLE_1)
	s_and_b32 s0, vcc_lo, s0
	v_cndmask_b32_e64 v5, 0, 1, s0
	s_delay_alu instid0(VALU_DEP_1)
	v_add_nc_u32_e32 v5, v4, v5
; %bb.2786:
	s_or_b32 exec_lo, exec_lo, s2
	s_mov_b32 s0, 0
	s_mov_b32 s2, -1
	global_store_b8 v[2:3], v5, off
.LBB12_2787:
	s_mov_b32 s3, 0
.LBB12_2788:
	s_delay_alu instid0(SALU_CYCLE_1)
	s_and_b32 vcc_lo, exec_lo, s3
	s_cbranch_vccz .LBB12_2791
; %bb.2789:
	v_cmp_eq_u16_e32 vcc_lo, 29, v6
	s_mov_b32 s0, -1
	s_cbranch_vccz .LBB12_2791
; %bb.2790:
	s_waitcnt vmcnt(0)
	v_trunc_f64_e32 v[4:5], v[43:44]
	s_mov_b32 s0, 0
	s_mov_b32 s2, -1
	s_delay_alu instid0(VALU_DEP_1) | instskip(NEXT) | instid1(VALU_DEP_1)
	v_ldexp_f64 v[7:8], v[4:5], 0xffffffe0
	v_floor_f64_e32 v[7:8], v[7:8]
	s_delay_alu instid0(VALU_DEP_1) | instskip(SKIP_1) | instid1(VALU_DEP_2)
	v_fma_f64 v[4:5], 0xc1f00000, v[7:8], v[4:5]
	v_cvt_u32_f64_e32 v8, v[7:8]
	v_cvt_u32_f64_e32 v7, v[4:5]
	global_store_b64 v[2:3], v[7:8], off
.LBB12_2791:
	s_mov_b32 s3, 0
.LBB12_2792:
	s_delay_alu instid0(SALU_CYCLE_1)
	s_and_b32 vcc_lo, exec_lo, s3
	s_cbranch_vccz .LBB12_2808
; %bb.2793:
	v_cmp_gt_i16_e32 vcc_lo, 27, v6
	s_mov_b32 s2, -1
	s_cbranch_vccnz .LBB12_2799
; %bb.2794:
	s_waitcnt vmcnt(0)
	v_cvt_u32_f64_e32 v4, v[43:44]
	v_cmp_lt_i16_e32 vcc_lo, 27, v6
	s_cbranch_vccz .LBB12_2796
; %bb.2795:
	s_mov_b32 s2, 0
	global_store_b32 v[2:3], v4, off
.LBB12_2796:
	s_and_not1_b32 vcc_lo, exec_lo, s2
	s_cbranch_vccnz .LBB12_2798
; %bb.2797:
	global_store_b16 v[2:3], v4, off
.LBB12_2798:
	s_mov_b32 s2, 0
.LBB12_2799:
	s_delay_alu instid0(SALU_CYCLE_1)
	s_and_not1_b32 vcc_lo, exec_lo, s2
	s_cbranch_vccnz .LBB12_2807
; %bb.2800:
	s_waitcnt vmcnt(0)
	v_cvt_f32_f64_e32 v4, v[43:44]
	v_mov_b32_e32 v7, 0x80
	s_mov_b32 s2, exec_lo
	s_delay_alu instid0(VALU_DEP_2) | instskip(NEXT) | instid1(VALU_DEP_1)
	v_and_b32_e32 v5, 0x7fffffff, v4
	v_cmpx_gt_u32_e32 0x43800000, v5
	s_cbranch_execz .LBB12_2806
; %bb.2801:
	v_cmp_lt_u32_e32 vcc_lo, 0x3bffffff, v5
	s_mov_b32 s3, 0
                                        ; implicit-def: $vgpr5
	s_and_saveexec_b32 s4, vcc_lo
	s_delay_alu instid0(SALU_CYCLE_1)
	s_xor_b32 s4, exec_lo, s4
	s_cbranch_execz .LBB12_3208
; %bb.2802:
	v_bfe_u32 v5, v4, 20, 1
	s_mov_b32 s3, exec_lo
	s_delay_alu instid0(VALU_DEP_1) | instskip(NEXT) | instid1(VALU_DEP_1)
	v_add3_u32 v5, v4, v5, 0x487ffff
	v_lshrrev_b32_e32 v5, 20, v5
	s_or_saveexec_b32 s4, s4
                                        ; implicit-def: $sgpr5
	s_delay_alu instid0(SALU_CYCLE_1)
	s_xor_b32 exec_lo, exec_lo, s4
	s_cbranch_execnz .LBB12_3209
.LBB12_2803:
	s_or_b32 exec_lo, exec_lo, s4
	v_mov_b32_e32 v7, s5
	s_and_saveexec_b32 s4, s3
.LBB12_2804:
	v_lshrrev_b32_e32 v4, 24, v4
	s_delay_alu instid0(VALU_DEP_1)
	v_and_or_b32 v7, 0x80, v4, v5
.LBB12_2805:
	s_or_b32 exec_lo, exec_lo, s4
.LBB12_2806:
	s_delay_alu instid0(SALU_CYCLE_1)
	s_or_b32 exec_lo, exec_lo, s2
	global_store_b8 v[2:3], v7, off
.LBB12_2807:
	s_mov_b32 s2, -1
.LBB12_2808:
	s_mov_b32 s3, 0
.LBB12_2809:
	s_delay_alu instid0(SALU_CYCLE_1)
	s_and_b32 vcc_lo, exec_lo, s3
	s_cbranch_vccz .LBB12_2849
; %bb.2810:
	v_cmp_lt_i16_e32 vcc_lo, 22, v6
	s_mov_b32 s1, -1
	s_cbranch_vccz .LBB12_2842
; %bb.2811:
	v_cmp_gt_i16_e32 vcc_lo, 24, v6
	s_cbranch_vccnz .LBB12_2831
; %bb.2812:
	v_cmp_lt_i16_e32 vcc_lo, 24, v6
	s_cbranch_vccz .LBB12_2820
; %bb.2813:
	s_waitcnt vmcnt(0)
	v_cvt_f32_f64_e32 v4, v[43:44]
	v_mov_b32_e32 v7, 0x80
	s_mov_b32 s1, exec_lo
	s_delay_alu instid0(VALU_DEP_2) | instskip(NEXT) | instid1(VALU_DEP_1)
	v_and_b32_e32 v5, 0x7fffffff, v4
	v_cmpx_gt_u32_e32 0x47800000, v5
	s_cbranch_execz .LBB12_2819
; %bb.2814:
	v_cmp_lt_u32_e32 vcc_lo, 0x37ffffff, v5
	s_mov_b32 s2, 0
                                        ; implicit-def: $vgpr5
	s_and_saveexec_b32 s3, vcc_lo
	s_delay_alu instid0(SALU_CYCLE_1)
	s_xor_b32 s3, exec_lo, s3
	s_cbranch_execz .LBB12_3214
; %bb.2815:
	v_bfe_u32 v5, v4, 21, 1
	s_mov_b32 s2, exec_lo
	s_delay_alu instid0(VALU_DEP_1) | instskip(NEXT) | instid1(VALU_DEP_1)
	v_add3_u32 v5, v4, v5, 0x88fffff
	v_lshrrev_b32_e32 v5, 21, v5
	s_or_saveexec_b32 s3, s3
                                        ; implicit-def: $sgpr4
	s_delay_alu instid0(SALU_CYCLE_1)
	s_xor_b32 exec_lo, exec_lo, s3
	s_cbranch_execnz .LBB12_3215
.LBB12_2816:
	s_or_b32 exec_lo, exec_lo, s3
	v_mov_b32_e32 v7, s4
	s_and_saveexec_b32 s3, s2
.LBB12_2817:
	v_lshrrev_b32_e32 v4, 24, v4
	s_delay_alu instid0(VALU_DEP_1)
	v_and_or_b32 v7, 0x80, v4, v5
.LBB12_2818:
	s_or_b32 exec_lo, exec_lo, s3
.LBB12_2819:
	s_delay_alu instid0(SALU_CYCLE_1)
	s_or_b32 exec_lo, exec_lo, s1
	s_mov_b32 s1, 0
	global_store_b8 v[2:3], v7, off
.LBB12_2820:
	s_and_b32 vcc_lo, exec_lo, s1
	s_cbranch_vccz .LBB12_2830
; %bb.2821:
	s_waitcnt vmcnt(0)
	v_cvt_f32_f64_e32 v4, v[43:44]
	s_mov_b32 s1, exec_lo
                                        ; implicit-def: $vgpr5
	s_delay_alu instid0(VALU_DEP_1) | instskip(NEXT) | instid1(VALU_DEP_1)
	v_and_b32_e32 v7, 0x7fffffff, v4
	v_cmpx_gt_u32_e32 0x43f00000, v7
	s_xor_b32 s1, exec_lo, s1
	s_cbranch_execz .LBB12_2827
; %bb.2822:
	s_mov_b32 s2, exec_lo
                                        ; implicit-def: $vgpr5
	v_cmpx_lt_u32_e32 0x3c7fffff, v7
	s_xor_b32 s2, exec_lo, s2
; %bb.2823:
	v_bfe_u32 v5, v4, 20, 1
	s_delay_alu instid0(VALU_DEP_1) | instskip(NEXT) | instid1(VALU_DEP_1)
	v_add3_u32 v5, v4, v5, 0x407ffff
	v_and_b32_e32 v7, 0xff00000, v5
	v_lshrrev_b32_e32 v5, 20, v5
	s_delay_alu instid0(VALU_DEP_2) | instskip(NEXT) | instid1(VALU_DEP_2)
	v_cmp_ne_u32_e32 vcc_lo, 0x7f00000, v7
	v_cndmask_b32_e32 v5, 0x7e, v5, vcc_lo
; %bb.2824:
	s_and_not1_saveexec_b32 s2, s2
; %bb.2825:
	v_add_f32_e64 v5, 0x46800000, |v4|
; %bb.2826:
	s_or_b32 exec_lo, exec_lo, s2
                                        ; implicit-def: $vgpr7
.LBB12_2827:
	s_and_not1_saveexec_b32 s1, s1
; %bb.2828:
	v_mov_b32_e32 v5, 0x7f
	v_cmp_lt_u32_e32 vcc_lo, 0x7f800000, v7
	s_delay_alu instid0(VALU_DEP_2)
	v_cndmask_b32_e32 v5, 0x7e, v5, vcc_lo
; %bb.2829:
	s_or_b32 exec_lo, exec_lo, s1
	v_lshrrev_b32_e32 v4, 24, v4
	s_delay_alu instid0(VALU_DEP_1)
	v_and_or_b32 v4, 0x80, v4, v5
	global_store_b8 v[2:3], v4, off
.LBB12_2830:
	s_mov_b32 s1, 0
.LBB12_2831:
	s_delay_alu instid0(SALU_CYCLE_1)
	s_and_not1_b32 vcc_lo, exec_lo, s1
	s_cbranch_vccnz .LBB12_2841
; %bb.2832:
	s_waitcnt vmcnt(0)
	v_cvt_f32_f64_e32 v4, v[43:44]
	s_mov_b32 s1, exec_lo
                                        ; implicit-def: $vgpr5
	s_delay_alu instid0(VALU_DEP_1) | instskip(NEXT) | instid1(VALU_DEP_1)
	v_and_b32_e32 v7, 0x7fffffff, v4
	v_cmpx_gt_u32_e32 0x47800000, v7
	s_xor_b32 s1, exec_lo, s1
	s_cbranch_execz .LBB12_2838
; %bb.2833:
	s_mov_b32 s2, exec_lo
                                        ; implicit-def: $vgpr5
	v_cmpx_lt_u32_e32 0x387fffff, v7
	s_xor_b32 s2, exec_lo, s2
; %bb.2834:
	v_bfe_u32 v5, v4, 21, 1
	s_delay_alu instid0(VALU_DEP_1) | instskip(NEXT) | instid1(VALU_DEP_1)
	v_add3_u32 v5, v4, v5, 0x80fffff
	v_lshrrev_b32_e32 v5, 21, v5
; %bb.2835:
	s_and_not1_saveexec_b32 s2, s2
; %bb.2836:
	v_add_f32_e64 v5, 0x43000000, |v4|
; %bb.2837:
	s_or_b32 exec_lo, exec_lo, s2
                                        ; implicit-def: $vgpr7
.LBB12_2838:
	s_and_not1_saveexec_b32 s1, s1
; %bb.2839:
	v_mov_b32_e32 v5, 0x7f
	v_cmp_lt_u32_e32 vcc_lo, 0x7f800000, v7
	s_delay_alu instid0(VALU_DEP_2)
	v_cndmask_b32_e32 v5, 0x7c, v5, vcc_lo
; %bb.2840:
	s_or_b32 exec_lo, exec_lo, s1
	v_lshrrev_b32_e32 v4, 24, v4
	s_delay_alu instid0(VALU_DEP_1)
	v_and_or_b32 v4, 0x80, v4, v5
	global_store_b8 v[2:3], v4, off
.LBB12_2841:
	s_mov_b32 s1, 0
	s_mov_b32 s2, -1
.LBB12_2842:
	s_and_not1_b32 vcc_lo, exec_lo, s1
	s_mov_b32 s1, 0
	s_cbranch_vccnz .LBB12_2849
; %bb.2843:
	v_cmp_lt_i16_e32 vcc_lo, 14, v6
	s_mov_b32 s1, -1
	s_cbranch_vccz .LBB12_2847
; %bb.2844:
	v_cmp_eq_u16_e32 vcc_lo, 15, v6
	s_mov_b32 s0, -1
	s_cbranch_vccz .LBB12_2846
; %bb.2845:
	s_waitcnt vmcnt(0)
	v_cvt_f32_f64_e32 v4, v[43:44]
	s_mov_b32 s0, 0
	s_mov_b32 s2, -1
	s_delay_alu instid0(VALU_DEP_1) | instskip(SKIP_1) | instid1(VALU_DEP_2)
	v_bfe_u32 v5, v4, 16, 1
	v_cmp_o_f32_e32 vcc_lo, v4, v4
	v_add3_u32 v5, v4, v5, 0x7fff
	s_delay_alu instid0(VALU_DEP_1) | instskip(NEXT) | instid1(VALU_DEP_1)
	v_lshrrev_b32_e32 v5, 16, v5
	v_cndmask_b32_e32 v4, 0x7fc0, v5, vcc_lo
	global_store_b16 v[2:3], v4, off
.LBB12_2846:
	s_mov_b32 s1, 0
.LBB12_2847:
	s_delay_alu instid0(SALU_CYCLE_1)
	s_and_b32 vcc_lo, exec_lo, s1
	s_mov_b32 s1, 0
	s_cbranch_vccz .LBB12_2849
; %bb.2848:
	v_cmp_ne_u16_e64 s0, 11, v6
	s_mov_b32 s1, -1
.LBB12_2849:
	s_delay_alu instid0(VALU_DEP_1)
	s_and_b32 vcc_lo, exec_lo, s0
	s_cbranch_vccnz .LBB12_3212
; %bb.2850:
	s_and_not1_b32 vcc_lo, exec_lo, s1
	s_cbranch_vccnz .LBB12_2852
.LBB12_2851:
	s_waitcnt vmcnt(0)
	v_cmp_neq_f64_e32 vcc_lo, 0, v[43:44]
	s_mov_b32 s2, -1
	v_cndmask_b32_e64 v4, 0, 1, vcc_lo
	global_store_b8 v[2:3], v4, off
.LBB12_2852:
	s_mov_b32 s0, 0
.LBB12_2853:
	s_delay_alu instid0(SALU_CYCLE_1)
	s_and_b32 vcc_lo, exec_lo, s0
	s_cbranch_vccz .LBB12_2892
; %bb.2854:
	v_cmp_gt_i16_e32 vcc_lo, 5, v6
	s_mov_b32 s0, -1
	s_cbranch_vccnz .LBB12_2875
; %bb.2855:
	v_cmp_gt_i16_e32 vcc_lo, 8, v6
	s_cbranch_vccnz .LBB12_2865
; %bb.2856:
	v_cmp_gt_i16_e32 vcc_lo, 9, v6
	s_cbranch_vccnz .LBB12_2862
; %bb.2857:
	v_cmp_lt_i16_e32 vcc_lo, 9, v6
	s_cbranch_vccz .LBB12_2859
; %bb.2858:
	s_waitcnt vmcnt(0)
	v_mov_b32_e32 v45, 0
	s_mov_b32 s0, 0
	s_delay_alu instid0(VALU_DEP_1)
	v_mov_b32_e32 v46, v45
	global_store_b128 v[2:3], v[43:46], off
.LBB12_2859:
	s_and_not1_b32 vcc_lo, exec_lo, s0
	s_cbranch_vccnz .LBB12_2861
; %bb.2860:
	s_waitcnt vmcnt(0)
	v_cvt_f32_f64_e32 v4, v[43:44]
	v_mov_b32_e32 v5, 0
	global_store_b64 v[2:3], v[4:5], off
.LBB12_2861:
	s_mov_b32 s0, 0
.LBB12_2862:
	s_delay_alu instid0(SALU_CYCLE_1)
	s_and_not1_b32 vcc_lo, exec_lo, s0
	s_cbranch_vccnz .LBB12_2864
; %bb.2863:
	s_waitcnt vmcnt(0)
	v_cvt_f32_f64_e32 v4, v[43:44]
	s_delay_alu instid0(VALU_DEP_1) | instskip(NEXT) | instid1(VALU_DEP_1)
	v_cvt_f16_f32_e32 v4, v4
	v_and_b32_e32 v4, 0xffff, v4
	global_store_b32 v[2:3], v4, off
.LBB12_2864:
	s_mov_b32 s0, 0
.LBB12_2865:
	s_delay_alu instid0(SALU_CYCLE_1)
	s_and_not1_b32 vcc_lo, exec_lo, s0
	s_cbranch_vccnz .LBB12_2874
; %bb.2866:
	v_cmp_gt_i16_e32 vcc_lo, 6, v6
	s_mov_b32 s0, -1
	s_cbranch_vccnz .LBB12_2872
; %bb.2867:
	v_cmp_lt_i16_e32 vcc_lo, 6, v6
	s_cbranch_vccz .LBB12_2869
; %bb.2868:
	s_mov_b32 s0, 0
	s_waitcnt vmcnt(0)
	global_store_b64 v[2:3], v[43:44], off
.LBB12_2869:
	s_and_not1_b32 vcc_lo, exec_lo, s0
	s_cbranch_vccnz .LBB12_2871
; %bb.2870:
	s_waitcnt vmcnt(0)
	v_cvt_f32_f64_e32 v4, v[43:44]
	global_store_b32 v[2:3], v4, off
.LBB12_2871:
	s_mov_b32 s0, 0
.LBB12_2872:
	s_delay_alu instid0(SALU_CYCLE_1)
	s_and_not1_b32 vcc_lo, exec_lo, s0
	s_cbranch_vccnz .LBB12_2874
; %bb.2873:
	s_waitcnt vmcnt(0)
	v_cvt_f32_f64_e32 v4, v[43:44]
	s_delay_alu instid0(VALU_DEP_1)
	v_cvt_f16_f32_e32 v4, v4
	global_store_b16 v[2:3], v4, off
.LBB12_2874:
	s_mov_b32 s0, 0
.LBB12_2875:
	s_delay_alu instid0(SALU_CYCLE_1)
	s_and_not1_b32 vcc_lo, exec_lo, s0
	s_cbranch_vccnz .LBB12_2891
; %bb.2876:
	v_cmp_gt_i16_e32 vcc_lo, 2, v6
	s_mov_b32 s0, -1
	s_cbranch_vccnz .LBB12_2886
; %bb.2877:
	v_cmp_gt_i16_e32 vcc_lo, 3, v6
	s_cbranch_vccnz .LBB12_2883
; %bb.2878:
	v_cmp_lt_i16_e32 vcc_lo, 3, v6
	s_cbranch_vccz .LBB12_2880
; %bb.2879:
	s_waitcnt vmcnt(0)
	v_trunc_f64_e32 v[4:5], v[43:44]
	s_mov_b32 s0, 0
	s_delay_alu instid0(VALU_DEP_1) | instskip(NEXT) | instid1(VALU_DEP_1)
	v_ldexp_f64 v[7:8], v[4:5], 0xffffffe0
	v_floor_f64_e32 v[7:8], v[7:8]
	s_delay_alu instid0(VALU_DEP_1) | instskip(SKIP_1) | instid1(VALU_DEP_2)
	v_fma_f64 v[4:5], 0xc1f00000, v[7:8], v[4:5]
	v_cvt_i32_f64_e32 v8, v[7:8]
	v_cvt_u32_f64_e32 v7, v[4:5]
	global_store_b64 v[2:3], v[7:8], off
.LBB12_2880:
	s_and_not1_b32 vcc_lo, exec_lo, s0
	s_cbranch_vccnz .LBB12_2882
; %bb.2881:
	s_waitcnt vmcnt(0)
	v_cvt_i32_f64_e32 v4, v[43:44]
	global_store_b32 v[2:3], v4, off
.LBB12_2882:
	s_mov_b32 s0, 0
.LBB12_2883:
	s_delay_alu instid0(SALU_CYCLE_1)
	s_and_not1_b32 vcc_lo, exec_lo, s0
	s_cbranch_vccnz .LBB12_2885
; %bb.2884:
	s_waitcnt vmcnt(0)
	v_cvt_i32_f64_e32 v4, v[43:44]
	global_store_b16 v[2:3], v4, off
.LBB12_2885:
	s_mov_b32 s0, 0
.LBB12_2886:
	s_delay_alu instid0(SALU_CYCLE_1)
	s_and_not1_b32 vcc_lo, exec_lo, s0
	s_cbranch_vccnz .LBB12_2891
; %bb.2887:
	v_cmp_lt_i16_e32 vcc_lo, 0, v6
	s_mov_b32 s0, -1
	s_cbranch_vccz .LBB12_2889
; %bb.2888:
	s_waitcnt vmcnt(0)
	v_cvt_i32_f64_e32 v4, v[43:44]
	s_mov_b32 s0, 0
	global_store_b8 v[2:3], v4, off
.LBB12_2889:
	s_and_not1_b32 vcc_lo, exec_lo, s0
	s_cbranch_vccnz .LBB12_2891
; %bb.2890:
	s_waitcnt vmcnt(0)
	v_trunc_f64_e32 v[4:5], v[43:44]
	s_delay_alu instid0(VALU_DEP_1) | instskip(NEXT) | instid1(VALU_DEP_1)
	v_ldexp_f64 v[7:8], v[4:5], 0xffffffe0
	v_floor_f64_e32 v[7:8], v[7:8]
	s_delay_alu instid0(VALU_DEP_1) | instskip(NEXT) | instid1(VALU_DEP_1)
	v_fma_f64 v[4:5], 0xc1f00000, v[7:8], v[4:5]
	v_cvt_u32_f64_e32 v4, v[4:5]
	global_store_b8 v[2:3], v4, off
.LBB12_2891:
	s_mov_b32 s2, -1
.LBB12_2892:
	s_delay_alu instid0(SALU_CYCLE_1)
	s_and_not1_b32 vcc_lo, exec_lo, s2
	s_cbranch_vccnz .LBB12_3205
; %bb.2893:
	v_cmp_gt_i16_e32 vcc_lo, 11, v6
	v_add_co_u32 v2, s0, s44, v73
	s_delay_alu instid0(VALU_DEP_1)
	v_add_co_ci_u32_e64 v3, null, s45, 0, s0
	s_mov_b32 s2, 0
	s_mov_b32 s0, -1
	s_cbranch_vccnz .LBB12_2971
; %bb.2894:
	v_cmp_lt_i16_e32 vcc_lo, 25, v6
	s_mov_b32 s3, -1
	s_mov_b32 s1, 0
	s_mov_b32 s0, 0
	s_cbranch_vccz .LBB12_2927
; %bb.2895:
	v_cmp_lt_i16_e32 vcc_lo, 28, v6
	s_cbranch_vccz .LBB12_2910
; %bb.2896:
	v_cmp_lt_i16_e32 vcc_lo, 43, v6
	;; [unrolled: 3-line block ×3, first 2 shown]
	s_cbranch_vccz .LBB12_2900
; %bb.2898:
	v_cmp_eq_u16_e32 vcc_lo, 46, v6
	s_mov_b32 s0, -1
	s_mov_b32 s3, 0
	s_cbranch_vccz .LBB12_2900
; %bb.2899:
	s_waitcnt vmcnt(0)
	v_cvt_f32_f64_e32 v4, v[56:57]
	s_mov_b32 s0, 0
	s_mov_b32 s2, -1
	s_delay_alu instid0(VALU_DEP_1) | instskip(SKIP_1) | instid1(VALU_DEP_2)
	v_bfe_u32 v5, v4, 16, 1
	v_cmp_o_f32_e32 vcc_lo, v4, v4
	v_add3_u32 v5, v4, v5, 0x7fff
	s_delay_alu instid0(VALU_DEP_1) | instskip(NEXT) | instid1(VALU_DEP_1)
	v_lshrrev_b32_e32 v5, 16, v5
	v_cndmask_b32_e32 v4, 0x7fc0, v5, vcc_lo
	global_store_b32 v[2:3], v4, off
.LBB12_2900:
	s_and_b32 vcc_lo, exec_lo, s3
	s_cbranch_vccz .LBB12_2905
; %bb.2901:
	v_cmp_eq_u16_e32 vcc_lo, 44, v6
	s_mov_b32 s0, -1
	s_cbranch_vccz .LBB12_2905
; %bb.2902:
	s_waitcnt vmcnt(0)
	v_cvt_f32_f64_e32 v4, v[56:57]
	v_mov_b32_e32 v5, 0xff
	s_mov_b32 s2, exec_lo
	s_delay_alu instid0(VALU_DEP_2) | instskip(NEXT) | instid1(VALU_DEP_1)
	v_bfe_u32 v7, v4, 23, 8
	v_cmpx_ne_u32_e32 0xff, v7
; %bb.2903:
	v_and_b32_e32 v5, 0x400000, v4
	v_and_or_b32 v7, 0x3fffff, v4, v7
	v_lshrrev_b32_e32 v4, 23, v4
	s_delay_alu instid0(VALU_DEP_3) | instskip(NEXT) | instid1(VALU_DEP_3)
	v_cmp_ne_u32_e32 vcc_lo, 0, v5
	v_cmp_ne_u32_e64 s0, 0, v7
	s_delay_alu instid0(VALU_DEP_1) | instskip(NEXT) | instid1(SALU_CYCLE_1)
	s_and_b32 s0, vcc_lo, s0
	v_cndmask_b32_e64 v5, 0, 1, s0
	s_delay_alu instid0(VALU_DEP_1)
	v_add_nc_u32_e32 v5, v4, v5
; %bb.2904:
	s_or_b32 exec_lo, exec_lo, s2
	s_mov_b32 s0, 0
	s_mov_b32 s2, -1
	global_store_b8 v[2:3], v5, off
.LBB12_2905:
	s_mov_b32 s3, 0
.LBB12_2906:
	s_delay_alu instid0(SALU_CYCLE_1)
	s_and_b32 vcc_lo, exec_lo, s3
	s_cbranch_vccz .LBB12_2909
; %bb.2907:
	v_cmp_eq_u16_e32 vcc_lo, 29, v6
	s_mov_b32 s0, -1
	s_cbranch_vccz .LBB12_2909
; %bb.2908:
	s_waitcnt vmcnt(0)
	v_trunc_f64_e32 v[4:5], v[56:57]
	s_mov_b32 s0, 0
	s_mov_b32 s2, -1
	s_delay_alu instid0(VALU_DEP_1) | instskip(NEXT) | instid1(VALU_DEP_1)
	v_ldexp_f64 v[7:8], v[4:5], 0xffffffe0
	v_floor_f64_e32 v[7:8], v[7:8]
	s_delay_alu instid0(VALU_DEP_1) | instskip(SKIP_1) | instid1(VALU_DEP_2)
	v_fma_f64 v[4:5], 0xc1f00000, v[7:8], v[4:5]
	v_cvt_u32_f64_e32 v8, v[7:8]
	v_cvt_u32_f64_e32 v7, v[4:5]
	global_store_b64 v[2:3], v[7:8], off
.LBB12_2909:
	s_mov_b32 s3, 0
.LBB12_2910:
	s_delay_alu instid0(SALU_CYCLE_1)
	s_and_b32 vcc_lo, exec_lo, s3
	s_cbranch_vccz .LBB12_2926
; %bb.2911:
	v_cmp_gt_i16_e32 vcc_lo, 27, v6
	s_mov_b32 s2, -1
	s_cbranch_vccnz .LBB12_2917
; %bb.2912:
	s_waitcnt vmcnt(0)
	v_cvt_u32_f64_e32 v4, v[56:57]
	v_cmp_lt_i16_e32 vcc_lo, 27, v6
	s_cbranch_vccz .LBB12_2914
; %bb.2913:
	s_mov_b32 s2, 0
	global_store_b32 v[2:3], v4, off
.LBB12_2914:
	s_and_not1_b32 vcc_lo, exec_lo, s2
	s_cbranch_vccnz .LBB12_2916
; %bb.2915:
	global_store_b16 v[2:3], v4, off
.LBB12_2916:
	s_mov_b32 s2, 0
.LBB12_2917:
	s_delay_alu instid0(SALU_CYCLE_1)
	s_and_not1_b32 vcc_lo, exec_lo, s2
	s_cbranch_vccnz .LBB12_2925
; %bb.2918:
	s_waitcnt vmcnt(0)
	v_cvt_f32_f64_e32 v4, v[56:57]
	v_mov_b32_e32 v7, 0x80
	s_mov_b32 s2, exec_lo
	s_delay_alu instid0(VALU_DEP_2) | instskip(NEXT) | instid1(VALU_DEP_1)
	v_and_b32_e32 v5, 0x7fffffff, v4
	v_cmpx_gt_u32_e32 0x43800000, v5
	s_cbranch_execz .LBB12_2924
; %bb.2919:
	v_cmp_lt_u32_e32 vcc_lo, 0x3bffffff, v5
	s_mov_b32 s3, 0
                                        ; implicit-def: $vgpr5
	s_and_saveexec_b32 s4, vcc_lo
	s_delay_alu instid0(SALU_CYCLE_1)
	s_xor_b32 s4, exec_lo, s4
	s_cbranch_execz .LBB12_3216
; %bb.2920:
	v_bfe_u32 v5, v4, 20, 1
	s_mov_b32 s3, exec_lo
	s_delay_alu instid0(VALU_DEP_1) | instskip(NEXT) | instid1(VALU_DEP_1)
	v_add3_u32 v5, v4, v5, 0x487ffff
	v_lshrrev_b32_e32 v5, 20, v5
	s_or_saveexec_b32 s4, s4
                                        ; implicit-def: $sgpr5
	s_delay_alu instid0(SALU_CYCLE_1)
	s_xor_b32 exec_lo, exec_lo, s4
	s_cbranch_execnz .LBB12_3217
.LBB12_2921:
	s_or_b32 exec_lo, exec_lo, s4
	v_mov_b32_e32 v7, s5
	s_and_saveexec_b32 s4, s3
.LBB12_2922:
	v_lshrrev_b32_e32 v4, 24, v4
	s_delay_alu instid0(VALU_DEP_1)
	v_and_or_b32 v7, 0x80, v4, v5
.LBB12_2923:
	s_or_b32 exec_lo, exec_lo, s4
.LBB12_2924:
	s_delay_alu instid0(SALU_CYCLE_1)
	s_or_b32 exec_lo, exec_lo, s2
	global_store_b8 v[2:3], v7, off
.LBB12_2925:
	s_mov_b32 s2, -1
.LBB12_2926:
	s_mov_b32 s3, 0
.LBB12_2927:
	s_delay_alu instid0(SALU_CYCLE_1)
	s_and_b32 vcc_lo, exec_lo, s3
	s_cbranch_vccz .LBB12_2967
; %bb.2928:
	v_cmp_lt_i16_e32 vcc_lo, 22, v6
	s_mov_b32 s1, -1
	s_cbranch_vccz .LBB12_2960
; %bb.2929:
	v_cmp_gt_i16_e32 vcc_lo, 24, v6
	s_cbranch_vccnz .LBB12_2949
; %bb.2930:
	v_cmp_lt_i16_e32 vcc_lo, 24, v6
	s_cbranch_vccz .LBB12_2938
; %bb.2931:
	s_waitcnt vmcnt(0)
	v_cvt_f32_f64_e32 v4, v[56:57]
	v_mov_b32_e32 v7, 0x80
	s_mov_b32 s1, exec_lo
	s_delay_alu instid0(VALU_DEP_2) | instskip(NEXT) | instid1(VALU_DEP_1)
	v_and_b32_e32 v5, 0x7fffffff, v4
	v_cmpx_gt_u32_e32 0x47800000, v5
	s_cbranch_execz .LBB12_2937
; %bb.2932:
	v_cmp_lt_u32_e32 vcc_lo, 0x37ffffff, v5
	s_mov_b32 s2, 0
                                        ; implicit-def: $vgpr5
	s_and_saveexec_b32 s3, vcc_lo
	s_delay_alu instid0(SALU_CYCLE_1)
	s_xor_b32 s3, exec_lo, s3
	s_cbranch_execz .LBB12_3222
; %bb.2933:
	v_bfe_u32 v5, v4, 21, 1
	s_mov_b32 s2, exec_lo
	s_delay_alu instid0(VALU_DEP_1) | instskip(NEXT) | instid1(VALU_DEP_1)
	v_add3_u32 v5, v4, v5, 0x88fffff
	v_lshrrev_b32_e32 v5, 21, v5
	s_or_saveexec_b32 s3, s3
                                        ; implicit-def: $sgpr4
	s_delay_alu instid0(SALU_CYCLE_1)
	s_xor_b32 exec_lo, exec_lo, s3
	s_cbranch_execnz .LBB12_3223
.LBB12_2934:
	s_or_b32 exec_lo, exec_lo, s3
	v_mov_b32_e32 v7, s4
	s_and_saveexec_b32 s3, s2
.LBB12_2935:
	v_lshrrev_b32_e32 v4, 24, v4
	s_delay_alu instid0(VALU_DEP_1)
	v_and_or_b32 v7, 0x80, v4, v5
.LBB12_2936:
	s_or_b32 exec_lo, exec_lo, s3
.LBB12_2937:
	s_delay_alu instid0(SALU_CYCLE_1)
	s_or_b32 exec_lo, exec_lo, s1
	s_mov_b32 s1, 0
	global_store_b8 v[2:3], v7, off
.LBB12_2938:
	s_and_b32 vcc_lo, exec_lo, s1
	s_cbranch_vccz .LBB12_2948
; %bb.2939:
	s_waitcnt vmcnt(0)
	v_cvt_f32_f64_e32 v4, v[56:57]
	s_mov_b32 s1, exec_lo
                                        ; implicit-def: $vgpr5
	s_delay_alu instid0(VALU_DEP_1) | instskip(NEXT) | instid1(VALU_DEP_1)
	v_and_b32_e32 v7, 0x7fffffff, v4
	v_cmpx_gt_u32_e32 0x43f00000, v7
	s_xor_b32 s1, exec_lo, s1
	s_cbranch_execz .LBB12_2945
; %bb.2940:
	s_mov_b32 s2, exec_lo
                                        ; implicit-def: $vgpr5
	v_cmpx_lt_u32_e32 0x3c7fffff, v7
	s_xor_b32 s2, exec_lo, s2
; %bb.2941:
	v_bfe_u32 v5, v4, 20, 1
	s_delay_alu instid0(VALU_DEP_1) | instskip(NEXT) | instid1(VALU_DEP_1)
	v_add3_u32 v5, v4, v5, 0x407ffff
	v_and_b32_e32 v7, 0xff00000, v5
	v_lshrrev_b32_e32 v5, 20, v5
	s_delay_alu instid0(VALU_DEP_2) | instskip(NEXT) | instid1(VALU_DEP_2)
	v_cmp_ne_u32_e32 vcc_lo, 0x7f00000, v7
	v_cndmask_b32_e32 v5, 0x7e, v5, vcc_lo
; %bb.2942:
	s_and_not1_saveexec_b32 s2, s2
; %bb.2943:
	v_add_f32_e64 v5, 0x46800000, |v4|
; %bb.2944:
	s_or_b32 exec_lo, exec_lo, s2
                                        ; implicit-def: $vgpr7
.LBB12_2945:
	s_and_not1_saveexec_b32 s1, s1
; %bb.2946:
	v_mov_b32_e32 v5, 0x7f
	v_cmp_lt_u32_e32 vcc_lo, 0x7f800000, v7
	s_delay_alu instid0(VALU_DEP_2)
	v_cndmask_b32_e32 v5, 0x7e, v5, vcc_lo
; %bb.2947:
	s_or_b32 exec_lo, exec_lo, s1
	v_lshrrev_b32_e32 v4, 24, v4
	s_delay_alu instid0(VALU_DEP_1)
	v_and_or_b32 v4, 0x80, v4, v5
	global_store_b8 v[2:3], v4, off
.LBB12_2948:
	s_mov_b32 s1, 0
.LBB12_2949:
	s_delay_alu instid0(SALU_CYCLE_1)
	s_and_not1_b32 vcc_lo, exec_lo, s1
	s_cbranch_vccnz .LBB12_2959
; %bb.2950:
	s_waitcnt vmcnt(0)
	v_cvt_f32_f64_e32 v4, v[56:57]
	s_mov_b32 s1, exec_lo
                                        ; implicit-def: $vgpr5
	s_delay_alu instid0(VALU_DEP_1) | instskip(NEXT) | instid1(VALU_DEP_1)
	v_and_b32_e32 v7, 0x7fffffff, v4
	v_cmpx_gt_u32_e32 0x47800000, v7
	s_xor_b32 s1, exec_lo, s1
	s_cbranch_execz .LBB12_2956
; %bb.2951:
	s_mov_b32 s2, exec_lo
                                        ; implicit-def: $vgpr5
	v_cmpx_lt_u32_e32 0x387fffff, v7
	s_xor_b32 s2, exec_lo, s2
; %bb.2952:
	v_bfe_u32 v5, v4, 21, 1
	s_delay_alu instid0(VALU_DEP_1) | instskip(NEXT) | instid1(VALU_DEP_1)
	v_add3_u32 v5, v4, v5, 0x80fffff
	v_lshrrev_b32_e32 v5, 21, v5
; %bb.2953:
	s_and_not1_saveexec_b32 s2, s2
; %bb.2954:
	v_add_f32_e64 v5, 0x43000000, |v4|
; %bb.2955:
	s_or_b32 exec_lo, exec_lo, s2
                                        ; implicit-def: $vgpr7
.LBB12_2956:
	s_and_not1_saveexec_b32 s1, s1
; %bb.2957:
	v_mov_b32_e32 v5, 0x7f
	v_cmp_lt_u32_e32 vcc_lo, 0x7f800000, v7
	s_delay_alu instid0(VALU_DEP_2)
	v_cndmask_b32_e32 v5, 0x7c, v5, vcc_lo
; %bb.2958:
	s_or_b32 exec_lo, exec_lo, s1
	v_lshrrev_b32_e32 v4, 24, v4
	s_delay_alu instid0(VALU_DEP_1)
	v_and_or_b32 v4, 0x80, v4, v5
	global_store_b8 v[2:3], v4, off
.LBB12_2959:
	s_mov_b32 s1, 0
	s_mov_b32 s2, -1
.LBB12_2960:
	s_and_not1_b32 vcc_lo, exec_lo, s1
	s_mov_b32 s1, 0
	s_cbranch_vccnz .LBB12_2967
; %bb.2961:
	v_cmp_lt_i16_e32 vcc_lo, 14, v6
	s_mov_b32 s1, -1
	s_cbranch_vccz .LBB12_2965
; %bb.2962:
	v_cmp_eq_u16_e32 vcc_lo, 15, v6
	s_mov_b32 s0, -1
	s_cbranch_vccz .LBB12_2964
; %bb.2963:
	s_waitcnt vmcnt(0)
	v_cvt_f32_f64_e32 v4, v[56:57]
	s_mov_b32 s0, 0
	s_mov_b32 s2, -1
	s_delay_alu instid0(VALU_DEP_1) | instskip(SKIP_1) | instid1(VALU_DEP_2)
	v_bfe_u32 v5, v4, 16, 1
	v_cmp_o_f32_e32 vcc_lo, v4, v4
	v_add3_u32 v5, v4, v5, 0x7fff
	s_delay_alu instid0(VALU_DEP_1) | instskip(NEXT) | instid1(VALU_DEP_1)
	v_lshrrev_b32_e32 v5, 16, v5
	v_cndmask_b32_e32 v4, 0x7fc0, v5, vcc_lo
	global_store_b16 v[2:3], v4, off
.LBB12_2964:
	s_mov_b32 s1, 0
.LBB12_2965:
	s_delay_alu instid0(SALU_CYCLE_1)
	s_and_b32 vcc_lo, exec_lo, s1
	s_mov_b32 s1, 0
	s_cbranch_vccz .LBB12_2967
; %bb.2966:
	v_cmp_ne_u16_e64 s0, 11, v6
	s_mov_b32 s1, -1
.LBB12_2967:
	s_delay_alu instid0(VALU_DEP_1)
	s_and_b32 vcc_lo, exec_lo, s0
	s_cbranch_vccnz .LBB12_3220
; %bb.2968:
	s_and_not1_b32 vcc_lo, exec_lo, s1
	s_cbranch_vccnz .LBB12_2970
.LBB12_2969:
	s_waitcnt vmcnt(0)
	v_cmp_neq_f64_e32 vcc_lo, 0, v[56:57]
	s_mov_b32 s2, -1
	v_cndmask_b32_e64 v4, 0, 1, vcc_lo
	global_store_b8 v[2:3], v4, off
.LBB12_2970:
	s_mov_b32 s0, 0
.LBB12_2971:
	s_delay_alu instid0(SALU_CYCLE_1)
	s_and_b32 vcc_lo, exec_lo, s0
	s_cbranch_vccz .LBB12_3010
; %bb.2972:
	v_cmp_gt_i16_e32 vcc_lo, 5, v6
	s_mov_b32 s0, -1
	s_cbranch_vccnz .LBB12_2993
; %bb.2973:
	v_cmp_gt_i16_e32 vcc_lo, 8, v6
	s_cbranch_vccnz .LBB12_2983
; %bb.2974:
	v_cmp_gt_i16_e32 vcc_lo, 9, v6
	s_cbranch_vccnz .LBB12_2980
; %bb.2975:
	v_cmp_lt_i16_e32 vcc_lo, 9, v6
	s_cbranch_vccz .LBB12_2977
; %bb.2976:
	s_waitcnt vmcnt(0)
	v_mov_b32_e32 v58, 0
	s_mov_b32 s0, 0
	s_delay_alu instid0(VALU_DEP_1)
	v_mov_b32_e32 v59, v58
	global_store_b128 v[2:3], v[56:59], off
.LBB12_2977:
	s_and_not1_b32 vcc_lo, exec_lo, s0
	s_cbranch_vccnz .LBB12_2979
; %bb.2978:
	s_waitcnt vmcnt(0)
	v_cvt_f32_f64_e32 v4, v[56:57]
	v_mov_b32_e32 v5, 0
	global_store_b64 v[2:3], v[4:5], off
.LBB12_2979:
	s_mov_b32 s0, 0
.LBB12_2980:
	s_delay_alu instid0(SALU_CYCLE_1)
	s_and_not1_b32 vcc_lo, exec_lo, s0
	s_cbranch_vccnz .LBB12_2982
; %bb.2981:
	s_waitcnt vmcnt(0)
	v_cvt_f32_f64_e32 v4, v[56:57]
	s_delay_alu instid0(VALU_DEP_1) | instskip(NEXT) | instid1(VALU_DEP_1)
	v_cvt_f16_f32_e32 v4, v4
	v_and_b32_e32 v4, 0xffff, v4
	global_store_b32 v[2:3], v4, off
.LBB12_2982:
	s_mov_b32 s0, 0
.LBB12_2983:
	s_delay_alu instid0(SALU_CYCLE_1)
	s_and_not1_b32 vcc_lo, exec_lo, s0
	s_cbranch_vccnz .LBB12_2992
; %bb.2984:
	v_cmp_gt_i16_e32 vcc_lo, 6, v6
	s_mov_b32 s0, -1
	s_cbranch_vccnz .LBB12_2990
; %bb.2985:
	v_cmp_lt_i16_e32 vcc_lo, 6, v6
	s_cbranch_vccz .LBB12_2987
; %bb.2986:
	s_mov_b32 s0, 0
	s_waitcnt vmcnt(0)
	global_store_b64 v[2:3], v[56:57], off
.LBB12_2987:
	s_and_not1_b32 vcc_lo, exec_lo, s0
	s_cbranch_vccnz .LBB12_2989
; %bb.2988:
	s_waitcnt vmcnt(0)
	v_cvt_f32_f64_e32 v4, v[56:57]
	global_store_b32 v[2:3], v4, off
.LBB12_2989:
	s_mov_b32 s0, 0
.LBB12_2990:
	s_delay_alu instid0(SALU_CYCLE_1)
	s_and_not1_b32 vcc_lo, exec_lo, s0
	s_cbranch_vccnz .LBB12_2992
; %bb.2991:
	s_waitcnt vmcnt(0)
	v_cvt_f32_f64_e32 v4, v[56:57]
	s_delay_alu instid0(VALU_DEP_1)
	v_cvt_f16_f32_e32 v4, v4
	global_store_b16 v[2:3], v4, off
.LBB12_2992:
	s_mov_b32 s0, 0
.LBB12_2993:
	s_delay_alu instid0(SALU_CYCLE_1)
	s_and_not1_b32 vcc_lo, exec_lo, s0
	s_cbranch_vccnz .LBB12_3009
; %bb.2994:
	v_cmp_gt_i16_e32 vcc_lo, 2, v6
	s_mov_b32 s0, -1
	s_cbranch_vccnz .LBB12_3004
; %bb.2995:
	v_cmp_gt_i16_e32 vcc_lo, 3, v6
	s_cbranch_vccnz .LBB12_3001
; %bb.2996:
	v_cmp_lt_i16_e32 vcc_lo, 3, v6
	s_cbranch_vccz .LBB12_2998
; %bb.2997:
	s_waitcnt vmcnt(0)
	v_trunc_f64_e32 v[4:5], v[56:57]
	s_mov_b32 s0, 0
	s_delay_alu instid0(VALU_DEP_1) | instskip(NEXT) | instid1(VALU_DEP_1)
	v_ldexp_f64 v[7:8], v[4:5], 0xffffffe0
	v_floor_f64_e32 v[7:8], v[7:8]
	s_delay_alu instid0(VALU_DEP_1) | instskip(SKIP_1) | instid1(VALU_DEP_2)
	v_fma_f64 v[4:5], 0xc1f00000, v[7:8], v[4:5]
	v_cvt_i32_f64_e32 v8, v[7:8]
	v_cvt_u32_f64_e32 v7, v[4:5]
	global_store_b64 v[2:3], v[7:8], off
.LBB12_2998:
	s_and_not1_b32 vcc_lo, exec_lo, s0
	s_cbranch_vccnz .LBB12_3000
; %bb.2999:
	s_waitcnt vmcnt(0)
	v_cvt_i32_f64_e32 v4, v[56:57]
	global_store_b32 v[2:3], v4, off
.LBB12_3000:
	s_mov_b32 s0, 0
.LBB12_3001:
	s_delay_alu instid0(SALU_CYCLE_1)
	s_and_not1_b32 vcc_lo, exec_lo, s0
	s_cbranch_vccnz .LBB12_3003
; %bb.3002:
	s_waitcnt vmcnt(0)
	v_cvt_i32_f64_e32 v4, v[56:57]
	global_store_b16 v[2:3], v4, off
.LBB12_3003:
	s_mov_b32 s0, 0
.LBB12_3004:
	s_delay_alu instid0(SALU_CYCLE_1)
	s_and_not1_b32 vcc_lo, exec_lo, s0
	s_cbranch_vccnz .LBB12_3009
; %bb.3005:
	v_cmp_lt_i16_e32 vcc_lo, 0, v6
	s_mov_b32 s0, -1
	s_cbranch_vccz .LBB12_3007
; %bb.3006:
	s_waitcnt vmcnt(0)
	v_cvt_i32_f64_e32 v4, v[56:57]
	s_mov_b32 s0, 0
	global_store_b8 v[2:3], v4, off
.LBB12_3007:
	s_and_not1_b32 vcc_lo, exec_lo, s0
	s_cbranch_vccnz .LBB12_3009
; %bb.3008:
	s_waitcnt vmcnt(0)
	v_trunc_f64_e32 v[4:5], v[56:57]
	s_delay_alu instid0(VALU_DEP_1) | instskip(NEXT) | instid1(VALU_DEP_1)
	v_ldexp_f64 v[7:8], v[4:5], 0xffffffe0
	v_floor_f64_e32 v[7:8], v[7:8]
	s_delay_alu instid0(VALU_DEP_1) | instskip(NEXT) | instid1(VALU_DEP_1)
	v_fma_f64 v[4:5], 0xc1f00000, v[7:8], v[4:5]
	v_cvt_u32_f64_e32 v4, v[4:5]
	global_store_b8 v[2:3], v4, off
.LBB12_3009:
	s_mov_b32 s2, -1
.LBB12_3010:
	s_delay_alu instid0(SALU_CYCLE_1)
	s_and_not1_b32 vcc_lo, exec_lo, s2
	s_cbranch_vccnz .LBB12_3205
; %bb.3011:
	v_cmp_gt_i16_e32 vcc_lo, 11, v6
	v_add_co_u32 v2, s0, s44, v62
	s_delay_alu instid0(VALU_DEP_1)
	v_add_co_ci_u32_e64 v3, null, s45, 0, s0
	s_mov_b32 s2, 0
	s_mov_b32 s0, -1
	s_cbranch_vccnz .LBB12_3089
; %bb.3012:
	v_cmp_lt_i16_e32 vcc_lo, 25, v6
	s_mov_b32 s3, -1
	s_mov_b32 s1, 0
	s_mov_b32 s0, 0
	s_cbranch_vccz .LBB12_3045
; %bb.3013:
	v_cmp_lt_i16_e32 vcc_lo, 28, v6
	s_cbranch_vccz .LBB12_3028
; %bb.3014:
	v_cmp_lt_i16_e32 vcc_lo, 43, v6
	;; [unrolled: 3-line block ×3, first 2 shown]
	s_cbranch_vccz .LBB12_3018
; %bb.3016:
	v_cmp_eq_u16_e32 vcc_lo, 46, v6
	s_mov_b32 s0, -1
	s_mov_b32 s3, 0
	s_cbranch_vccz .LBB12_3018
; %bb.3017:
	v_cvt_f32_f64_e32 v4, v[60:61]
	s_mov_b32 s0, 0
	s_mov_b32 s2, -1
	s_delay_alu instid0(VALU_DEP_1) | instskip(SKIP_1) | instid1(VALU_DEP_2)
	v_bfe_u32 v5, v4, 16, 1
	v_cmp_o_f32_e32 vcc_lo, v4, v4
	v_add3_u32 v5, v4, v5, 0x7fff
	s_delay_alu instid0(VALU_DEP_1) | instskip(NEXT) | instid1(VALU_DEP_1)
	v_lshrrev_b32_e32 v5, 16, v5
	v_cndmask_b32_e32 v4, 0x7fc0, v5, vcc_lo
	global_store_b32 v[2:3], v4, off
.LBB12_3018:
	s_and_b32 vcc_lo, exec_lo, s3
	s_cbranch_vccz .LBB12_3023
; %bb.3019:
	v_cmp_eq_u16_e32 vcc_lo, 44, v6
	s_mov_b32 s0, -1
	s_cbranch_vccz .LBB12_3023
; %bb.3020:
	v_cvt_f32_f64_e32 v4, v[60:61]
	v_mov_b32_e32 v5, 0xff
	s_mov_b32 s2, exec_lo
	s_delay_alu instid0(VALU_DEP_2) | instskip(NEXT) | instid1(VALU_DEP_1)
	v_bfe_u32 v7, v4, 23, 8
	v_cmpx_ne_u32_e32 0xff, v7
; %bb.3021:
	v_and_b32_e32 v5, 0x400000, v4
	v_and_or_b32 v7, 0x3fffff, v4, v7
	v_lshrrev_b32_e32 v4, 23, v4
	s_delay_alu instid0(VALU_DEP_3) | instskip(NEXT) | instid1(VALU_DEP_3)
	v_cmp_ne_u32_e32 vcc_lo, 0, v5
	v_cmp_ne_u32_e64 s0, 0, v7
	s_delay_alu instid0(VALU_DEP_1) | instskip(NEXT) | instid1(SALU_CYCLE_1)
	s_and_b32 s0, vcc_lo, s0
	v_cndmask_b32_e64 v5, 0, 1, s0
	s_delay_alu instid0(VALU_DEP_1)
	v_add_nc_u32_e32 v5, v4, v5
; %bb.3022:
	s_or_b32 exec_lo, exec_lo, s2
	s_mov_b32 s0, 0
	s_mov_b32 s2, -1
	global_store_b8 v[2:3], v5, off
.LBB12_3023:
	s_mov_b32 s3, 0
.LBB12_3024:
	s_delay_alu instid0(SALU_CYCLE_1)
	s_and_b32 vcc_lo, exec_lo, s3
	s_cbranch_vccz .LBB12_3027
; %bb.3025:
	v_cmp_eq_u16_e32 vcc_lo, 29, v6
	s_mov_b32 s0, -1
	s_cbranch_vccz .LBB12_3027
; %bb.3026:
	v_trunc_f64_e32 v[4:5], v[60:61]
	s_mov_b32 s0, 0
	s_mov_b32 s2, -1
	s_delay_alu instid0(VALU_DEP_1) | instskip(NEXT) | instid1(VALU_DEP_1)
	v_ldexp_f64 v[7:8], v[4:5], 0xffffffe0
	v_floor_f64_e32 v[7:8], v[7:8]
	s_delay_alu instid0(VALU_DEP_1) | instskip(SKIP_1) | instid1(VALU_DEP_2)
	v_fma_f64 v[4:5], 0xc1f00000, v[7:8], v[4:5]
	v_cvt_u32_f64_e32 v8, v[7:8]
	v_cvt_u32_f64_e32 v7, v[4:5]
	global_store_b64 v[2:3], v[7:8], off
.LBB12_3027:
	s_mov_b32 s3, 0
.LBB12_3028:
	s_delay_alu instid0(SALU_CYCLE_1)
	s_and_b32 vcc_lo, exec_lo, s3
	s_cbranch_vccz .LBB12_3044
; %bb.3029:
	v_cmp_gt_i16_e32 vcc_lo, 27, v6
	s_mov_b32 s2, -1
	s_cbranch_vccnz .LBB12_3035
; %bb.3030:
	v_cmp_lt_i16_e32 vcc_lo, 27, v6
	s_cbranch_vccz .LBB12_3032
; %bb.3031:
	v_cvt_u32_f64_e32 v4, v[60:61]
	s_mov_b32 s2, 0
	global_store_b32 v[2:3], v4, off
.LBB12_3032:
	s_and_not1_b32 vcc_lo, exec_lo, s2
	s_cbranch_vccnz .LBB12_3034
; %bb.3033:
	v_cvt_u32_f64_e32 v4, v[60:61]
	global_store_b16 v[2:3], v4, off
.LBB12_3034:
	s_mov_b32 s2, 0
.LBB12_3035:
	s_delay_alu instid0(SALU_CYCLE_1)
	s_and_not1_b32 vcc_lo, exec_lo, s2
	s_cbranch_vccnz .LBB12_3043
; %bb.3036:
	v_cvt_f32_f64_e32 v4, v[60:61]
	v_mov_b32_e32 v7, 0x80
	s_mov_b32 s2, exec_lo
	s_delay_alu instid0(VALU_DEP_2) | instskip(NEXT) | instid1(VALU_DEP_1)
	v_and_b32_e32 v5, 0x7fffffff, v4
	v_cmpx_gt_u32_e32 0x43800000, v5
	s_cbranch_execz .LBB12_3042
; %bb.3037:
	v_cmp_lt_u32_e32 vcc_lo, 0x3bffffff, v5
	s_mov_b32 s3, 0
                                        ; implicit-def: $vgpr5
	s_and_saveexec_b32 s4, vcc_lo
	s_delay_alu instid0(SALU_CYCLE_1)
	s_xor_b32 s4, exec_lo, s4
	s_cbranch_execz .LBB12_3224
; %bb.3038:
	v_bfe_u32 v5, v4, 20, 1
	s_mov_b32 s3, exec_lo
	s_delay_alu instid0(VALU_DEP_1) | instskip(NEXT) | instid1(VALU_DEP_1)
	v_add3_u32 v5, v4, v5, 0x487ffff
	v_lshrrev_b32_e32 v5, 20, v5
	s_or_saveexec_b32 s4, s4
                                        ; implicit-def: $sgpr5
	s_delay_alu instid0(SALU_CYCLE_1)
	s_xor_b32 exec_lo, exec_lo, s4
	s_cbranch_execnz .LBB12_3225
.LBB12_3039:
	s_or_b32 exec_lo, exec_lo, s4
	v_mov_b32_e32 v7, s5
	s_and_saveexec_b32 s4, s3
.LBB12_3040:
	v_lshrrev_b32_e32 v4, 24, v4
	s_delay_alu instid0(VALU_DEP_1)
	v_and_or_b32 v7, 0x80, v4, v5
.LBB12_3041:
	s_or_b32 exec_lo, exec_lo, s4
.LBB12_3042:
	s_delay_alu instid0(SALU_CYCLE_1)
	s_or_b32 exec_lo, exec_lo, s2
	global_store_b8 v[2:3], v7, off
.LBB12_3043:
	s_mov_b32 s2, -1
.LBB12_3044:
	s_mov_b32 s3, 0
.LBB12_3045:
	s_delay_alu instid0(SALU_CYCLE_1)
	s_and_b32 vcc_lo, exec_lo, s3
	s_cbranch_vccz .LBB12_3085
; %bb.3046:
	v_cmp_lt_i16_e32 vcc_lo, 22, v6
	s_mov_b32 s1, -1
	s_cbranch_vccz .LBB12_3078
; %bb.3047:
	v_cmp_gt_i16_e32 vcc_lo, 24, v6
	s_cbranch_vccnz .LBB12_3067
; %bb.3048:
	v_cmp_lt_i16_e32 vcc_lo, 24, v6
	s_cbranch_vccz .LBB12_3056
; %bb.3049:
	v_cvt_f32_f64_e32 v4, v[60:61]
	v_mov_b32_e32 v7, 0x80
	s_mov_b32 s1, exec_lo
	s_delay_alu instid0(VALU_DEP_2) | instskip(NEXT) | instid1(VALU_DEP_1)
	v_and_b32_e32 v5, 0x7fffffff, v4
	v_cmpx_gt_u32_e32 0x47800000, v5
	s_cbranch_execz .LBB12_3055
; %bb.3050:
	v_cmp_lt_u32_e32 vcc_lo, 0x37ffffff, v5
	s_mov_b32 s2, 0
                                        ; implicit-def: $vgpr5
	s_and_saveexec_b32 s3, vcc_lo
	s_delay_alu instid0(SALU_CYCLE_1)
	s_xor_b32 s3, exec_lo, s3
	s_cbranch_execz .LBB12_3230
; %bb.3051:
	v_bfe_u32 v5, v4, 21, 1
	s_mov_b32 s2, exec_lo
	s_delay_alu instid0(VALU_DEP_1) | instskip(NEXT) | instid1(VALU_DEP_1)
	v_add3_u32 v5, v4, v5, 0x88fffff
	v_lshrrev_b32_e32 v5, 21, v5
	s_or_saveexec_b32 s3, s3
                                        ; implicit-def: $sgpr4
	s_delay_alu instid0(SALU_CYCLE_1)
	s_xor_b32 exec_lo, exec_lo, s3
	s_cbranch_execnz .LBB12_3231
.LBB12_3052:
	s_or_b32 exec_lo, exec_lo, s3
	v_mov_b32_e32 v7, s4
	s_and_saveexec_b32 s3, s2
.LBB12_3053:
	v_lshrrev_b32_e32 v4, 24, v4
	s_delay_alu instid0(VALU_DEP_1)
	v_and_or_b32 v7, 0x80, v4, v5
.LBB12_3054:
	s_or_b32 exec_lo, exec_lo, s3
.LBB12_3055:
	s_delay_alu instid0(SALU_CYCLE_1)
	s_or_b32 exec_lo, exec_lo, s1
	s_mov_b32 s1, 0
	global_store_b8 v[2:3], v7, off
.LBB12_3056:
	s_and_b32 vcc_lo, exec_lo, s1
	s_cbranch_vccz .LBB12_3066
; %bb.3057:
	v_cvt_f32_f64_e32 v4, v[60:61]
	s_mov_b32 s1, exec_lo
                                        ; implicit-def: $vgpr5
	s_delay_alu instid0(VALU_DEP_1) | instskip(NEXT) | instid1(VALU_DEP_1)
	v_and_b32_e32 v7, 0x7fffffff, v4
	v_cmpx_gt_u32_e32 0x43f00000, v7
	s_xor_b32 s1, exec_lo, s1
	s_cbranch_execz .LBB12_3063
; %bb.3058:
	s_mov_b32 s2, exec_lo
                                        ; implicit-def: $vgpr5
	v_cmpx_lt_u32_e32 0x3c7fffff, v7
	s_xor_b32 s2, exec_lo, s2
; %bb.3059:
	v_bfe_u32 v5, v4, 20, 1
	s_delay_alu instid0(VALU_DEP_1) | instskip(NEXT) | instid1(VALU_DEP_1)
	v_add3_u32 v5, v4, v5, 0x407ffff
	v_and_b32_e32 v7, 0xff00000, v5
	v_lshrrev_b32_e32 v5, 20, v5
	s_delay_alu instid0(VALU_DEP_2) | instskip(NEXT) | instid1(VALU_DEP_2)
	v_cmp_ne_u32_e32 vcc_lo, 0x7f00000, v7
	v_cndmask_b32_e32 v5, 0x7e, v5, vcc_lo
; %bb.3060:
	s_and_not1_saveexec_b32 s2, s2
; %bb.3061:
	v_add_f32_e64 v5, 0x46800000, |v4|
; %bb.3062:
	s_or_b32 exec_lo, exec_lo, s2
                                        ; implicit-def: $vgpr7
.LBB12_3063:
	s_and_not1_saveexec_b32 s1, s1
; %bb.3064:
	v_mov_b32_e32 v5, 0x7f
	v_cmp_lt_u32_e32 vcc_lo, 0x7f800000, v7
	s_delay_alu instid0(VALU_DEP_2)
	v_cndmask_b32_e32 v5, 0x7e, v5, vcc_lo
; %bb.3065:
	s_or_b32 exec_lo, exec_lo, s1
	v_lshrrev_b32_e32 v4, 24, v4
	s_delay_alu instid0(VALU_DEP_1)
	v_and_or_b32 v4, 0x80, v4, v5
	global_store_b8 v[2:3], v4, off
.LBB12_3066:
	s_mov_b32 s1, 0
.LBB12_3067:
	s_delay_alu instid0(SALU_CYCLE_1)
	s_and_not1_b32 vcc_lo, exec_lo, s1
	s_cbranch_vccnz .LBB12_3077
; %bb.3068:
	v_cvt_f32_f64_e32 v4, v[60:61]
	s_mov_b32 s1, exec_lo
                                        ; implicit-def: $vgpr5
	s_delay_alu instid0(VALU_DEP_1) | instskip(NEXT) | instid1(VALU_DEP_1)
	v_and_b32_e32 v7, 0x7fffffff, v4
	v_cmpx_gt_u32_e32 0x47800000, v7
	s_xor_b32 s1, exec_lo, s1
	s_cbranch_execz .LBB12_3074
; %bb.3069:
	s_mov_b32 s2, exec_lo
                                        ; implicit-def: $vgpr5
	v_cmpx_lt_u32_e32 0x387fffff, v7
	s_xor_b32 s2, exec_lo, s2
; %bb.3070:
	v_bfe_u32 v5, v4, 21, 1
	s_delay_alu instid0(VALU_DEP_1) | instskip(NEXT) | instid1(VALU_DEP_1)
	v_add3_u32 v5, v4, v5, 0x80fffff
	v_lshrrev_b32_e32 v5, 21, v5
; %bb.3071:
	s_and_not1_saveexec_b32 s2, s2
; %bb.3072:
	v_add_f32_e64 v5, 0x43000000, |v4|
; %bb.3073:
	s_or_b32 exec_lo, exec_lo, s2
                                        ; implicit-def: $vgpr7
.LBB12_3074:
	s_and_not1_saveexec_b32 s1, s1
; %bb.3075:
	v_mov_b32_e32 v5, 0x7f
	v_cmp_lt_u32_e32 vcc_lo, 0x7f800000, v7
	s_delay_alu instid0(VALU_DEP_2)
	v_cndmask_b32_e32 v5, 0x7c, v5, vcc_lo
; %bb.3076:
	s_or_b32 exec_lo, exec_lo, s1
	v_lshrrev_b32_e32 v4, 24, v4
	s_delay_alu instid0(VALU_DEP_1)
	v_and_or_b32 v4, 0x80, v4, v5
	global_store_b8 v[2:3], v4, off
.LBB12_3077:
	s_mov_b32 s1, 0
	s_mov_b32 s2, -1
.LBB12_3078:
	s_and_not1_b32 vcc_lo, exec_lo, s1
	s_mov_b32 s1, 0
	s_cbranch_vccnz .LBB12_3085
; %bb.3079:
	v_cmp_lt_i16_e32 vcc_lo, 14, v6
	s_mov_b32 s1, -1
	s_cbranch_vccz .LBB12_3083
; %bb.3080:
	v_cmp_eq_u16_e32 vcc_lo, 15, v6
	s_mov_b32 s0, -1
	s_cbranch_vccz .LBB12_3082
; %bb.3081:
	v_cvt_f32_f64_e32 v4, v[60:61]
	s_mov_b32 s0, 0
	s_mov_b32 s2, -1
	s_delay_alu instid0(VALU_DEP_1) | instskip(SKIP_1) | instid1(VALU_DEP_2)
	v_bfe_u32 v5, v4, 16, 1
	v_cmp_o_f32_e32 vcc_lo, v4, v4
	v_add3_u32 v5, v4, v5, 0x7fff
	s_delay_alu instid0(VALU_DEP_1) | instskip(NEXT) | instid1(VALU_DEP_1)
	v_lshrrev_b32_e32 v5, 16, v5
	v_cndmask_b32_e32 v4, 0x7fc0, v5, vcc_lo
	global_store_b16 v[2:3], v4, off
.LBB12_3082:
	s_mov_b32 s1, 0
.LBB12_3083:
	s_delay_alu instid0(SALU_CYCLE_1)
	s_and_b32 vcc_lo, exec_lo, s1
	s_mov_b32 s1, 0
	s_cbranch_vccz .LBB12_3085
; %bb.3084:
	v_cmp_ne_u16_e64 s0, 11, v6
	s_mov_b32 s1, -1
.LBB12_3085:
	s_delay_alu instid0(VALU_DEP_1)
	s_and_b32 vcc_lo, exec_lo, s0
	s_cbranch_vccnz .LBB12_3228
; %bb.3086:
	s_and_not1_b32 vcc_lo, exec_lo, s1
	s_cbranch_vccnz .LBB12_3088
.LBB12_3087:
	v_cmp_neq_f64_e32 vcc_lo, 0, v[60:61]
	s_mov_b32 s2, -1
	v_cndmask_b32_e64 v4, 0, 1, vcc_lo
	global_store_b8 v[2:3], v4, off
.LBB12_3088:
	s_mov_b32 s0, 0
.LBB12_3089:
	s_delay_alu instid0(SALU_CYCLE_1)
	s_and_b32 vcc_lo, exec_lo, s0
	s_cbranch_vccz .LBB12_3128
; %bb.3090:
	v_cmp_gt_i16_e32 vcc_lo, 5, v6
	s_mov_b32 s0, -1
	s_cbranch_vccnz .LBB12_3111
; %bb.3091:
	v_cmp_gt_i16_e32 vcc_lo, 8, v6
	s_cbranch_vccnz .LBB12_3101
; %bb.3092:
	v_cmp_gt_i16_e32 vcc_lo, 9, v6
	s_cbranch_vccnz .LBB12_3098
; %bb.3093:
	v_cmp_lt_i16_e32 vcc_lo, 9, v6
	s_cbranch_vccz .LBB12_3095
; %bb.3094:
	v_mov_b32_e32 v62, 0
	s_mov_b32 s0, 0
	s_delay_alu instid0(VALU_DEP_1)
	v_mov_b32_e32 v63, v62
	global_store_b128 v[2:3], v[60:63], off
.LBB12_3095:
	s_and_not1_b32 vcc_lo, exec_lo, s0
	s_cbranch_vccnz .LBB12_3097
; %bb.3096:
	v_cvt_f32_f64_e32 v4, v[60:61]
	v_mov_b32_e32 v5, 0
	global_store_b64 v[2:3], v[4:5], off
.LBB12_3097:
	s_mov_b32 s0, 0
.LBB12_3098:
	s_delay_alu instid0(SALU_CYCLE_1)
	s_and_not1_b32 vcc_lo, exec_lo, s0
	s_cbranch_vccnz .LBB12_3100
; %bb.3099:
	v_cvt_f32_f64_e32 v4, v[60:61]
	s_delay_alu instid0(VALU_DEP_1) | instskip(NEXT) | instid1(VALU_DEP_1)
	v_cvt_f16_f32_e32 v4, v4
	v_and_b32_e32 v4, 0xffff, v4
	global_store_b32 v[2:3], v4, off
.LBB12_3100:
	s_mov_b32 s0, 0
.LBB12_3101:
	s_delay_alu instid0(SALU_CYCLE_1)
	s_and_not1_b32 vcc_lo, exec_lo, s0
	s_cbranch_vccnz .LBB12_3110
; %bb.3102:
	v_cmp_gt_i16_e32 vcc_lo, 6, v6
	s_mov_b32 s0, -1
	s_cbranch_vccnz .LBB12_3108
; %bb.3103:
	v_cmp_lt_i16_e32 vcc_lo, 6, v6
	s_cbranch_vccz .LBB12_3105
; %bb.3104:
	s_mov_b32 s0, 0
	global_store_b64 v[2:3], v[60:61], off
.LBB12_3105:
	s_and_not1_b32 vcc_lo, exec_lo, s0
	s_cbranch_vccnz .LBB12_3107
; %bb.3106:
	v_cvt_f32_f64_e32 v4, v[60:61]
	global_store_b32 v[2:3], v4, off
.LBB12_3107:
	s_mov_b32 s0, 0
.LBB12_3108:
	s_delay_alu instid0(SALU_CYCLE_1)
	s_and_not1_b32 vcc_lo, exec_lo, s0
	s_cbranch_vccnz .LBB12_3110
; %bb.3109:
	v_cvt_f32_f64_e32 v4, v[60:61]
	s_delay_alu instid0(VALU_DEP_1)
	v_cvt_f16_f32_e32 v4, v4
	global_store_b16 v[2:3], v4, off
.LBB12_3110:
	s_mov_b32 s0, 0
.LBB12_3111:
	s_delay_alu instid0(SALU_CYCLE_1)
	s_and_not1_b32 vcc_lo, exec_lo, s0
	s_cbranch_vccnz .LBB12_3127
; %bb.3112:
	v_cmp_gt_i16_e32 vcc_lo, 2, v6
	s_mov_b32 s0, -1
	s_cbranch_vccnz .LBB12_3122
; %bb.3113:
	v_cmp_gt_i16_e32 vcc_lo, 3, v6
	s_cbranch_vccnz .LBB12_3119
; %bb.3114:
	v_cmp_lt_i16_e32 vcc_lo, 3, v6
	s_cbranch_vccz .LBB12_3116
; %bb.3115:
	v_trunc_f64_e32 v[4:5], v[60:61]
	s_mov_b32 s0, 0
	s_delay_alu instid0(VALU_DEP_1) | instskip(NEXT) | instid1(VALU_DEP_1)
	v_ldexp_f64 v[7:8], v[4:5], 0xffffffe0
	v_floor_f64_e32 v[7:8], v[7:8]
	s_delay_alu instid0(VALU_DEP_1) | instskip(SKIP_1) | instid1(VALU_DEP_2)
	v_fma_f64 v[4:5], 0xc1f00000, v[7:8], v[4:5]
	v_cvt_i32_f64_e32 v8, v[7:8]
	v_cvt_u32_f64_e32 v7, v[4:5]
	global_store_b64 v[2:3], v[7:8], off
.LBB12_3116:
	s_and_not1_b32 vcc_lo, exec_lo, s0
	s_cbranch_vccnz .LBB12_3118
; %bb.3117:
	v_cvt_i32_f64_e32 v4, v[60:61]
	global_store_b32 v[2:3], v4, off
.LBB12_3118:
	s_mov_b32 s0, 0
.LBB12_3119:
	s_delay_alu instid0(SALU_CYCLE_1)
	s_and_not1_b32 vcc_lo, exec_lo, s0
	s_cbranch_vccnz .LBB12_3121
; %bb.3120:
	v_cvt_i32_f64_e32 v4, v[60:61]
	global_store_b16 v[2:3], v4, off
.LBB12_3121:
	s_mov_b32 s0, 0
.LBB12_3122:
	s_delay_alu instid0(SALU_CYCLE_1)
	s_and_not1_b32 vcc_lo, exec_lo, s0
	s_cbranch_vccnz .LBB12_3127
; %bb.3123:
	v_cmp_lt_i16_e32 vcc_lo, 0, v6
	s_mov_b32 s0, -1
	s_cbranch_vccz .LBB12_3125
; %bb.3124:
	v_cvt_i32_f64_e32 v4, v[60:61]
	s_mov_b32 s0, 0
	global_store_b8 v[2:3], v4, off
.LBB12_3125:
	s_and_not1_b32 vcc_lo, exec_lo, s0
	s_cbranch_vccnz .LBB12_3127
; %bb.3126:
	v_trunc_f64_e32 v[4:5], v[60:61]
	s_delay_alu instid0(VALU_DEP_1) | instskip(NEXT) | instid1(VALU_DEP_1)
	v_ldexp_f64 v[7:8], v[4:5], 0xffffffe0
	v_floor_f64_e32 v[7:8], v[7:8]
	s_delay_alu instid0(VALU_DEP_1) | instskip(NEXT) | instid1(VALU_DEP_1)
	v_fma_f64 v[4:5], 0xc1f00000, v[7:8], v[4:5]
	v_cvt_u32_f64_e32 v4, v[4:5]
	global_store_b8 v[2:3], v4, off
.LBB12_3127:
	s_mov_b32 s2, -1
.LBB12_3128:
	s_delay_alu instid0(SALU_CYCLE_1)
	s_and_not1_b32 vcc_lo, exec_lo, s2
	s_cbranch_vccnz .LBB12_3205
; %bb.3129:
	v_cmp_gt_i16_e32 vcc_lo, 11, v6
	v_add_co_u32 v4, s0, s44, v72
	s_delay_alu instid0(VALU_DEP_1)
	v_add_co_ci_u32_e64 v5, null, s45, 0, s0
	s_mov_b32 s1, 0
	s_mov_b32 s0, -1
	s_cbranch_vccnz .LBB12_2728
; %bb.3130:
	v_cmp_lt_i16_e32 vcc_lo, 25, v6
	s_mov_b32 s2, -1
	s_mov_b32 s0, 0
	s_cbranch_vccz .LBB12_3163
; %bb.3131:
	v_cmp_lt_i16_e32 vcc_lo, 28, v6
	s_cbranch_vccz .LBB12_3147
; %bb.3132:
	v_cmp_lt_i16_e32 vcc_lo, 43, v6
	s_cbranch_vccz .LBB12_3143
; %bb.3133:
	v_cmp_lt_i16_e32 vcc_lo, 45, v6
	s_cbranch_vccz .LBB12_3137
; %bb.3134:
	v_cmp_eq_u16_e32 vcc_lo, 46, v6
	s_mov_b32 s0, -1
	s_cbranch_vccz .LBB12_3136
; %bb.3135:
	v_cvt_f32_f64_e32 v2, v[0:1]
	s_mov_b32 s0, 0
	s_delay_alu instid0(VALU_DEP_1) | instskip(SKIP_1) | instid1(VALU_DEP_2)
	v_bfe_u32 v3, v2, 16, 1
	v_cmp_o_f32_e32 vcc_lo, v2, v2
	v_add3_u32 v3, v2, v3, 0x7fff
	s_delay_alu instid0(VALU_DEP_1) | instskip(NEXT) | instid1(VALU_DEP_1)
	v_lshrrev_b32_e32 v3, 16, v3
	v_cndmask_b32_e32 v2, 0x7fc0, v3, vcc_lo
	global_store_b32 v[4:5], v2, off
.LBB12_3136:
	s_mov_b32 s2, 0
.LBB12_3137:
	s_delay_alu instid0(SALU_CYCLE_1)
	s_and_b32 vcc_lo, exec_lo, s2
	s_cbranch_vccz .LBB12_3142
; %bb.3138:
	v_cmp_eq_u16_e32 vcc_lo, 44, v6
	s_mov_b32 s0, -1
	s_cbranch_vccz .LBB12_3142
; %bb.3139:
	v_cvt_f32_f64_e32 v2, v[0:1]
	v_mov_b32_e32 v3, 0xff
	s_mov_b32 s2, exec_lo
	s_delay_alu instid0(VALU_DEP_2) | instskip(NEXT) | instid1(VALU_DEP_1)
	v_bfe_u32 v7, v2, 23, 8
	v_cmpx_ne_u32_e32 0xff, v7
; %bb.3140:
	v_and_b32_e32 v3, 0x400000, v2
	v_and_or_b32 v7, 0x3fffff, v2, v7
	v_lshrrev_b32_e32 v2, 23, v2
	s_delay_alu instid0(VALU_DEP_3) | instskip(NEXT) | instid1(VALU_DEP_3)
	v_cmp_ne_u32_e32 vcc_lo, 0, v3
	v_cmp_ne_u32_e64 s0, 0, v7
	s_delay_alu instid0(VALU_DEP_1) | instskip(NEXT) | instid1(SALU_CYCLE_1)
	s_and_b32 s0, vcc_lo, s0
	v_cndmask_b32_e64 v3, 0, 1, s0
	s_delay_alu instid0(VALU_DEP_1)
	v_add_nc_u32_e32 v3, v2, v3
; %bb.3141:
	s_or_b32 exec_lo, exec_lo, s2
	s_mov_b32 s0, 0
	global_store_b8 v[4:5], v3, off
.LBB12_3142:
	s_mov_b32 s2, 0
.LBB12_3143:
	s_delay_alu instid0(SALU_CYCLE_1)
	s_and_b32 vcc_lo, exec_lo, s2
	s_cbranch_vccz .LBB12_3146
; %bb.3144:
	v_cmp_eq_u16_e32 vcc_lo, 29, v6
	s_mov_b32 s0, -1
	s_cbranch_vccz .LBB12_3146
; %bb.3145:
	v_trunc_f64_e32 v[2:3], v[0:1]
	s_mov_b32 s0, 0
	s_delay_alu instid0(VALU_DEP_1) | instskip(NEXT) | instid1(VALU_DEP_1)
	v_ldexp_f64 v[7:8], v[2:3], 0xffffffe0
	v_floor_f64_e32 v[7:8], v[7:8]
	s_delay_alu instid0(VALU_DEP_1) | instskip(SKIP_1) | instid1(VALU_DEP_2)
	v_fma_f64 v[2:3], 0xc1f00000, v[7:8], v[2:3]
	v_cvt_u32_f64_e32 v8, v[7:8]
	v_cvt_u32_f64_e32 v7, v[2:3]
	global_store_b64 v[4:5], v[7:8], off
.LBB12_3146:
	s_mov_b32 s2, 0
.LBB12_3147:
	s_delay_alu instid0(SALU_CYCLE_1)
	s_and_b32 vcc_lo, exec_lo, s2
	s_cbranch_vccz .LBB12_3162
; %bb.3148:
	v_cmp_gt_i16_e32 vcc_lo, 27, v6
	s_mov_b32 s2, -1
	s_cbranch_vccnz .LBB12_3154
; %bb.3149:
	v_cmp_lt_i16_e32 vcc_lo, 27, v6
	s_cbranch_vccz .LBB12_3151
; %bb.3150:
	v_cvt_u32_f64_e32 v2, v[0:1]
	s_mov_b32 s2, 0
	global_store_b32 v[4:5], v2, off
.LBB12_3151:
	s_and_not1_b32 vcc_lo, exec_lo, s2
	s_cbranch_vccnz .LBB12_3153
; %bb.3152:
	v_cvt_u32_f64_e32 v2, v[0:1]
	global_store_b16 v[4:5], v2, off
.LBB12_3153:
	s_mov_b32 s2, 0
.LBB12_3154:
	s_delay_alu instid0(SALU_CYCLE_1)
	s_and_not1_b32 vcc_lo, exec_lo, s2
	s_cbranch_vccnz .LBB12_3162
; %bb.3155:
	v_cvt_f32_f64_e32 v2, v[0:1]
	v_mov_b32_e32 v7, 0x80
	s_mov_b32 s2, exec_lo
	s_delay_alu instid0(VALU_DEP_2) | instskip(NEXT) | instid1(VALU_DEP_1)
	v_and_b32_e32 v3, 0x7fffffff, v2
	v_cmpx_gt_u32_e32 0x43800000, v3
	s_cbranch_execz .LBB12_3161
; %bb.3156:
	v_cmp_lt_u32_e32 vcc_lo, 0x3bffffff, v3
	s_mov_b32 s3, 0
                                        ; implicit-def: $vgpr3
	s_and_saveexec_b32 s4, vcc_lo
	s_delay_alu instid0(SALU_CYCLE_1)
	s_xor_b32 s4, exec_lo, s4
	s_cbranch_execz .LBB12_3232
; %bb.3157:
	v_bfe_u32 v3, v2, 20, 1
	s_mov_b32 s3, exec_lo
	s_delay_alu instid0(VALU_DEP_1) | instskip(NEXT) | instid1(VALU_DEP_1)
	v_add3_u32 v3, v2, v3, 0x487ffff
	v_lshrrev_b32_e32 v3, 20, v3
	s_or_saveexec_b32 s4, s4
                                        ; implicit-def: $sgpr5
	s_delay_alu instid0(SALU_CYCLE_1)
	s_xor_b32 exec_lo, exec_lo, s4
	s_cbranch_execnz .LBB12_3233
.LBB12_3158:
	s_or_b32 exec_lo, exec_lo, s4
	v_mov_b32_e32 v7, s5
	s_and_saveexec_b32 s4, s3
.LBB12_3159:
	v_lshrrev_b32_e32 v2, 24, v2
	s_delay_alu instid0(VALU_DEP_1)
	v_and_or_b32 v7, 0x80, v2, v3
.LBB12_3160:
	s_or_b32 exec_lo, exec_lo, s4
.LBB12_3161:
	s_delay_alu instid0(SALU_CYCLE_1)
	s_or_b32 exec_lo, exec_lo, s2
	global_store_b8 v[4:5], v7, off
.LBB12_3162:
	s_mov_b32 s2, 0
.LBB12_3163:
	s_delay_alu instid0(SALU_CYCLE_1)
	s_and_b32 vcc_lo, exec_lo, s2
	s_cbranch_vccz .LBB12_3203
; %bb.3164:
	v_cmp_lt_i16_e32 vcc_lo, 22, v6
	s_mov_b32 s1, -1
	s_cbranch_vccz .LBB12_3196
; %bb.3165:
	v_cmp_gt_i16_e32 vcc_lo, 24, v6
	s_cbranch_vccnz .LBB12_3185
; %bb.3166:
	v_cmp_lt_i16_e32 vcc_lo, 24, v6
	s_cbranch_vccz .LBB12_3174
; %bb.3167:
	v_cvt_f32_f64_e32 v2, v[0:1]
	v_mov_b32_e32 v7, 0x80
	s_mov_b32 s1, exec_lo
	s_delay_alu instid0(VALU_DEP_2) | instskip(NEXT) | instid1(VALU_DEP_1)
	v_and_b32_e32 v3, 0x7fffffff, v2
	v_cmpx_gt_u32_e32 0x47800000, v3
	s_cbranch_execz .LBB12_3173
; %bb.3168:
	v_cmp_lt_u32_e32 vcc_lo, 0x37ffffff, v3
	s_mov_b32 s2, 0
                                        ; implicit-def: $vgpr3
	s_and_saveexec_b32 s3, vcc_lo
	s_delay_alu instid0(SALU_CYCLE_1)
	s_xor_b32 s3, exec_lo, s3
	s_cbranch_execz .LBB12_3238
; %bb.3169:
	v_bfe_u32 v3, v2, 21, 1
	s_mov_b32 s2, exec_lo
	s_delay_alu instid0(VALU_DEP_1) | instskip(NEXT) | instid1(VALU_DEP_1)
	v_add3_u32 v3, v2, v3, 0x88fffff
	v_lshrrev_b32_e32 v3, 21, v3
	s_or_saveexec_b32 s3, s3
                                        ; implicit-def: $sgpr4
	s_delay_alu instid0(SALU_CYCLE_1)
	s_xor_b32 exec_lo, exec_lo, s3
	s_cbranch_execnz .LBB12_3239
.LBB12_3170:
	s_or_b32 exec_lo, exec_lo, s3
	v_mov_b32_e32 v7, s4
	s_and_saveexec_b32 s3, s2
.LBB12_3171:
	v_lshrrev_b32_e32 v2, 24, v2
	s_delay_alu instid0(VALU_DEP_1)
	v_and_or_b32 v7, 0x80, v2, v3
.LBB12_3172:
	s_or_b32 exec_lo, exec_lo, s3
.LBB12_3173:
	s_delay_alu instid0(SALU_CYCLE_1)
	s_or_b32 exec_lo, exec_lo, s1
	s_mov_b32 s1, 0
	global_store_b8 v[4:5], v7, off
.LBB12_3174:
	s_and_b32 vcc_lo, exec_lo, s1
	s_cbranch_vccz .LBB12_3184
; %bb.3175:
	v_cvt_f32_f64_e32 v2, v[0:1]
	s_mov_b32 s1, exec_lo
                                        ; implicit-def: $vgpr3
	s_delay_alu instid0(VALU_DEP_1) | instskip(NEXT) | instid1(VALU_DEP_1)
	v_and_b32_e32 v7, 0x7fffffff, v2
	v_cmpx_gt_u32_e32 0x43f00000, v7
	s_xor_b32 s1, exec_lo, s1
	s_cbranch_execz .LBB12_3181
; %bb.3176:
	s_mov_b32 s2, exec_lo
                                        ; implicit-def: $vgpr3
	v_cmpx_lt_u32_e32 0x3c7fffff, v7
	s_xor_b32 s2, exec_lo, s2
; %bb.3177:
	v_bfe_u32 v3, v2, 20, 1
	s_delay_alu instid0(VALU_DEP_1) | instskip(NEXT) | instid1(VALU_DEP_1)
	v_add3_u32 v3, v2, v3, 0x407ffff
	v_and_b32_e32 v7, 0xff00000, v3
	v_lshrrev_b32_e32 v3, 20, v3
	s_delay_alu instid0(VALU_DEP_2) | instskip(NEXT) | instid1(VALU_DEP_2)
	v_cmp_ne_u32_e32 vcc_lo, 0x7f00000, v7
	v_cndmask_b32_e32 v3, 0x7e, v3, vcc_lo
; %bb.3178:
	s_and_not1_saveexec_b32 s2, s2
; %bb.3179:
	v_add_f32_e64 v3, 0x46800000, |v2|
; %bb.3180:
	s_or_b32 exec_lo, exec_lo, s2
                                        ; implicit-def: $vgpr7
.LBB12_3181:
	s_and_not1_saveexec_b32 s1, s1
; %bb.3182:
	v_mov_b32_e32 v3, 0x7f
	v_cmp_lt_u32_e32 vcc_lo, 0x7f800000, v7
	s_delay_alu instid0(VALU_DEP_2)
	v_cndmask_b32_e32 v3, 0x7e, v3, vcc_lo
; %bb.3183:
	s_or_b32 exec_lo, exec_lo, s1
	v_lshrrev_b32_e32 v2, 24, v2
	s_delay_alu instid0(VALU_DEP_1)
	v_and_or_b32 v2, 0x80, v2, v3
	global_store_b8 v[4:5], v2, off
.LBB12_3184:
	s_mov_b32 s1, 0
.LBB12_3185:
	s_delay_alu instid0(SALU_CYCLE_1)
	s_and_not1_b32 vcc_lo, exec_lo, s1
	s_cbranch_vccnz .LBB12_3195
; %bb.3186:
	v_cvt_f32_f64_e32 v2, v[0:1]
	s_mov_b32 s1, exec_lo
                                        ; implicit-def: $vgpr3
	s_delay_alu instid0(VALU_DEP_1) | instskip(NEXT) | instid1(VALU_DEP_1)
	v_and_b32_e32 v7, 0x7fffffff, v2
	v_cmpx_gt_u32_e32 0x47800000, v7
	s_xor_b32 s1, exec_lo, s1
	s_cbranch_execz .LBB12_3192
; %bb.3187:
	s_mov_b32 s2, exec_lo
                                        ; implicit-def: $vgpr3
	v_cmpx_lt_u32_e32 0x387fffff, v7
	s_xor_b32 s2, exec_lo, s2
; %bb.3188:
	v_bfe_u32 v3, v2, 21, 1
	s_delay_alu instid0(VALU_DEP_1) | instskip(NEXT) | instid1(VALU_DEP_1)
	v_add3_u32 v3, v2, v3, 0x80fffff
	v_lshrrev_b32_e32 v3, 21, v3
; %bb.3189:
	s_and_not1_saveexec_b32 s2, s2
; %bb.3190:
	v_add_f32_e64 v3, 0x43000000, |v2|
; %bb.3191:
	s_or_b32 exec_lo, exec_lo, s2
                                        ; implicit-def: $vgpr7
.LBB12_3192:
	s_and_not1_saveexec_b32 s1, s1
; %bb.3193:
	v_mov_b32_e32 v3, 0x7f
	v_cmp_lt_u32_e32 vcc_lo, 0x7f800000, v7
	s_delay_alu instid0(VALU_DEP_2)
	v_cndmask_b32_e32 v3, 0x7c, v3, vcc_lo
; %bb.3194:
	s_or_b32 exec_lo, exec_lo, s1
	v_lshrrev_b32_e32 v2, 24, v2
	s_delay_alu instid0(VALU_DEP_1)
	v_and_or_b32 v2, 0x80, v2, v3
	global_store_b8 v[4:5], v2, off
.LBB12_3195:
	s_mov_b32 s1, 0
.LBB12_3196:
	s_delay_alu instid0(SALU_CYCLE_1)
	s_and_not1_b32 vcc_lo, exec_lo, s1
	s_mov_b32 s1, 0
	s_cbranch_vccnz .LBB12_3203
; %bb.3197:
	v_cmp_lt_i16_e32 vcc_lo, 14, v6
	s_mov_b32 s1, -1
	s_cbranch_vccz .LBB12_3201
; %bb.3198:
	v_cmp_eq_u16_e32 vcc_lo, 15, v6
	s_mov_b32 s0, -1
	s_cbranch_vccz .LBB12_3200
; %bb.3199:
	v_cvt_f32_f64_e32 v2, v[0:1]
	s_mov_b32 s0, 0
	s_delay_alu instid0(VALU_DEP_1) | instskip(SKIP_1) | instid1(VALU_DEP_2)
	v_bfe_u32 v3, v2, 16, 1
	v_cmp_o_f32_e32 vcc_lo, v2, v2
	v_add3_u32 v3, v2, v3, 0x7fff
	s_delay_alu instid0(VALU_DEP_1) | instskip(NEXT) | instid1(VALU_DEP_1)
	v_lshrrev_b32_e32 v3, 16, v3
	v_cndmask_b32_e32 v2, 0x7fc0, v3, vcc_lo
	global_store_b16 v[4:5], v2, off
.LBB12_3200:
	s_mov_b32 s1, 0
.LBB12_3201:
	s_delay_alu instid0(SALU_CYCLE_1)
	s_and_b32 vcc_lo, exec_lo, s1
	s_mov_b32 s1, 0
	s_cbranch_vccz .LBB12_3203
; %bb.3202:
	v_cmp_ne_u16_e64 s0, 11, v6
	s_mov_b32 s1, -1
.LBB12_3203:
	s_delay_alu instid0(VALU_DEP_1)
	s_and_b32 vcc_lo, exec_lo, s0
	s_cbranch_vccnz .LBB12_3236
.LBB12_3204:
	s_mov_b32 s0, 0
	s_branch .LBB12_2728
.LBB12_3205:
	s_mov_b32 s0, 0
	s_mov_b32 s1, 0
                                        ; implicit-def: $vgpr4_vgpr5
                                        ; implicit-def: $vgpr6
	s_branch .LBB12_2728
.LBB12_3206:
	s_cbranch_execnz .LBB12_3210
; %bb.3207:
	s_or_b32 s43, s43, exec_lo
                                        ; implicit-def: $vgpr58_vgpr59
	s_cbranch_execz .LBB12_2673
	s_branch .LBB12_2674
.LBB12_3208:
	s_or_saveexec_b32 s4, s4
                                        ; implicit-def: $sgpr5
	s_delay_alu instid0(SALU_CYCLE_1)
	s_xor_b32 exec_lo, exec_lo, s4
	s_cbranch_execz .LBB12_2803
.LBB12_3209:
	v_add_f32_e64 v5, 0x46000000, |v4|
	s_and_not1_b32 s3, s3, exec_lo
	s_mov_b32 s5, 0
	s_delay_alu instid0(VALU_DEP_1) | instskip(NEXT) | instid1(VALU_DEP_1)
	v_and_b32_e32 v5, 0xff, v5
	v_cmp_ne_u32_e32 vcc_lo, 0, v5
	s_and_b32 s6, vcc_lo, exec_lo
	s_delay_alu instid0(SALU_CYCLE_1)
	s_or_b32 s3, s3, s6
	s_or_b32 exec_lo, exec_lo, s4
	v_mov_b32_e32 v7, s5
	s_and_saveexec_b32 s4, s3
	s_cbranch_execnz .LBB12_2804
	s_branch .LBB12_2805
.LBB12_3210:
	s_trap 2
	s_sendmsg_rtn_b32 s0, sendmsg(MSG_RTN_GET_DOORBELL)
	s_mov_b32 ttmp2, m0
	s_waitcnt lgkmcnt(0)
	s_and_b32 s0, s0, 0x3ff
	s_delay_alu instid0(SALU_CYCLE_1) | instskip(NEXT) | instid1(SALU_CYCLE_1)
	s_bitset1_b32 s0, 10
	s_mov_b32 m0, s0
	s_sendmsg sendmsg(MSG_INTERRUPT)
	s_mov_b32 m0, ttmp2
.LBB12_3211:                            ; =>This Inner Loop Header: Depth=1
	s_sethalt 5
	s_branch .LBB12_3211
.LBB12_3212:
	s_cbranch_execnz .LBB12_3218
; %bb.3213:
	s_or_b32 s43, s43, exec_lo
	s_cbranch_execz .LBB12_2851
	s_branch .LBB12_2852
.LBB12_3214:
	s_or_saveexec_b32 s3, s3
                                        ; implicit-def: $sgpr4
	s_delay_alu instid0(SALU_CYCLE_1)
	s_xor_b32 exec_lo, exec_lo, s3
	s_cbranch_execz .LBB12_2816
.LBB12_3215:
	v_add_f32_e64 v5, 0x42800000, |v4|
	s_and_not1_b32 s2, s2, exec_lo
	s_mov_b32 s4, 0
	s_delay_alu instid0(VALU_DEP_1) | instskip(NEXT) | instid1(VALU_DEP_1)
	v_and_b32_e32 v5, 0xff, v5
	v_cmp_ne_u32_e32 vcc_lo, 0, v5
	s_and_b32 s5, vcc_lo, exec_lo
	s_delay_alu instid0(SALU_CYCLE_1)
	s_or_b32 s2, s2, s5
	s_or_b32 exec_lo, exec_lo, s3
	v_mov_b32_e32 v7, s4
	s_and_saveexec_b32 s3, s2
	s_cbranch_execnz .LBB12_2817
	s_branch .LBB12_2818
.LBB12_3216:
	s_or_saveexec_b32 s4, s4
                                        ; implicit-def: $sgpr5
	s_delay_alu instid0(SALU_CYCLE_1)
	s_xor_b32 exec_lo, exec_lo, s4
	s_cbranch_execz .LBB12_2921
.LBB12_3217:
	v_add_f32_e64 v5, 0x46000000, |v4|
	s_and_not1_b32 s3, s3, exec_lo
	s_mov_b32 s5, 0
	s_delay_alu instid0(VALU_DEP_1) | instskip(NEXT) | instid1(VALU_DEP_1)
	v_and_b32_e32 v5, 0xff, v5
	v_cmp_ne_u32_e32 vcc_lo, 0, v5
	s_and_b32 s6, vcc_lo, exec_lo
	s_delay_alu instid0(SALU_CYCLE_1)
	s_or_b32 s3, s3, s6
	s_or_b32 exec_lo, exec_lo, s4
	v_mov_b32_e32 v7, s5
	s_and_saveexec_b32 s4, s3
	s_cbranch_execnz .LBB12_2922
	s_branch .LBB12_2923
.LBB12_3218:
	s_trap 2
	s_sendmsg_rtn_b32 s0, sendmsg(MSG_RTN_GET_DOORBELL)
	s_mov_b32 ttmp2, m0
	s_waitcnt lgkmcnt(0)
	s_and_b32 s0, s0, 0x3ff
	s_delay_alu instid0(SALU_CYCLE_1) | instskip(NEXT) | instid1(SALU_CYCLE_1)
	s_bitset1_b32 s0, 10
	s_mov_b32 m0, s0
	s_sendmsg sendmsg(MSG_INTERRUPT)
	s_mov_b32 m0, ttmp2
.LBB12_3219:                            ; =>This Inner Loop Header: Depth=1
	s_sethalt 5
	s_branch .LBB12_3219
.LBB12_3220:
	s_cbranch_execnz .LBB12_3226
; %bb.3221:
	s_or_b32 s43, s43, exec_lo
	s_cbranch_execz .LBB12_2969
	s_branch .LBB12_2970
.LBB12_3222:
	s_or_saveexec_b32 s3, s3
                                        ; implicit-def: $sgpr4
	s_delay_alu instid0(SALU_CYCLE_1)
	s_xor_b32 exec_lo, exec_lo, s3
	s_cbranch_execz .LBB12_2934
.LBB12_3223:
	v_add_f32_e64 v5, 0x42800000, |v4|
	s_and_not1_b32 s2, s2, exec_lo
	s_mov_b32 s4, 0
	s_delay_alu instid0(VALU_DEP_1) | instskip(NEXT) | instid1(VALU_DEP_1)
	v_and_b32_e32 v5, 0xff, v5
	v_cmp_ne_u32_e32 vcc_lo, 0, v5
	s_and_b32 s5, vcc_lo, exec_lo
	s_delay_alu instid0(SALU_CYCLE_1)
	s_or_b32 s2, s2, s5
	s_or_b32 exec_lo, exec_lo, s3
	v_mov_b32_e32 v7, s4
	s_and_saveexec_b32 s3, s2
	s_cbranch_execnz .LBB12_2935
	s_branch .LBB12_2936
.LBB12_3224:
	s_or_saveexec_b32 s4, s4
                                        ; implicit-def: $sgpr5
	s_delay_alu instid0(SALU_CYCLE_1)
	s_xor_b32 exec_lo, exec_lo, s4
	s_cbranch_execz .LBB12_3039
.LBB12_3225:
	v_add_f32_e64 v5, 0x46000000, |v4|
	s_and_not1_b32 s3, s3, exec_lo
	s_mov_b32 s5, 0
	s_delay_alu instid0(VALU_DEP_1) | instskip(NEXT) | instid1(VALU_DEP_1)
	v_and_b32_e32 v5, 0xff, v5
	v_cmp_ne_u32_e32 vcc_lo, 0, v5
	s_and_b32 s6, vcc_lo, exec_lo
	s_delay_alu instid0(SALU_CYCLE_1)
	s_or_b32 s3, s3, s6
	s_or_b32 exec_lo, exec_lo, s4
	v_mov_b32_e32 v7, s5
	s_and_saveexec_b32 s4, s3
	s_cbranch_execnz .LBB12_3040
	s_branch .LBB12_3041
.LBB12_3226:
	s_trap 2
	s_sendmsg_rtn_b32 s0, sendmsg(MSG_RTN_GET_DOORBELL)
	s_mov_b32 ttmp2, m0
	s_waitcnt lgkmcnt(0)
	s_and_b32 s0, s0, 0x3ff
	s_delay_alu instid0(SALU_CYCLE_1) | instskip(NEXT) | instid1(SALU_CYCLE_1)
	s_bitset1_b32 s0, 10
	s_mov_b32 m0, s0
	s_sendmsg sendmsg(MSG_INTERRUPT)
	s_mov_b32 m0, ttmp2
.LBB12_3227:                            ; =>This Inner Loop Header: Depth=1
	s_sethalt 5
	s_branch .LBB12_3227
.LBB12_3228:
	s_cbranch_execnz .LBB12_3234
; %bb.3229:
	s_or_b32 s43, s43, exec_lo
	s_cbranch_execz .LBB12_3087
	s_branch .LBB12_3088
.LBB12_3230:
	s_or_saveexec_b32 s3, s3
                                        ; implicit-def: $sgpr4
	s_delay_alu instid0(SALU_CYCLE_1)
	s_xor_b32 exec_lo, exec_lo, s3
	s_cbranch_execz .LBB12_3052
.LBB12_3231:
	v_add_f32_e64 v5, 0x42800000, |v4|
	s_and_not1_b32 s2, s2, exec_lo
	s_mov_b32 s4, 0
	s_delay_alu instid0(VALU_DEP_1) | instskip(NEXT) | instid1(VALU_DEP_1)
	v_and_b32_e32 v5, 0xff, v5
	v_cmp_ne_u32_e32 vcc_lo, 0, v5
	s_and_b32 s5, vcc_lo, exec_lo
	s_delay_alu instid0(SALU_CYCLE_1)
	s_or_b32 s2, s2, s5
	s_or_b32 exec_lo, exec_lo, s3
	v_mov_b32_e32 v7, s4
	s_and_saveexec_b32 s3, s2
	s_cbranch_execnz .LBB12_3053
	s_branch .LBB12_3054
.LBB12_3232:
	s_or_saveexec_b32 s4, s4
                                        ; implicit-def: $sgpr5
	s_delay_alu instid0(SALU_CYCLE_1)
	s_xor_b32 exec_lo, exec_lo, s4
	s_cbranch_execz .LBB12_3158
.LBB12_3233:
	v_add_f32_e64 v3, 0x46000000, |v2|
	s_and_not1_b32 s3, s3, exec_lo
	s_mov_b32 s5, 0
	s_delay_alu instid0(VALU_DEP_1) | instskip(NEXT) | instid1(VALU_DEP_1)
	v_and_b32_e32 v3, 0xff, v3
	v_cmp_ne_u32_e32 vcc_lo, 0, v3
	s_and_b32 s6, vcc_lo, exec_lo
	s_delay_alu instid0(SALU_CYCLE_1)
	s_or_b32 s3, s3, s6
	s_or_b32 exec_lo, exec_lo, s4
	v_mov_b32_e32 v7, s5
	s_and_saveexec_b32 s4, s3
	s_cbranch_execnz .LBB12_3159
	s_branch .LBB12_3160
.LBB12_3234:
	s_trap 2
	s_sendmsg_rtn_b32 s0, sendmsg(MSG_RTN_GET_DOORBELL)
	s_mov_b32 ttmp2, m0
	s_waitcnt lgkmcnt(0)
	s_and_b32 s0, s0, 0x3ff
	s_delay_alu instid0(SALU_CYCLE_1) | instskip(NEXT) | instid1(SALU_CYCLE_1)
	s_bitset1_b32 s0, 10
	s_mov_b32 m0, s0
	s_sendmsg sendmsg(MSG_INTERRUPT)
	s_mov_b32 m0, ttmp2
.LBB12_3235:                            ; =>This Inner Loop Header: Depth=1
	s_sethalt 5
	s_branch .LBB12_3235
.LBB12_3236:
	s_cbranch_execnz .LBB12_3240
; %bb.3237:
	s_mov_b32 s1, 0
	s_or_b32 s43, s43, exec_lo
	s_branch .LBB12_3204
.LBB12_3238:
	s_or_saveexec_b32 s3, s3
                                        ; implicit-def: $sgpr4
	s_delay_alu instid0(SALU_CYCLE_1)
	s_xor_b32 exec_lo, exec_lo, s3
	s_cbranch_execz .LBB12_3170
.LBB12_3239:
	v_add_f32_e64 v3, 0x42800000, |v2|
	s_and_not1_b32 s2, s2, exec_lo
	s_mov_b32 s4, 0
	s_delay_alu instid0(VALU_DEP_1) | instskip(NEXT) | instid1(VALU_DEP_1)
	v_and_b32_e32 v3, 0xff, v3
	v_cmp_ne_u32_e32 vcc_lo, 0, v3
	s_and_b32 s5, vcc_lo, exec_lo
	s_delay_alu instid0(SALU_CYCLE_1)
	s_or_b32 s2, s2, s5
	s_or_b32 exec_lo, exec_lo, s3
	v_mov_b32_e32 v7, s4
	s_and_saveexec_b32 s3, s2
	s_cbranch_execnz .LBB12_3171
	s_branch .LBB12_3172
.LBB12_3240:
	s_trap 2
	s_sendmsg_rtn_b32 s0, sendmsg(MSG_RTN_GET_DOORBELL)
	s_mov_b32 ttmp2, m0
	s_waitcnt lgkmcnt(0)
	s_and_b32 s0, s0, 0x3ff
	s_delay_alu instid0(SALU_CYCLE_1) | instskip(NEXT) | instid1(SALU_CYCLE_1)
	s_bitset1_b32 s0, 10
	s_mov_b32 m0, s0
	s_sendmsg sendmsg(MSG_INTERRUPT)
	s_mov_b32 m0, ttmp2
.LBB12_3241:                            ; =>This Inner Loop Header: Depth=1
	s_sethalt 5
	s_branch .LBB12_3241
	.section	.rodata,"a",@progbits
	.p2align	6, 0x0
	.amdhsa_kernel _ZN2at6native32elementwise_kernel_manual_unrollILi128ELi4EZNS0_15gpu_kernel_implIN12_GLOBAL__N_110CalcIgammaIdEEEEvRNS_18TensorIteratorBaseERKT_EUlibE0_EEviT1_
		.amdhsa_group_segment_fixed_size 0
		.amdhsa_private_segment_fixed_size 240
		.amdhsa_kernarg_size 432
		.amdhsa_user_sgpr_count 15
		.amdhsa_user_sgpr_dispatch_ptr 0
		.amdhsa_user_sgpr_queue_ptr 0
		.amdhsa_user_sgpr_kernarg_segment_ptr 1
		.amdhsa_user_sgpr_dispatch_id 0
		.amdhsa_user_sgpr_private_segment_size 0
		.amdhsa_wavefront_size32 1
		.amdhsa_uses_dynamic_stack 0
		.amdhsa_enable_private_segment 1
		.amdhsa_system_sgpr_workgroup_id_x 1
		.amdhsa_system_sgpr_workgroup_id_y 0
		.amdhsa_system_sgpr_workgroup_id_z 0
		.amdhsa_system_sgpr_workgroup_info 0
		.amdhsa_system_vgpr_workitem_id 0
		.amdhsa_next_free_vgpr 104
		.amdhsa_next_free_sgpr 89
		.amdhsa_reserve_vcc 1
		.amdhsa_float_round_mode_32 0
		.amdhsa_float_round_mode_16_64 0
		.amdhsa_float_denorm_mode_32 3
		.amdhsa_float_denorm_mode_16_64 3
		.amdhsa_dx10_clamp 1
		.amdhsa_ieee_mode 1
		.amdhsa_fp16_overflow 0
		.amdhsa_workgroup_processor_mode 1
		.amdhsa_memory_ordered 1
		.amdhsa_forward_progress 0
		.amdhsa_shared_vgpr_count 0
		.amdhsa_exception_fp_ieee_invalid_op 0
		.amdhsa_exception_fp_denorm_src 0
		.amdhsa_exception_fp_ieee_div_zero 0
		.amdhsa_exception_fp_ieee_overflow 0
		.amdhsa_exception_fp_ieee_underflow 0
		.amdhsa_exception_fp_ieee_inexact 0
		.amdhsa_exception_int_div_zero 0
	.end_amdhsa_kernel
	.section	.text._ZN2at6native32elementwise_kernel_manual_unrollILi128ELi4EZNS0_15gpu_kernel_implIN12_GLOBAL__N_110CalcIgammaIdEEEEvRNS_18TensorIteratorBaseERKT_EUlibE0_EEviT1_,"axG",@progbits,_ZN2at6native32elementwise_kernel_manual_unrollILi128ELi4EZNS0_15gpu_kernel_implIN12_GLOBAL__N_110CalcIgammaIdEEEEvRNS_18TensorIteratorBaseERKT_EUlibE0_EEviT1_,comdat
.Lfunc_end12:
	.size	_ZN2at6native32elementwise_kernel_manual_unrollILi128ELi4EZNS0_15gpu_kernel_implIN12_GLOBAL__N_110CalcIgammaIdEEEEvRNS_18TensorIteratorBaseERKT_EUlibE0_EEviT1_, .Lfunc_end12-_ZN2at6native32elementwise_kernel_manual_unrollILi128ELi4EZNS0_15gpu_kernel_implIN12_GLOBAL__N_110CalcIgammaIdEEEEvRNS_18TensorIteratorBaseERKT_EUlibE0_EEviT1_
                                        ; -- End function
	.section	.AMDGPU.csdata,"",@progbits
; Kernel info:
; codeLenInByte = 60904
; NumSgprs: 91
; NumVgprs: 104
; ScratchSize: 240
; MemoryBound: 1
; FloatMode: 240
; IeeeMode: 1
; LDSByteSize: 0 bytes/workgroup (compile time only)
; SGPRBlocks: 11
; VGPRBlocks: 12
; NumSGPRsForWavesPerEU: 91
; NumVGPRsForWavesPerEU: 104
; Occupancy: 12
; WaveLimiterHint : 1
; COMPUTE_PGM_RSRC2:SCRATCH_EN: 1
; COMPUTE_PGM_RSRC2:USER_SGPR: 15
; COMPUTE_PGM_RSRC2:TRAP_HANDLER: 0
; COMPUTE_PGM_RSRC2:TGID_X_EN: 1
; COMPUTE_PGM_RSRC2:TGID_Y_EN: 0
; COMPUTE_PGM_RSRC2:TGID_Z_EN: 0
; COMPUTE_PGM_RSRC2:TIDIG_COMP_CNT: 0
	.text
	.p2align	2                               ; -- Begin function _ZN12_GLOBAL__N_130_igam_helper_asymptotic_seriesIfEET_S1_S1_b
	.type	_ZN12_GLOBAL__N_130_igam_helper_asymptotic_seriesIfEET_S1_S1_b,@function
_ZN12_GLOBAL__N_130_igam_helper_asymptotic_seriesIfEET_S1_S1_b: ; @_ZN12_GLOBAL__N_130_igam_helper_asymptotic_seriesIfEET_S1_S1_b
; %bb.0:
	s_waitcnt vmcnt(0) expcnt(0) lgkmcnt(0)
	v_div_scale_f32 v8, null, v0, v0, v1
	v_div_scale_f32 v13, vcc_lo, v1, v0, v1
	s_mov_b32 s4, 0
	s_delay_alu instid0(VALU_DEP_2)
	v_rcp_f32_e32 v10, v8
	s_mov_b32 s5, s4
	s_mov_b32 s6, s4
	;; [unrolled: 1-line block ×3, first 2 shown]
	s_mov_b32 s1, exec_lo
	v_mov_b32_e32 v18, 1.0
	s_waitcnt_depctr 0xfff
	v_fma_f32 v3, -v8, v10, 1.0
	s_delay_alu instid0(VALU_DEP_1) | instskip(NEXT) | instid1(VALU_DEP_1)
	v_dual_sub_f32 v9, v1, v0 :: v_dual_fmac_f32 v10, v3, v10
	v_div_scale_f32 v11, null, v0, v0, v9
	v_div_scale_f32 v14, s0, v9, v0, v9
	s_delay_alu instid0(VALU_DEP_2) | instskip(SKIP_2) | instid1(VALU_DEP_1)
	v_rcp_f32_e32 v12, v11
	s_waitcnt_depctr 0xfff
	v_fma_f32 v3, -v11, v12, 1.0
	v_dual_mul_f32 v15, v13, v10 :: v_dual_fmac_f32 v12, v3, v12
	s_delay_alu instid0(VALU_DEP_1) | instskip(NEXT) | instid1(VALU_DEP_2)
	v_fma_f32 v4, -v8, v15, v13
	v_dual_mov_b32 v3, 0 :: v_dual_mul_f32 v16, v14, v12
	s_delay_alu instid0(VALU_DEP_2) | instskip(SKIP_2) | instid1(VALU_DEP_4)
	v_dual_fmac_f32 v15, v4, v10 :: v_dual_mov_b32 v4, s4
	v_dual_mov_b32 v5, s5 :: v_dual_mov_b32 v6, s6
	v_mov_b32_e32 v7, s7
	v_fma_f32 v17, -v11, v16, v14
	s_delay_alu instid0(VALU_DEP_4)
	v_fma_f32 v8, -v8, v15, v13
	s_clause 0x1
	scratch_store_b32 off, v3, s32 offset:96
	scratch_store_b128 off, v[4:7], s32 offset:80
	v_dual_fmac_f32 v16, v17, v12 :: v_dual_and_b32 v13, 1, v2
	v_div_fmas_f32 v2, v8, v10, v15
	s_mov_b32 vcc_lo, s0
	s_clause 0x1
	scratch_store_b128 off, v[4:7], s32 offset:64
	scratch_store_b128 off, v[4:7], s32 offset:48
	v_cmp_eq_u32_e64 s0, 1, v13
	v_fma_f32 v8, -v11, v16, v14
	v_div_fixup_f32 v2, v2, v0, v1
	s_clause 0x3
	scratch_store_b128 off, v[4:7], s32
	scratch_store_b128 off, v[4:7], s32 offset:16
	scratch_store_b128 off, v[4:7], s32 offset:32
	scratch_store_b32 off, v18, s32
	v_div_fmas_f32 v8, v8, v12, v16
	s_delay_alu instid0(VALU_DEP_1)
	v_div_fixup_f32 v1, v8, v0, v9
	v_cmpx_nlt_f32_e32 1.0, v2
	s_xor_b32 s2, exec_lo, s1
	s_cbranch_execz .LBB13_4
; %bb.1:
	s_mov_b32 s3, exec_lo
	v_cmpx_gt_f32_e32 1.0, v2
	s_cbranch_execz .LBB13_3
; %bb.2:
	v_add_f32_e32 v4, 1.0, v1
	s_mov_b32 s1, 0x3e9b6dac
	s_delay_alu instid0(VALU_DEP_1) | instskip(NEXT) | instid1(VALU_DEP_1)
	v_cvt_f64_f32_e32 v[2:3], v4
	v_frexp_exp_i32_f64_e32 v2, v[2:3]
	v_frexp_mant_f32_e32 v3, v4
	s_delay_alu instid0(VALU_DEP_1) | instskip(SKIP_1) | instid1(VALU_DEP_1)
	v_cmp_gt_f32_e32 vcc_lo, 0x3f2aaaab, v3
	v_add_f32_e32 v3, -1.0, v4
	v_sub_f32_e32 v6, v3, v4
	s_delay_alu instid0(VALU_DEP_1) | instskip(SKIP_2) | instid1(VALU_DEP_2)
	v_dual_add_f32 v6, 1.0, v6 :: v_dual_sub_f32 v3, v1, v3
	v_subrev_co_ci_u32_e32 v2, vcc_lo, 0, v2, vcc_lo
	v_cmp_eq_f32_e32 vcc_lo, 0x7f800000, v1
	v_sub_nc_u32_e32 v5, 0, v2
	v_cvt_f32_i32_e32 v2, v2
	s_delay_alu instid0(VALU_DEP_2) | instskip(NEXT) | instid1(VALU_DEP_1)
	v_ldexp_f32 v4, v4, v5
	v_add_f32_e32 v7, 1.0, v4
	s_delay_alu instid0(VALU_DEP_1) | instskip(NEXT) | instid1(VALU_DEP_1)
	v_dual_add_f32 v3, v3, v6 :: v_dual_add_f32 v6, -1.0, v7
	v_ldexp_f32 v3, v3, v5
	s_delay_alu instid0(VALU_DEP_2) | instskip(NEXT) | instid1(VALU_DEP_1)
	v_dual_sub_f32 v6, v4, v6 :: v_dual_add_f32 v5, -1.0, v4
	v_add_f32_e32 v6, v3, v6
	s_delay_alu instid0(VALU_DEP_2) | instskip(NEXT) | instid1(VALU_DEP_1)
	v_add_f32_e32 v8, 1.0, v5
	v_sub_f32_e32 v4, v4, v8
	s_delay_alu instid0(VALU_DEP_1) | instskip(NEXT) | instid1(VALU_DEP_1)
	v_add_f32_e32 v3, v3, v4
	v_dual_add_f32 v9, v5, v3 :: v_dual_add_f32 v8, v7, v6
	s_delay_alu instid0(VALU_DEP_1) | instskip(NEXT) | instid1(VALU_DEP_2)
	v_sub_f32_e32 v5, v9, v5
	v_rcp_f32_e32 v4, v8
	v_sub_f32_e32 v7, v8, v7
	s_delay_alu instid0(VALU_DEP_1) | instskip(SKIP_2) | instid1(VALU_DEP_1)
	v_dual_sub_f32 v3, v3, v5 :: v_dual_sub_f32 v6, v6, v7
	s_waitcnt_depctr 0xfff
	v_mul_f32_e32 v10, v9, v4
	v_mul_f32_e32 v11, v8, v10
	s_delay_alu instid0(VALU_DEP_1) | instskip(NEXT) | instid1(VALU_DEP_1)
	v_fma_f32 v7, v10, v8, -v11
	v_fmac_f32_e32 v7, v10, v6
	s_delay_alu instid0(VALU_DEP_1) | instskip(NEXT) | instid1(VALU_DEP_1)
	v_add_f32_e32 v12, v11, v7
	v_sub_f32_e32 v13, v9, v12
	v_sub_f32_e32 v5, v12, v11
	s_delay_alu instid0(VALU_DEP_2) | instskip(NEXT) | instid1(VALU_DEP_2)
	v_sub_f32_e32 v9, v9, v13
	v_sub_f32_e32 v5, v5, v7
	s_delay_alu instid0(VALU_DEP_2) | instskip(NEXT) | instid1(VALU_DEP_1)
	v_sub_f32_e32 v9, v9, v12
	v_add_f32_e32 v3, v3, v9
	s_delay_alu instid0(VALU_DEP_1) | instskip(NEXT) | instid1(VALU_DEP_1)
	v_add_f32_e32 v3, v5, v3
	v_add_f32_e32 v5, v13, v3
	s_delay_alu instid0(VALU_DEP_1) | instskip(NEXT) | instid1(VALU_DEP_1)
	v_mul_f32_e32 v7, v4, v5
	v_dual_sub_f32 v12, v13, v5 :: v_dual_mul_f32 v9, v8, v7
	s_delay_alu instid0(VALU_DEP_1) | instskip(NEXT) | instid1(VALU_DEP_2)
	v_add_f32_e32 v3, v3, v12
	v_fma_f32 v8, v7, v8, -v9
	s_delay_alu instid0(VALU_DEP_1) | instskip(NEXT) | instid1(VALU_DEP_1)
	v_fmac_f32_e32 v8, v7, v6
	v_add_f32_e32 v6, v9, v8
	s_delay_alu instid0(VALU_DEP_1) | instskip(SKIP_1) | instid1(VALU_DEP_2)
	v_sub_f32_e32 v11, v5, v6
	v_sub_f32_e32 v9, v6, v9
	;; [unrolled: 1-line block ×3, first 2 shown]
	s_delay_alu instid0(VALU_DEP_1) | instskip(NEXT) | instid1(VALU_DEP_1)
	v_sub_f32_e32 v5, v5, v6
	v_dual_sub_f32 v6, v9, v8 :: v_dual_add_f32 v3, v3, v5
	v_add_f32_e32 v5, v10, v7
	s_delay_alu instid0(VALU_DEP_1) | instskip(NEXT) | instid1(VALU_DEP_1)
	v_dual_add_f32 v3, v6, v3 :: v_dual_sub_f32 v6, v5, v10
	v_add_f32_e32 v3, v11, v3
	s_delay_alu instid0(VALU_DEP_1) | instskip(NEXT) | instid1(VALU_DEP_1)
	v_dual_sub_f32 v6, v7, v6 :: v_dual_mul_f32 v3, v4, v3
	v_add_f32_e32 v3, v6, v3
	s_delay_alu instid0(VALU_DEP_1) | instskip(NEXT) | instid1(VALU_DEP_1)
	v_add_f32_e32 v4, v5, v3
	v_mul_f32_e32 v6, v4, v4
	s_delay_alu instid0(VALU_DEP_1) | instskip(SKIP_1) | instid1(VALU_DEP_2)
	v_fmaak_f32 v7, s1, v6, 0x3ecc95a3
	v_mul_f32_e32 v8, v4, v6
	v_fmaak_f32 v6, v6, v7, 0x3f2aaada
	v_ldexp_f32 v7, v4, 1
	v_sub_f32_e32 v4, v4, v5
	s_delay_alu instid0(VALU_DEP_3) | instskip(NEXT) | instid1(VALU_DEP_2)
	v_mul_f32_e32 v6, v8, v6
	v_dual_mul_f32 v8, 0x3f317218, v2 :: v_dual_sub_f32 v3, v3, v4
	s_delay_alu instid0(VALU_DEP_2) | instskip(NEXT) | instid1(VALU_DEP_2)
	v_add_f32_e32 v5, v7, v6
	v_ldexp_f32 v3, v3, 1
	s_delay_alu instid0(VALU_DEP_2) | instskip(NEXT) | instid1(VALU_DEP_4)
	v_sub_f32_e32 v4, v5, v7
	v_fma_f32 v7, 0x3f317218, v2, -v8
	s_delay_alu instid0(VALU_DEP_2) | instskip(NEXT) | instid1(VALU_DEP_1)
	v_sub_f32_e32 v4, v6, v4
	v_dual_fmamk_f32 v2, v2, 0xb102e308, v7 :: v_dual_add_f32 v3, v3, v4
	s_delay_alu instid0(VALU_DEP_1) | instskip(NEXT) | instid1(VALU_DEP_2)
	v_add_f32_e32 v4, v8, v2
	v_add_f32_e32 v6, v5, v3
	s_delay_alu instid0(VALU_DEP_2) | instskip(NEXT) | instid1(VALU_DEP_2)
	v_sub_f32_e32 v8, v4, v8
	v_add_f32_e32 v7, v4, v6
	v_sub_f32_e32 v5, v6, v5
	s_delay_alu instid0(VALU_DEP_3) | instskip(NEXT) | instid1(VALU_DEP_3)
	v_sub_f32_e32 v2, v2, v8
	v_sub_f32_e32 v9, v7, v4
	s_delay_alu instid0(VALU_DEP_3) | instskip(NEXT) | instid1(VALU_DEP_2)
	v_sub_f32_e32 v3, v3, v5
	v_sub_f32_e32 v10, v7, v9
	;; [unrolled: 1-line block ×3, first 2 shown]
	s_delay_alu instid0(VALU_DEP_3) | instskip(NEXT) | instid1(VALU_DEP_3)
	v_add_f32_e32 v6, v2, v3
	v_sub_f32_e32 v4, v4, v10
	s_delay_alu instid0(VALU_DEP_1) | instskip(NEXT) | instid1(VALU_DEP_1)
	v_dual_add_f32 v4, v5, v4 :: v_dual_sub_f32 v5, v6, v2
	v_add_f32_e32 v4, v6, v4
	s_delay_alu instid0(VALU_DEP_2) | instskip(NEXT) | instid1(VALU_DEP_2)
	v_sub_f32_e32 v6, v6, v5
	v_add_f32_e32 v8, v7, v4
	s_delay_alu instid0(VALU_DEP_2) | instskip(NEXT) | instid1(VALU_DEP_1)
	v_dual_sub_f32 v3, v3, v5 :: v_dual_sub_f32 v2, v2, v6
	v_dual_sub_f32 v5, v8, v7 :: v_dual_add_f32 v2, v3, v2
	s_delay_alu instid0(VALU_DEP_1) | instskip(NEXT) | instid1(VALU_DEP_1)
	v_sub_f32_e32 v3, v4, v5
	v_add_f32_e32 v2, v2, v3
	s_delay_alu instid0(VALU_DEP_1) | instskip(NEXT) | instid1(VALU_DEP_1)
	v_add_f32_e32 v2, v8, v2
	v_cndmask_b32_e32 v2, v2, v1, vcc_lo
	v_cmp_ngt_f32_e32 vcc_lo, -1.0, v1
	s_delay_alu instid0(VALU_DEP_2) | instskip(SKIP_1) | instid1(VALU_DEP_2)
	v_cndmask_b32_e32 v2, 0x7fc00000, v2, vcc_lo
	v_cmp_neq_f32_e32 vcc_lo, -1.0, v1
	v_cndmask_b32_e32 v2, 0xff800000, v2, vcc_lo
	v_cmp_gt_f32_e64 vcc_lo, 0x33800000, |v1|
	s_delay_alu instid0(VALU_DEP_2) | instskip(NEXT) | instid1(VALU_DEP_1)
	v_cndmask_b32_e32 v2, v2, v1, vcc_lo
	v_sub_f32_e32 v1, v2, v1
	s_delay_alu instid0(VALU_DEP_1) | instskip(NEXT) | instid1(VALU_DEP_1)
	v_mul_f32_e32 v1, -2.0, v1
	v_mul_f32_e32 v2, 0x4f800000, v1
	v_cmp_gt_f32_e32 vcc_lo, 0xf800000, v1
	s_delay_alu instid0(VALU_DEP_2) | instskip(NEXT) | instid1(VALU_DEP_1)
	v_cndmask_b32_e32 v1, v1, v2, vcc_lo
	v_sqrt_f32_e32 v2, v1
	s_waitcnt_depctr 0xfff
	v_add_nc_u32_e32 v3, -1, v2
	v_add_nc_u32_e32 v4, 1, v2
	s_delay_alu instid0(VALU_DEP_2) | instskip(NEXT) | instid1(VALU_DEP_2)
	v_fma_f32 v5, -v3, v2, v1
	v_fma_f32 v6, -v4, v2, v1
	s_delay_alu instid0(VALU_DEP_2) | instskip(NEXT) | instid1(VALU_DEP_1)
	v_cmp_ge_f32_e64 s1, 0, v5
	v_cndmask_b32_e64 v2, v2, v3, s1
	s_delay_alu instid0(VALU_DEP_3) | instskip(NEXT) | instid1(VALU_DEP_1)
	v_cmp_lt_f32_e64 s1, 0, v6
	v_cndmask_b32_e64 v2, v2, v4, s1
	s_delay_alu instid0(VALU_DEP_1) | instskip(NEXT) | instid1(VALU_DEP_1)
	v_mul_f32_e32 v3, 0x37800000, v2
	v_cndmask_b32_e32 v2, v2, v3, vcc_lo
	v_cmp_class_f32_e64 vcc_lo, v1, 0x260
	s_delay_alu instid0(VALU_DEP_2) | instskip(NEXT) | instid1(VALU_DEP_1)
	v_cndmask_b32_e32 v1, v2, v1, vcc_lo
	v_xor_b32_e32 v3, 0x80000000, v1
.LBB13_3:
	s_or_b32 exec_lo, exec_lo, s3
                                        ; implicit-def: $vgpr1
.LBB13_4:
	s_and_not1_saveexec_b32 s2, s2
	s_cbranch_execz .LBB13_6
; %bb.5:
	v_add_f32_e32 v4, 1.0, v1
	s_mov_b32 s1, 0x3e9b6dac
	s_delay_alu instid0(VALU_DEP_1) | instskip(NEXT) | instid1(VALU_DEP_1)
	v_cvt_f64_f32_e32 v[2:3], v4
	v_frexp_exp_i32_f64_e32 v2, v[2:3]
	v_frexp_mant_f32_e32 v3, v4
	s_delay_alu instid0(VALU_DEP_1) | instskip(SKIP_1) | instid1(VALU_DEP_1)
	v_cmp_gt_f32_e32 vcc_lo, 0x3f2aaaab, v3
	v_add_f32_e32 v3, -1.0, v4
	v_sub_f32_e32 v6, v3, v4
	s_delay_alu instid0(VALU_DEP_1) | instskip(SKIP_2) | instid1(VALU_DEP_2)
	v_dual_add_f32 v6, 1.0, v6 :: v_dual_sub_f32 v3, v1, v3
	v_subrev_co_ci_u32_e32 v2, vcc_lo, 0, v2, vcc_lo
	v_cmp_eq_f32_e32 vcc_lo, 0x7f800000, v1
	v_sub_nc_u32_e32 v5, 0, v2
	v_cvt_f32_i32_e32 v2, v2
	s_delay_alu instid0(VALU_DEP_2) | instskip(NEXT) | instid1(VALU_DEP_1)
	v_ldexp_f32 v4, v4, v5
	v_add_f32_e32 v7, 1.0, v4
	s_delay_alu instid0(VALU_DEP_1) | instskip(NEXT) | instid1(VALU_DEP_1)
	v_dual_add_f32 v3, v3, v6 :: v_dual_add_f32 v6, -1.0, v7
	v_ldexp_f32 v3, v3, v5
	s_delay_alu instid0(VALU_DEP_2) | instskip(NEXT) | instid1(VALU_DEP_1)
	v_dual_sub_f32 v6, v4, v6 :: v_dual_add_f32 v5, -1.0, v4
	v_add_f32_e32 v6, v3, v6
	s_delay_alu instid0(VALU_DEP_2) | instskip(NEXT) | instid1(VALU_DEP_1)
	v_add_f32_e32 v8, 1.0, v5
	v_sub_f32_e32 v4, v4, v8
	s_delay_alu instid0(VALU_DEP_1) | instskip(NEXT) | instid1(VALU_DEP_1)
	v_add_f32_e32 v3, v3, v4
	v_dual_add_f32 v9, v5, v3 :: v_dual_add_f32 v8, v7, v6
	s_delay_alu instid0(VALU_DEP_1) | instskip(NEXT) | instid1(VALU_DEP_2)
	v_sub_f32_e32 v5, v9, v5
	v_rcp_f32_e32 v4, v8
	v_sub_f32_e32 v7, v8, v7
	s_delay_alu instid0(VALU_DEP_1) | instskip(SKIP_2) | instid1(VALU_DEP_1)
	v_dual_sub_f32 v3, v3, v5 :: v_dual_sub_f32 v6, v6, v7
	s_waitcnt_depctr 0xfff
	v_mul_f32_e32 v10, v9, v4
	v_mul_f32_e32 v11, v8, v10
	s_delay_alu instid0(VALU_DEP_1) | instskip(NEXT) | instid1(VALU_DEP_1)
	v_fma_f32 v7, v10, v8, -v11
	v_fmac_f32_e32 v7, v10, v6
	s_delay_alu instid0(VALU_DEP_1) | instskip(NEXT) | instid1(VALU_DEP_1)
	v_add_f32_e32 v12, v11, v7
	v_sub_f32_e32 v13, v9, v12
	v_sub_f32_e32 v5, v12, v11
	s_delay_alu instid0(VALU_DEP_2) | instskip(NEXT) | instid1(VALU_DEP_2)
	v_sub_f32_e32 v9, v9, v13
	v_sub_f32_e32 v5, v5, v7
	s_delay_alu instid0(VALU_DEP_2) | instskip(NEXT) | instid1(VALU_DEP_1)
	v_sub_f32_e32 v9, v9, v12
	v_add_f32_e32 v3, v3, v9
	s_delay_alu instid0(VALU_DEP_1) | instskip(NEXT) | instid1(VALU_DEP_1)
	v_add_f32_e32 v3, v5, v3
	v_add_f32_e32 v5, v13, v3
	s_delay_alu instid0(VALU_DEP_1) | instskip(NEXT) | instid1(VALU_DEP_1)
	v_mul_f32_e32 v7, v4, v5
	v_dual_sub_f32 v12, v13, v5 :: v_dual_mul_f32 v9, v8, v7
	s_delay_alu instid0(VALU_DEP_1) | instskip(NEXT) | instid1(VALU_DEP_2)
	v_add_f32_e32 v3, v3, v12
	v_fma_f32 v8, v7, v8, -v9
	s_delay_alu instid0(VALU_DEP_1) | instskip(NEXT) | instid1(VALU_DEP_1)
	v_fmac_f32_e32 v8, v7, v6
	v_add_f32_e32 v6, v9, v8
	s_delay_alu instid0(VALU_DEP_1) | instskip(SKIP_1) | instid1(VALU_DEP_2)
	v_sub_f32_e32 v11, v5, v6
	v_sub_f32_e32 v9, v6, v9
	;; [unrolled: 1-line block ×3, first 2 shown]
	s_delay_alu instid0(VALU_DEP_1) | instskip(NEXT) | instid1(VALU_DEP_1)
	v_sub_f32_e32 v5, v5, v6
	v_dual_sub_f32 v6, v9, v8 :: v_dual_add_f32 v3, v3, v5
	v_add_f32_e32 v5, v10, v7
	s_delay_alu instid0(VALU_DEP_1) | instskip(NEXT) | instid1(VALU_DEP_1)
	v_dual_add_f32 v3, v6, v3 :: v_dual_sub_f32 v6, v5, v10
	v_add_f32_e32 v3, v11, v3
	s_delay_alu instid0(VALU_DEP_1) | instskip(NEXT) | instid1(VALU_DEP_1)
	v_dual_sub_f32 v6, v7, v6 :: v_dual_mul_f32 v3, v4, v3
	v_add_f32_e32 v3, v6, v3
	s_delay_alu instid0(VALU_DEP_1) | instskip(NEXT) | instid1(VALU_DEP_1)
	v_add_f32_e32 v4, v5, v3
	v_mul_f32_e32 v6, v4, v4
	s_delay_alu instid0(VALU_DEP_1) | instskip(SKIP_1) | instid1(VALU_DEP_2)
	v_fmaak_f32 v7, s1, v6, 0x3ecc95a3
	v_mul_f32_e32 v8, v4, v6
	v_fmaak_f32 v6, v6, v7, 0x3f2aaada
	v_ldexp_f32 v7, v4, 1
	v_sub_f32_e32 v4, v4, v5
	s_delay_alu instid0(VALU_DEP_3) | instskip(NEXT) | instid1(VALU_DEP_2)
	v_mul_f32_e32 v6, v8, v6
	v_dual_mul_f32 v8, 0x3f317218, v2 :: v_dual_sub_f32 v3, v3, v4
	s_delay_alu instid0(VALU_DEP_2) | instskip(NEXT) | instid1(VALU_DEP_2)
	v_add_f32_e32 v5, v7, v6
	v_ldexp_f32 v3, v3, 1
	s_delay_alu instid0(VALU_DEP_2) | instskip(NEXT) | instid1(VALU_DEP_4)
	v_sub_f32_e32 v4, v5, v7
	v_fma_f32 v7, 0x3f317218, v2, -v8
	s_delay_alu instid0(VALU_DEP_2) | instskip(NEXT) | instid1(VALU_DEP_1)
	v_sub_f32_e32 v4, v6, v4
	v_dual_fmamk_f32 v2, v2, 0xb102e308, v7 :: v_dual_add_f32 v3, v3, v4
	s_delay_alu instid0(VALU_DEP_1) | instskip(NEXT) | instid1(VALU_DEP_2)
	v_add_f32_e32 v4, v8, v2
	v_add_f32_e32 v6, v5, v3
	s_delay_alu instid0(VALU_DEP_2) | instskip(NEXT) | instid1(VALU_DEP_2)
	v_sub_f32_e32 v8, v4, v8
	v_add_f32_e32 v7, v4, v6
	v_sub_f32_e32 v5, v6, v5
	s_delay_alu instid0(VALU_DEP_3) | instskip(NEXT) | instid1(VALU_DEP_3)
	v_sub_f32_e32 v2, v2, v8
	v_sub_f32_e32 v9, v7, v4
	s_delay_alu instid0(VALU_DEP_3) | instskip(NEXT) | instid1(VALU_DEP_2)
	v_sub_f32_e32 v3, v3, v5
	v_sub_f32_e32 v10, v7, v9
	;; [unrolled: 1-line block ×3, first 2 shown]
	s_delay_alu instid0(VALU_DEP_3) | instskip(NEXT) | instid1(VALU_DEP_3)
	v_add_f32_e32 v6, v2, v3
	v_sub_f32_e32 v4, v4, v10
	s_delay_alu instid0(VALU_DEP_1) | instskip(NEXT) | instid1(VALU_DEP_1)
	v_dual_add_f32 v4, v5, v4 :: v_dual_sub_f32 v5, v6, v2
	v_add_f32_e32 v4, v6, v4
	s_delay_alu instid0(VALU_DEP_2) | instskip(NEXT) | instid1(VALU_DEP_2)
	v_sub_f32_e32 v6, v6, v5
	v_add_f32_e32 v8, v7, v4
	s_delay_alu instid0(VALU_DEP_2) | instskip(NEXT) | instid1(VALU_DEP_1)
	v_dual_sub_f32 v3, v3, v5 :: v_dual_sub_f32 v2, v2, v6
	v_dual_sub_f32 v5, v8, v7 :: v_dual_add_f32 v2, v3, v2
	s_delay_alu instid0(VALU_DEP_1) | instskip(NEXT) | instid1(VALU_DEP_1)
	v_sub_f32_e32 v3, v4, v5
	v_add_f32_e32 v2, v2, v3
	s_delay_alu instid0(VALU_DEP_1) | instskip(NEXT) | instid1(VALU_DEP_1)
	v_add_f32_e32 v2, v8, v2
	v_cndmask_b32_e32 v2, v2, v1, vcc_lo
	v_cmp_ngt_f32_e32 vcc_lo, -1.0, v1
	s_delay_alu instid0(VALU_DEP_2) | instskip(SKIP_1) | instid1(VALU_DEP_2)
	v_cndmask_b32_e32 v2, 0x7fc00000, v2, vcc_lo
	v_cmp_neq_f32_e32 vcc_lo, -1.0, v1
	v_cndmask_b32_e32 v2, 0xff800000, v2, vcc_lo
	v_cmp_gt_f32_e64 vcc_lo, 0x33800000, |v1|
	s_delay_alu instid0(VALU_DEP_2) | instskip(NEXT) | instid1(VALU_DEP_1)
	v_cndmask_b32_e32 v2, v2, v1, vcc_lo
	v_sub_f32_e32 v1, v2, v1
	s_delay_alu instid0(VALU_DEP_1) | instskip(NEXT) | instid1(VALU_DEP_1)
	v_mul_f32_e32 v1, -2.0, v1
	v_mul_f32_e32 v2, 0x4f800000, v1
	v_cmp_gt_f32_e32 vcc_lo, 0xf800000, v1
	s_delay_alu instid0(VALU_DEP_2) | instskip(NEXT) | instid1(VALU_DEP_1)
	v_cndmask_b32_e32 v1, v1, v2, vcc_lo
	v_sqrt_f32_e32 v2, v1
	s_waitcnt_depctr 0xfff
	v_add_nc_u32_e32 v3, -1, v2
	v_add_nc_u32_e32 v4, 1, v2
	s_delay_alu instid0(VALU_DEP_2) | instskip(NEXT) | instid1(VALU_DEP_2)
	v_fma_f32 v5, -v3, v2, v1
	v_fma_f32 v6, -v4, v2, v1
	s_delay_alu instid0(VALU_DEP_2) | instskip(NEXT) | instid1(VALU_DEP_1)
	v_cmp_ge_f32_e64 s1, 0, v5
	v_cndmask_b32_e64 v2, v2, v3, s1
	s_delay_alu instid0(VALU_DEP_3) | instskip(NEXT) | instid1(VALU_DEP_1)
	v_cmp_lt_f32_e64 s1, 0, v6
	v_cndmask_b32_e64 v2, v2, v4, s1
	s_delay_alu instid0(VALU_DEP_1) | instskip(NEXT) | instid1(VALU_DEP_1)
	v_mul_f32_e32 v3, 0x37800000, v2
	v_cndmask_b32_e32 v2, v2, v3, vcc_lo
	v_cmp_class_f32_e64 vcc_lo, v1, 0x260
	s_delay_alu instid0(VALU_DEP_2)
	v_cndmask_b32_e32 v3, v2, v1, vcc_lo
.LBB13_6:
	s_or_b32 exec_lo, exec_lo, s2
	v_or_b32_e64 v2, 4, s32
	v_dual_mov_b32 v5, 1.0 :: v_dual_mov_b32 v6, 0x7f800000
	v_dual_mov_b32 v1, 0 :: v_dual_mov_b32 v4, 0
	s_mov_b32 s1, 0
	s_mov_b32 s10, 0
	s_getpc_b64 s[2:3]
	s_add_u32 s2, s2, __const._ZN12_GLOBAL__N_130_igam_helper_asymptotic_seriesIfEET_S1_S1_b.d@rel32@lo+8
	s_addc_u32 s3, s3, __const._ZN12_GLOBAL__N_130_igam_helper_asymptotic_seriesIfEET_S1_S1_b.d@rel32@hi+16
	s_getpc_b64 s[4:5]
	s_add_u32 s4, s4, __const._ZN12_GLOBAL__N_130_igam_helper_asymptotic_seriesIfEET_S1_S1_b.d@rel32@lo+108
	s_addc_u32 s5, s5, __const._ZN12_GLOBAL__N_130_igam_helper_asymptotic_seriesIfEET_S1_S1_b.d@rel32@hi+116
	s_branch .LBB13_11
.LBB13_7:                               ;   in Loop: Header=BB13_11 Depth=1
	s_mov_b32 s7, -1
                                        ; implicit-def: $vgpr4
                                        ; implicit-def: $sgpr10
                                        ; implicit-def: $vgpr6
                                        ; implicit-def: $vgpr5
                                        ; implicit-def: $sgpr2_sgpr3
                                        ; implicit-def: $sgpr4_sgpr5
.LBB13_8:                               ;   in Loop: Header=BB13_11 Depth=1
	s_delay_alu instid0(SALU_CYCLE_1)
	s_or_not1_b32 s11, s7, exec_lo
.LBB13_9:                               ;   in Loop: Header=BB13_11 Depth=1
	s_or_b32 exec_lo, exec_lo, s9
	s_delay_alu instid0(SALU_CYCLE_1)
	s_or_not1_b32 s9, s11, exec_lo
.LBB13_10:                              ;   in Loop: Header=BB13_11 Depth=1
	s_or_b32 exec_lo, exec_lo, s8
	s_delay_alu instid0(SALU_CYCLE_1) | instskip(NEXT) | instid1(SALU_CYCLE_1)
	s_and_b32 s6, exec_lo, s9
	s_or_b32 s1, s6, s1
	s_delay_alu instid0(SALU_CYCLE_1)
	s_and_not1_b32 exec_lo, exec_lo, s1
	s_cbranch_execz .LBB13_31
.LBB13_11:                              ; =>This Loop Header: Depth=1
                                        ;     Child Loop BB13_13 Depth 2
                                        ;     Child Loop BB13_22 Depth 2
	s_mul_i32 s8, s10, 0x64
	s_getpc_b64 s[6:7]
	s_add_u32 s6, s6, __const._ZN12_GLOBAL__N_130_igam_helper_asymptotic_seriesIfEET_S1_S1_b.d@rel32@lo+4
	s_addc_u32 s7, s7, __const._ZN12_GLOBAL__N_130_igam_helper_asymptotic_seriesIfEET_S1_S1_b.d@rel32@hi+12
	s_mul_hi_u32 s9, s10, 0x64
	s_add_u32 s6, s8, s6
	s_addc_u32 s7, s9, s7
	s_mov_b32 s11, 0
	s_load_b32 s8, s[6:7], 0x0
	s_mov_b32 s12, 1
	s_waitcnt lgkmcnt(0)
	v_dual_mov_b32 v8, v2 :: v_dual_mov_b32 v7, s8
	s_mov_b64 s[8:9], s[2:3]
	s_set_inst_prefetch_distance 0x1
	s_branch .LBB13_13
	.p2align	6
.LBB13_12:                              ;   in Loop: Header=BB13_13 Depth=2
	s_or_b32 exec_lo, exec_lo, s13
	s_load_b32 s13, s[8:9], 0x0
	s_waitcnt vmcnt(0) lgkmcnt(0)
	v_dual_fmac_f32 v7, s13, v9 :: v_dual_add_nc_u32 v8, 4, v8
	v_mul_f32_e32 v9, s13, v9
	s_add_i32 s13, s12, 1
	s_cmp_gt_u32 s12, 23
	s_cselect_b32 s12, -1, 0
	v_mul_f32_e64 v10, 0x33800000, |v7|
	s_delay_alu instid0(VALU_DEP_1) | instskip(NEXT) | instid1(VALU_DEP_1)
	v_cmp_lt_f32_e64 s14, |v9|, v10
	s_or_b32 s12, s14, s12
	s_add_u32 s8, s8, 4
	s_addc_u32 s9, s9, 0
	s_and_b32 s12, exec_lo, s12
	s_delay_alu instid0(SALU_CYCLE_1)
	s_or_b32 s11, s12, s11
	s_mov_b32 s12, s13
	s_and_not1_b32 exec_lo, exec_lo, s11
	s_cbranch_execz .LBB13_17
.LBB13_13:                              ;   Parent Loop BB13_11 Depth=1
                                        ; =>  This Inner Loop Header: Depth=2
	s_mov_b32 s13, exec_lo
                                        ; implicit-def: $vgpr9
	v_cmpx_le_i32_e64 s12, v4
	s_xor_b32 s13, exec_lo, s13
	s_cbranch_execz .LBB13_15
; %bb.14:                               ;   in Loop: Header=BB13_13 Depth=2
	scratch_load_b32 v9, v8, off
.LBB13_15:                              ;   in Loop: Header=BB13_13 Depth=2
	s_and_not1_saveexec_b32 s13, s13
	s_cbranch_execz .LBB13_12
; %bb.16:                               ;   in Loop: Header=BB13_13 Depth=2
	scratch_load_b32 v9, v8, off offset:-4
	s_waitcnt vmcnt(0)
	v_dual_mul_f32 v9, v3, v9 :: v_dual_add_nc_u32 v4, 1, v4
	scratch_store_b32 v8, v9, off
	s_branch .LBB13_12
.LBB13_17:                              ;   in Loop: Header=BB13_11 Depth=1
	s_set_inst_prefetch_distance 0x2
	s_or_b32 exec_lo, exec_lo, s11
	v_mul_f32_e32 v7, v5, v7
	s_mov_b32 s9, -1
	s_delay_alu instid0(VALU_DEP_1) | instskip(NEXT) | instid1(VALU_DEP_1)
	v_cmp_ngt_f32_e64 s11, |v7|, v6
                                        ; implicit-def: $vgpr6
	s_and_saveexec_b32 s8, s11
	s_cbranch_execz .LBB13_10
; %bb.18:                               ;   in Loop: Header=BB13_11 Depth=1
	v_add_f32_e32 v1, v1, v7
	s_mov_b32 s11, -1
	s_delay_alu instid0(VALU_DEP_1) | instskip(NEXT) | instid1(VALU_DEP_1)
	v_mul_f32_e64 v6, 0x33800000, |v1|
	v_cmp_nlt_f32_e64 s12, |v7|, v6
                                        ; implicit-def: $vgpr6
	s_delay_alu instid0(VALU_DEP_1)
	s_and_saveexec_b32 s9, s12
	s_cbranch_execz .LBB13_9
; %bb.19:                               ;   in Loop: Header=BB13_11 Depth=1
	s_cmp_lg_u32 s10, 24
	s_cbranch_scc0 .LBB13_7
; %bb.20:                               ;   in Loop: Header=BB13_11 Depth=1
	s_load_b32 s6, s[6:7], 0x64
	v_mov_b32_e32 v8, v2
	s_mov_b32 s12, 1
	s_mov_b32 s11, 0
	s_waitcnt lgkmcnt(0)
	v_mov_b32_e32 v6, s6
	s_mov_b64 s[6:7], s[4:5]
	s_set_inst_prefetch_distance 0x1
	s_branch .LBB13_22
	.p2align	6
.LBB13_21:                              ;   in Loop: Header=BB13_22 Depth=2
	s_or_b32 exec_lo, exec_lo, s13
	s_load_b32 s13, s[6:7], 0x0
	v_add_nc_u32_e32 v8, 4, v8
	s_waitcnt vmcnt(0) lgkmcnt(0)
	v_fmac_f32_e32 v6, s13, v9
	v_mul_f32_e32 v9, s13, v9
	s_add_i32 s13, s12, 1
	s_cmp_gt_u32 s12, 23
	s_cselect_b32 s12, -1, 0
	v_mul_f32_e64 v10, 0x33800000, |v6|
	s_delay_alu instid0(VALU_DEP_1) | instskip(NEXT) | instid1(VALU_DEP_1)
	v_cmp_lt_f32_e64 s14, |v9|, v10
	s_or_b32 s12, s14, s12
	s_add_u32 s6, s6, 4
	s_addc_u32 s7, s7, 0
	s_and_b32 s12, exec_lo, s12
	s_delay_alu instid0(SALU_CYCLE_1)
	s_or_b32 s11, s12, s11
	s_mov_b32 s12, s13
	s_and_not1_b32 exec_lo, exec_lo, s11
	s_cbranch_execz .LBB13_26
.LBB13_22:                              ;   Parent Loop BB13_11 Depth=1
                                        ; =>  This Inner Loop Header: Depth=2
	s_mov_b32 s13, exec_lo
                                        ; implicit-def: $vgpr9
	v_cmpx_le_i32_e64 s12, v4
	s_xor_b32 s13, exec_lo, s13
	s_cbranch_execz .LBB13_24
; %bb.23:                               ;   in Loop: Header=BB13_22 Depth=2
	scratch_load_b32 v9, v8, off
.LBB13_24:                              ;   in Loop: Header=BB13_22 Depth=2
	s_and_not1_saveexec_b32 s13, s13
	s_cbranch_execz .LBB13_21
; %bb.25:                               ;   in Loop: Header=BB13_22 Depth=2
	scratch_load_b32 v9, v8, off offset:-4
	s_waitcnt vmcnt(0)
	v_dual_mul_f32 v9, v3, v9 :: v_dual_add_nc_u32 v4, 1, v4
	scratch_store_b32 v8, v9, off
	s_branch .LBB13_21
.LBB13_26:                              ;   in Loop: Header=BB13_11 Depth=1
	s_set_inst_prefetch_distance 0x2
	s_or_b32 exec_lo, exec_lo, s11
	v_div_scale_f32 v8, null, v0, v0, v5
	s_mov_b32 s7, -1
	s_mov_b32 s6, exec_lo
	s_delay_alu instid0(VALU_DEP_1) | instskip(SKIP_2) | instid1(VALU_DEP_1)
	v_rcp_f32_e32 v9, v8
	s_waitcnt_depctr 0xfff
	v_fma_f32 v10, -v8, v9, 1.0
	v_fmac_f32_e32 v9, v10, v9
	v_div_scale_f32 v10, vcc_lo, v5, v0, v5
	s_delay_alu instid0(VALU_DEP_1) | instskip(NEXT) | instid1(VALU_DEP_1)
	v_mul_f32_e32 v11, v10, v9
	v_fma_f32 v12, -v8, v11, v10
	s_delay_alu instid0(VALU_DEP_1) | instskip(NEXT) | instid1(VALU_DEP_1)
	v_fmac_f32_e32 v11, v12, v9
	v_fma_f32 v8, -v8, v11, v10
	s_delay_alu instid0(VALU_DEP_1) | instskip(NEXT) | instid1(VALU_DEP_1)
	v_div_fmas_f32 v8, v8, v9, v11
	v_div_fixup_f32 v8, v8, v0, v5
                                        ; implicit-def: $vgpr5
	s_delay_alu instid0(VALU_DEP_1) | instskip(NEXT) | instid1(VALU_DEP_1)
	v_mul_f32_e32 v9, v8, v6
                                        ; implicit-def: $vgpr6
	v_cmpx_ngt_f32_e64 |v9|, |v7|
	s_cbranch_execz .LBB13_30
; %bb.27:                               ;   in Loop: Header=BB13_11 Depth=1
	v_add_f32_e32 v1, v1, v9
	s_mov_b32 s11, -1
                                        ; implicit-def: $vgpr6
	s_delay_alu instid0(VALU_DEP_1) | instskip(NEXT) | instid1(VALU_DEP_1)
	v_mul_f32_e64 v5, 0x33800000, |v1|
	v_cmp_nlt_f32_e64 s12, |v9|, v5
                                        ; implicit-def: $vgpr5
	s_delay_alu instid0(VALU_DEP_1)
	s_and_saveexec_b32 s7, s12
	s_cbranch_execz .LBB13_29
; %bb.28:                               ;   in Loop: Header=BB13_11 Depth=1
	v_div_scale_f32 v5, null, v0, v0, v8
	v_div_scale_f32 v10, vcc_lo, v8, v0, v8
	s_add_i32 s10, s10, 2
	s_delay_alu instid0(VALU_DEP_2)
	v_rcp_f32_e32 v6, v5
	s_add_u32 s2, s2, 0xc8
	s_addc_u32 s3, s3, 0
	s_add_u32 s4, s4, 0xc8
	s_addc_u32 s5, s5, 0
	s_xor_b32 s11, exec_lo, -1
	s_waitcnt_depctr 0xfff
	v_fma_f32 v7, -v5, v6, 1.0
	s_delay_alu instid0(VALU_DEP_1) | instskip(NEXT) | instid1(VALU_DEP_1)
	v_fmac_f32_e32 v6, v7, v6
	v_mul_f32_e32 v7, v10, v6
	s_delay_alu instid0(VALU_DEP_1) | instskip(NEXT) | instid1(VALU_DEP_1)
	v_fma_f32 v11, -v5, v7, v10
	v_fmac_f32_e32 v7, v11, v6
	s_delay_alu instid0(VALU_DEP_1) | instskip(NEXT) | instid1(VALU_DEP_1)
	v_fma_f32 v5, -v5, v7, v10
	v_div_fmas_f32 v5, v5, v6, v7
	v_and_b32_e32 v6, 0x7fffffff, v9
	s_delay_alu instid0(VALU_DEP_2)
	v_div_fixup_f32 v5, v5, v0, v8
.LBB13_29:                              ;   in Loop: Header=BB13_11 Depth=1
	s_or_b32 exec_lo, exec_lo, s7
	s_delay_alu instid0(SALU_CYCLE_1)
	s_or_not1_b32 s7, s11, exec_lo
.LBB13_30:                              ;   in Loop: Header=BB13_11 Depth=1
	s_or_b32 exec_lo, exec_lo, s6
	s_branch .LBB13_8
.LBB13_31:
	s_or_b32 exec_lo, exec_lo, s1
	v_cvt_f64_f32_e32 v[4:5], v0
	v_cvt_f64_f32_e32 v[6:7], v3
	s_mov_b32 s2, 0x652b82fe
	s_mov_b32 s3, 0x3ff71547
	;; [unrolled: 1-line block ×4, first 2 shown]
	v_mul_f32_e32 v0, 0.5, v0
	s_delay_alu instid0(VALU_DEP_3) | instskip(NEXT) | instid1(VALU_DEP_1)
	v_mul_f64 v[8:9], v[4:5], -0.5
	v_mul_f64 v[8:9], v[8:9], v[6:7]
	s_delay_alu instid0(VALU_DEP_1) | instskip(NEXT) | instid1(VALU_DEP_1)
	v_mul_f64 v[6:7], v[8:9], v[6:7]
	v_mul_f64 v[8:9], v[6:7], s[2:3]
	s_mov_b32 s2, 0xfefa39ef
	s_mov_b32 s3, 0xbfe62e42
	v_cmp_nlt_f64_e64 s1, 0x40900000, v[6:7]
	s_delay_alu instid0(VALU_DEP_2) | instskip(NEXT) | instid1(VALU_DEP_1)
	v_rndne_f64_e32 v[8:9], v[8:9]
	v_fma_f64 v[10:11], v[8:9], s[2:3], v[6:7]
	s_mov_b32 s2, 0x3b39803f
	s_mov_b32 s3, 0xbc7abc9e
	s_delay_alu instid0(VALU_DEP_1) | instid1(SALU_CYCLE_1)
	v_fma_f64 v[10:11], v[8:9], s[2:3], v[10:11]
	s_mov_b32 s2, 0xfca7ab0c
	s_mov_b32 s3, 0x3e928af3
	s_delay_alu instid0(VALU_DEP_1) | instid1(SALU_CYCLE_1)
	;; [unrolled: 4-line block ×5, first 2 shown]
	v_fma_f64 v[12:13], v[10:11], v[12:13], s[2:3]
	s_mov_b32 s2, 0x54411744
	s_mov_b32 s3, 0x401921fb
	s_delay_alu instid0(SALU_CYCLE_1)
	v_mul_f64 v[4:5], v[4:5], s[2:3]
	s_mov_b32 s2, 0x1852b7b0
	s_mov_b32 s3, 0x3f56c16c
	s_delay_alu instid0(VALU_DEP_2) | instid1(SALU_CYCLE_1)
	v_fma_f64 v[12:13], v[10:11], v[12:13], s[2:3]
	s_mov_b32 s2, 0x11122322
	s_mov_b32 s3, 0x3f811111
	s_delay_alu instid0(VALU_DEP_2) | instskip(NEXT) | instid1(VALU_DEP_2)
	v_cmp_gt_f64_e32 vcc_lo, 0x10000000, v[4:5]
	v_fma_f64 v[12:13], v[10:11], v[12:13], s[2:3]
	s_mov_b32 s2, 0x555502a1
	s_mov_b32 s3, 0x3fa55555
	v_cndmask_b32_e64 v2, 0, 1, vcc_lo
	s_delay_alu instid0(VALU_DEP_1) | instskip(NEXT) | instid1(VALU_DEP_1)
	v_lshlrev_b32_e32 v2, 8, v2
	v_ldexp_f64 v[4:5], v[4:5], v2
	v_cvt_i32_f64_e32 v2, v[8:9]
	v_fma_f64 v[12:13], v[10:11], v[12:13], s[2:3]
	s_mov_b32 s2, 0x55555511
	s_mov_b32 s3, 0x3fc55555
	s_delay_alu instid0(VALU_DEP_3) | instskip(NEXT) | instid1(VALU_DEP_1)
	v_rsq_f64_e32 v[14:15], v[4:5]
	v_fma_f64 v[12:13], v[10:11], v[12:13], s[2:3]
	s_mov_b32 s2, 11
	s_mov_b32 s3, 0x3fe00000
	s_waitcnt_depctr 0xfff
	v_mul_f64 v[16:17], v[4:5], v[14:15]
	v_mul_f64 v[14:15], v[14:15], 0.5
	v_fma_f64 v[12:13], v[10:11], v[12:13], s[2:3]
	v_cmp_ngt_f64_e64 s2, 0xc090cc00, v[6:7]
	s_delay_alu instid0(VALU_DEP_3) | instskip(NEXT) | instid1(VALU_DEP_3)
	v_fma_f64 v[18:19], -v[14:15], v[16:17], 0.5
	v_fma_f64 v[12:13], v[10:11], v[12:13], 1.0
	s_delay_alu instid0(VALU_DEP_2) | instskip(SKIP_1) | instid1(VALU_DEP_3)
	v_fma_f64 v[16:17], v[16:17], v[18:19], v[16:17]
	v_fma_f64 v[14:15], v[14:15], v[18:19], v[14:15]
	v_fma_f64 v[8:9], v[10:11], v[12:13], 1.0
	s_delay_alu instid0(VALU_DEP_3) | instskip(NEXT) | instid1(VALU_DEP_2)
	v_fma_f64 v[18:19], -v[16:17], v[16:17], v[4:5]
	v_ldexp_f64 v[8:9], v[8:9], v2
	s_delay_alu instid0(VALU_DEP_2) | instskip(SKIP_2) | instid1(VALU_DEP_1)
	v_fma_f64 v[10:11], v[18:19], v[14:15], v[16:17]
	v_cndmask_b32_e64 v16, 1, -1, s0
	s_and_b32 s0, s2, s1
	v_cvt_f64_i32_e32 v[6:7], v16
	s_delay_alu instid0(VALU_DEP_4) | instskip(SKIP_1) | instid1(VALU_DEP_4)
	v_cndmask_b32_e64 v2, 0x7ff00000, v9, s1
	s_mov_b32 s1, 0xb9d6f8c4
	v_fma_f64 v[12:13], -v[10:11], v[10:11], v[4:5]
	s_delay_alu instid0(VALU_DEP_1) | instskip(NEXT) | instid1(VALU_DEP_3)
	v_fma_f64 v[9:10], v[12:13], v[14:15], v[10:11]
	v_cndmask_b32_e64 v12, 0, v2, s2
	v_cndmask_b32_e64 v11, 0, v8, s0
	v_cvt_f64_f32_e32 v[1:2], v1
	v_cndmask_b32_e64 v8, 0, 0xffffff80, vcc_lo
	v_cmp_class_f64_e64 vcc_lo, v[4:5], 0x260
	s_delay_alu instid0(VALU_DEP_4) | instskip(SKIP_1) | instid1(VALU_DEP_4)
	v_mul_f64 v[6:7], v[11:12], v[6:7]
	v_mul_f32_e32 v12, 0x4f800000, v0
	v_ldexp_f64 v[8:9], v[9:10], v8
	s_delay_alu instid0(VALU_DEP_3) | instskip(NEXT) | instid1(VALU_DEP_2)
	v_mul_f64 v[1:2], v[6:7], v[1:2]
	v_dual_cndmask_b32 v5, v9, v5 :: v_dual_cndmask_b32 v4, v8, v4
	v_cmp_gt_f32_e32 vcc_lo, 0xf800000, v0
	s_delay_alu instid0(VALU_DEP_2) | instskip(SKIP_1) | instid1(VALU_DEP_1)
	v_div_scale_f64 v[6:7], null, v[4:5], v[4:5], v[1:2]
	v_cndmask_b32_e32 v0, v0, v12, vcc_lo
	v_sqrt_f32_e32 v12, v0
	s_waitcnt_depctr 0xfff
	v_add_nc_u32_e32 v13, -1, v12
	v_add_nc_u32_e32 v14, 1, v12
	s_delay_alu instid0(VALU_DEP_2) | instskip(NEXT) | instid1(VALU_DEP_2)
	v_fma_f32 v15, -v13, v12, v0
	v_fma_f32 v17, -v14, v12, v0
	s_delay_alu instid0(VALU_DEP_2) | instskip(NEXT) | instid1(VALU_DEP_1)
	v_cmp_ge_f32_e64 s0, 0, v15
	v_cndmask_b32_e64 v12, v12, v13, s0
	s_delay_alu instid0(VALU_DEP_3) | instskip(SKIP_1) | instid1(VALU_DEP_1)
	v_cmp_lt_f32_e64 s0, 0, v17
	v_rcp_f64_e32 v[8:9], v[6:7]
	v_cndmask_b32_e64 v14, v12, v14, s0
	s_waitcnt_depctr 0xfff
	v_fma_f64 v[10:11], -v[6:7], v[8:9], 1.0
	s_delay_alu instid0(VALU_DEP_1) | instskip(NEXT) | instid1(VALU_DEP_1)
	v_fma_f64 v[8:9], v[8:9], v[10:11], v[8:9]
	v_fma_f64 v[10:11], -v[6:7], v[8:9], 1.0
	s_delay_alu instid0(VALU_DEP_1) | instskip(SKIP_1) | instid1(VALU_DEP_1)
	v_fma_f64 v[8:9], v[8:9], v[10:11], v[8:9]
	v_cvt_f32_i32_e32 v11, v16
	v_dual_mul_f32 v10, 0x37800000, v14 :: v_dual_mul_f32 v3, v3, v11
	v_div_scale_f64 v[12:13], s0, v[1:2], v[4:5], v[1:2]
	s_delay_alu instid0(VALU_DEP_2) | instskip(SKIP_1) | instid1(VALU_DEP_2)
	v_cndmask_b32_e32 v10, v14, v10, vcc_lo
	v_cmp_class_f32_e64 vcc_lo, v0, 0x260
	v_cndmask_b32_e32 v0, v10, v0, vcc_lo
	s_delay_alu instid0(VALU_DEP_1) | instskip(NEXT) | instid1(VALU_DEP_1)
	v_mul_f32_e32 v0, v0, v3
	v_add_f32_e64 v3, |v0|, 2.0
	v_add_f32_e64 v10, |v0|, -2.0
	s_delay_alu instid0(VALU_DEP_2) | instskip(SKIP_3) | instid1(VALU_DEP_2)
	v_rcp_f32_e32 v3, v3
	s_waitcnt_depctr 0xfff
	v_mul_f32_e32 v14, v10, v3
	v_mul_f64 v[10:11], v[12:13], v[8:9]
	v_add_f32_e32 v15, 1.0, v14
	s_delay_alu instid0(VALU_DEP_1) | instskip(NEXT) | instid1(VALU_DEP_1)
	v_fma_f32 v15, v15, -2.0, |v0|
	v_fma_f32 v15, -v14, |v0|, v15
	s_delay_alu instid0(VALU_DEP_1) | instskip(NEXT) | instid1(VALU_DEP_1)
	v_fmac_f32_e32 v14, v3, v15
	v_fmaak_f32 v3, s1, v14, 0xbaa2d753
	v_mul_f32_e64 v15, v0, -v0
	v_add_f32_e64 v17, |v0|, |v0|
	s_delay_alu instid0(VALU_DEP_3) | instskip(NEXT) | instid1(VALU_DEP_3)
	v_fmaak_f32 v3, v14, v3, 0x3aad2fb4
	v_mul_f32_e32 v16, 0x3fb8aa3b, v15
	v_cmp_ngt_f32_e32 vcc_lo, 0xc2ce8ed0, v15
	s_delay_alu instid0(VALU_DEP_4) | instskip(SKIP_1) | instid1(VALU_DEP_4)
	v_add_f32_e32 v18, 1.0, v17
	v_fma_f64 v[6:7], -v[6:7], v[10:11], v[12:13]
	v_fma_f32 v12, 0x3fb8aa3b, v15, -v16
	v_rndne_f32_e32 v13, v16
	v_fmaak_f32 v3, v14, v3, 0x3c0da267
	s_delay_alu instid0(VALU_DEP_3) | instskip(NEXT) | instid1(VALU_DEP_2)
	v_fmamk_f32 v12, v15, 0x32a5705f, v12
	v_dual_sub_f32 v16, v16, v13 :: v_dual_fmaak_f32 v3, v14, v3, 0xbc0415b1
	v_cvt_i32_f32_e32 v13, v13
	s_delay_alu instid0(VALU_DEP_2) | instskip(SKIP_1) | instid1(VALU_DEP_1)
	v_dual_add_f32 v12, v16, v12 :: v_dual_fmaak_f32 v3, v14, v3, 0xbd5e0a18
	v_rcp_f32_e32 v16, v18
	v_exp_f32_e32 v12, v12
	s_waitcnt_depctr 0xfff
	v_ldexp_f32 v12, v12, v13
	s_delay_alu instid0(VALU_DEP_1) | instskip(NEXT) | instid1(VALU_DEP_1)
	v_dual_fmaak_f32 v3, v14, v3, 0x3e27fe2a :: v_dual_cndmask_b32 v12, 0, v12
	v_fmaak_f32 v3, v14, v3, 0xbe2a03fd
	s_mov_b32 vcc_lo, s0
	s_delay_alu instid0(VALU_DEP_1) | instskip(SKIP_3) | instid1(VALU_DEP_4)
	v_fmaak_f32 v3, v14, v3, 0xbdbdfb0b
	v_div_fmas_f64 v[6:7], v[6:7], v[8:9], v[10:11]
	v_cmp_nlt_f32_e32 vcc_lo, 0x42b17218, v15
	v_fma_f32 v8, -v0, v0, -v15
	v_fmaak_f32 v3, v14, v3, 0x3e8dd01c
	v_cndmask_b32_e32 v9, 0x7f800000, v12, vcc_lo
	v_cmp_nlt_f32_e64 vcc_lo, 0x4120ddfc, |v0|
	s_delay_alu instid0(VALU_DEP_3) | instskip(NEXT) | instid1(VALU_DEP_3)
	v_fma_f32 v13, v3, v16, v16
	v_fmac_f32_e32 v9, v9, v8
	s_delay_alu instid0(VALU_DEP_2) | instskip(SKIP_1) | instid1(VALU_DEP_1)
	v_fma_f32 v14, -v13, v17, 1.0
	v_sub_f32_e32 v3, v3, v13
	v_add_f32_e32 v3, v14, v3
	s_delay_alu instid0(VALU_DEP_1) | instskip(NEXT) | instid1(VALU_DEP_1)
	v_fmac_f32_e32 v13, v16, v3
	v_mul_f32_e32 v3, v9, v13
	s_delay_alu instid0(VALU_DEP_1) | instskip(SKIP_1) | instid1(VALU_DEP_2)
	v_cndmask_b32_e32 v3, 0, v3, vcc_lo
	v_cmp_gt_f32_e32 vcc_lo, 0, v0
	v_sub_f32_e32 v8, 2.0, v3
	s_delay_alu instid0(VALU_DEP_1) | instskip(NEXT) | instid1(VALU_DEP_1)
	v_cndmask_b32_e32 v0, v3, v8, vcc_lo
	v_mul_f32_e32 v3, 0.5, v0
	v_div_fixup_f64 v[0:1], v[6:7], v[4:5], v[1:2]
	s_delay_alu instid0(VALU_DEP_2) | instskip(NEXT) | instid1(VALU_DEP_1)
	v_cvt_f64_f32_e32 v[2:3], v3
	v_add_f64 v[0:1], v[0:1], v[2:3]
	s_delay_alu instid0(VALU_DEP_1)
	v_cvt_f32_f64_e32 v0, v[0:1]
	s_setpc_b64 s[30:31]
.Lfunc_end13:
	.size	_ZN12_GLOBAL__N_130_igam_helper_asymptotic_seriesIfEET_S1_S1_b, .Lfunc_end13-_ZN12_GLOBAL__N_130_igam_helper_asymptotic_seriesIfEET_S1_S1_b
                                        ; -- End function
	.section	.AMDGPU.csdata,"",@progbits
; Function info:
; codeLenInByte = 4428
; NumSgprs: 35
; NumVgprs: 20
; ScratchSize: 112
; MemoryBound: 0
	.text
	.p2align	2                               ; -- Begin function _ZN12_GLOBAL__N_116_igam_helper_facIfEET_S1_S1_
	.type	_ZN12_GLOBAL__N_116_igam_helper_facIfEET_S1_S1_,@function
_ZN12_GLOBAL__N_116_igam_helper_facIfEET_S1_S1_: ; @_ZN12_GLOBAL__N_116_igam_helper_facIfEET_S1_S1_
; %bb.0:
	s_waitcnt vmcnt(0) expcnt(0) lgkmcnt(0)
	v_cvt_f64_f32_e64 v[2:3], |v0|
	v_sub_f32_e32 v8, v0, v1
	s_mov_b32 s0, 0x9999999a
	s_mov_b32 s1, 0x3fd99999
	s_delay_alu instid0(VALU_DEP_1) | instskip(NEXT) | instid1(VALU_DEP_3)
	v_cvt_f64_f32_e64 v[4:5], |v8|
	v_mul_f64 v[2:3], v[2:3], s[0:1]
	s_delay_alu instid0(VALU_DEP_1) | instskip(SKIP_1) | instid1(SALU_CYCLE_1)
	v_cmp_nlt_f64_e32 vcc_lo, v[2:3], v[4:5]
                                        ; implicit-def: $vgpr2
	s_and_saveexec_b32 s0, vcc_lo
	s_xor_b32 s4, exec_lo, s0
	s_cbranch_execnz .LBB14_3
; %bb.1:
	s_and_not1_saveexec_b32 s2, s4
	s_cbranch_execnz .LBB14_12
.LBB14_2:
	s_or_b32 exec_lo, exec_lo, s2
	s_delay_alu instid0(VALU_DEP_1)
	v_mov_b32_e32 v0, v2
	s_setpc_b64 s[30:31]
.LBB14_3:
	s_getpc_b64 s[2:3]
	s_add_u32 s2, s2, __const._ZN12_GLOBAL__N_123lanczos_sum_expg_scaledIfEET_S1_.lanczos_sum_expg_scaled_denom@rel32@lo+4
	s_addc_u32 s3, s3, __const._ZN12_GLOBAL__N_123lanczos_sum_expg_scaledIfEET_S1_.lanczos_sum_expg_scaled_denom@rel32@hi+12
	s_getpc_b64 s[6:7]
	s_add_u32 s6, s6, __const._ZN12_GLOBAL__N_123lanczos_sum_expg_scaledIfEET_S1_.lanczos_sum_expg_scaled_num@rel32@lo+4
	s_addc_u32 s7, s7, __const._ZN12_GLOBAL__N_123lanczos_sum_expg_scaledIfEET_S1_.lanczos_sum_expg_scaled_num@rel32@hi+12
	v_mov_b32_e32 v6, 1
	v_dual_mov_b32 v7, 0 :: v_dual_mov_b32 v2, s2
	v_cmp_gt_f32_e64 s0, |v0|, 1.0
	v_dual_mov_b32 v3, s3 :: v_dual_mov_b32 v4, s6
	v_mov_b32_e32 v5, s7
	v_mov_b32_e32 v9, v0
	s_delay_alu instid0(VALU_DEP_4)
	s_and_saveexec_b32 s1, s0
	s_cbranch_execz .LBB14_5
; %bb.4:
	v_div_scale_f32 v2, null, v0, v0, 1.0
	v_div_scale_f32 v5, vcc_lo, 1.0, v0, 1.0
	s_getpc_b64 s[2:3]
	s_add_u32 s2, s2, __const._ZN12_GLOBAL__N_123lanczos_sum_expg_scaledIfEET_S1_.lanczos_sum_expg_scaled_denom@rel32@lo+52
	s_addc_u32 s3, s3, __const._ZN12_GLOBAL__N_123lanczos_sum_expg_scaledIfEET_S1_.lanczos_sum_expg_scaled_denom@rel32@hi+60
	v_rcp_f32_e32 v3, v2
	s_getpc_b64 s[6:7]
	s_add_u32 s6, s6, __const._ZN12_GLOBAL__N_123lanczos_sum_expg_scaledIfEET_S1_.lanczos_sum_expg_scaled_num@rel32@lo+52
	s_addc_u32 s7, s7, __const._ZN12_GLOBAL__N_123lanczos_sum_expg_scaledIfEET_S1_.lanczos_sum_expg_scaled_num@rel32@hi+60
	s_waitcnt_depctr 0xfff
	v_fma_f32 v4, -v2, v3, 1.0
	s_delay_alu instid0(VALU_DEP_1) | instskip(NEXT) | instid1(VALU_DEP_1)
	v_fmac_f32_e32 v3, v4, v3
	v_mul_f32_e32 v4, v5, v3
	s_delay_alu instid0(VALU_DEP_1) | instskip(NEXT) | instid1(VALU_DEP_1)
	v_fma_f32 v6, -v2, v4, v5
	v_fmac_f32_e32 v4, v6, v3
	v_mov_b32_e32 v6, -1
	v_mov_b32_e32 v7, -1
	s_delay_alu instid0(VALU_DEP_3) | instskip(NEXT) | instid1(VALU_DEP_1)
	v_fma_f32 v2, -v2, v4, v5
	v_div_fmas_f32 v4, v2, v3, v4
	v_dual_mov_b32 v2, s2 :: v_dual_mov_b32 v3, s3
	s_delay_alu instid0(VALU_DEP_2)
	v_div_fixup_f32 v9, v4, v0, 1.0
	v_dual_mov_b32 v4, s6 :: v_dual_mov_b32 v5, s7
.LBB14_5:
	s_or_b32 exec_lo, exec_lo, s1
	v_lshlrev_b64 v[18:19], 2, v[6:7]
	global_load_b32 v34, v[4:5], off
	v_add_co_u32 v6, vcc_lo, v4, v18
	v_add_co_ci_u32_e32 v7, vcc_lo, v5, v19, vcc_lo
	s_delay_alu instid0(VALU_DEP_2) | instskip(NEXT) | instid1(VALU_DEP_2)
	v_add_co_u32 v10, vcc_lo, v6, v18
	v_add_co_ci_u32_e32 v11, vcc_lo, v7, v19, vcc_lo
	s_delay_alu instid0(VALU_DEP_2) | instskip(NEXT) | instid1(VALU_DEP_2)
	;; [unrolled: 3-line block ×6, first 2 shown]
	v_add_co_u32 v4, vcc_lo, v20, v18
	v_add_co_ci_u32_e32 v5, vcc_lo, v21, v19, vcc_lo
	v_add_co_u32 v22, vcc_lo, v2, v18
	v_add_co_ci_u32_e32 v23, vcc_lo, v3, v19, vcc_lo
	s_delay_alu instid0(VALU_DEP_4) | instskip(NEXT) | instid1(VALU_DEP_4)
	v_add_co_u32 v24, vcc_lo, v4, v18
	v_add_co_ci_u32_e32 v25, vcc_lo, v5, v19, vcc_lo
	s_clause 0x5
	global_load_b32 v35, v[6:7], off
	global_load_b32 v36, v[10:11], off
	;; [unrolled: 1-line block ×8, first 2 shown]
	v_add_co_u32 v4, vcc_lo, v24, v18
	v_add_co_ci_u32_e32 v5, vcc_lo, v25, v19, vcc_lo
	v_add_co_u32 v6, vcc_lo, v22, v18
	v_add_co_ci_u32_e32 v7, vcc_lo, v23, v19, vcc_lo
	global_load_b32 v51, v[4:5], off
	v_add_co_u32 v10, vcc_lo, v6, v18
	v_add_co_ci_u32_e32 v11, vcc_lo, v7, v19, vcc_lo
	v_add_co_u32 v4, vcc_lo, v4, v18
	v_add_co_ci_u32_e32 v5, vcc_lo, v5, v19, vcc_lo
	s_delay_alu instid0(VALU_DEP_4) | instskip(NEXT) | instid1(VALU_DEP_4)
	v_add_co_u32 v20, vcc_lo, v10, v18
	v_add_co_ci_u32_e32 v21, vcc_lo, v11, v19, vcc_lo
	global_load_b32 v52, v[4:5], off
	v_add_co_u32 v24, vcc_lo, v20, v18
	v_add_co_ci_u32_e32 v25, vcc_lo, v21, v19, vcc_lo
	v_add_co_u32 v4, vcc_lo, v4, v18
	v_add_co_ci_u32_e32 v5, vcc_lo, v5, v19, vcc_lo
	s_delay_alu instid0(VALU_DEP_4) | instskip(NEXT) | instid1(VALU_DEP_4)
	v_add_co_u32 v26, vcc_lo, v24, v18
	v_add_co_ci_u32_e32 v27, vcc_lo, v25, v19, vcc_lo
	global_load_b32 v53, v[4:5], off
	v_add_co_u32 v28, vcc_lo, v26, v18
	v_add_co_ci_u32_e32 v29, vcc_lo, v27, v19, vcc_lo
	v_add_co_u32 v4, vcc_lo, v4, v18
	v_add_co_ci_u32_e32 v5, vcc_lo, v5, v19, vcc_lo
	s_delay_alu instid0(VALU_DEP_4) | instskip(NEXT) | instid1(VALU_DEP_4)
	v_add_co_u32 v30, vcc_lo, v28, v18
	v_add_co_ci_u32_e32 v31, vcc_lo, v29, v19, vcc_lo
	global_load_b32 v15, v[2:3], off
	v_add_co_u32 v32, vcc_lo, v30, v18
	v_add_co_ci_u32_e32 v33, vcc_lo, v31, v19, vcc_lo
	global_load_b32 v4, v[4:5], off
	v_add_co_u32 v2, vcc_lo, v32, v18
	v_add_co_ci_u32_e32 v3, vcc_lo, v33, v19, vcc_lo
	s_clause 0x5
	global_load_b32 v17, v[22:23], off
	global_load_b32 v16, v[6:7], off
	;; [unrolled: 1-line block ×6, first 2 shown]
	v_add_co_u32 v20, vcc_lo, v2, v18
	v_add_co_ci_u32_e32 v21, vcc_lo, v3, v19, vcc_lo
	global_load_b32 v10, v[28:29], off
	v_add_co_u32 v18, vcc_lo, v20, v18
	v_add_co_ci_u32_e32 v19, vcc_lo, v21, v19, vcc_lo
	global_load_b32 v14, v[30:31], off
	global_load_b32 v11, v[32:33], off
	;; [unrolled: 1-line block ×5, first 2 shown]
	s_waitcnt vmcnt(24)
	v_fmac_f32_e32 v35, v9, v34
	s_waitcnt vmcnt(23)
	s_delay_alu instid0(VALU_DEP_1) | instskip(SKIP_1) | instid1(VALU_DEP_1)
	v_fmac_f32_e32 v36, v9, v35
	s_waitcnt vmcnt(22)
	v_fmac_f32_e32 v37, v9, v36
	s_waitcnt vmcnt(21)
	s_delay_alu instid0(VALU_DEP_1) | instskip(SKIP_1) | instid1(VALU_DEP_1)
	v_fmac_f32_e32 v38, v9, v37
	;; [unrolled: 5-line block ×5, first 2 shown]
	s_waitcnt vmcnt(14)
	v_fmac_f32_e32 v53, v9, v52
	s_waitcnt vmcnt(12)
	s_delay_alu instid0(VALU_DEP_1)
	v_fmac_f32_e32 v4, v9, v53
	s_and_saveexec_b32 s2, s0
	s_cbranch_execz .LBB14_7
; %bb.6:
	v_cmp_eq_f32_e32 vcc_lo, 1.0, v0
	s_mov_b32 s1, 0x3e76c4e1
	v_cndmask_b32_e64 v20, 0, 1.0, vcc_lo
	s_delay_alu instid0(VALU_DEP_1) | instskip(SKIP_1) | instid1(VALU_DEP_1)
	v_cmp_eq_f32_e32 vcc_lo, 0, v20
	v_cndmask_b32_e64 v21, |v0|, 1.0, vcc_lo
	v_frexp_mant_f32_e32 v18, v21
	s_delay_alu instid0(VALU_DEP_1) | instskip(NEXT) | instid1(VALU_DEP_1)
	v_cmp_gt_f32_e64 s0, 0x3f2aaaab, v18
	v_cndmask_b32_e64 v19, 1.0, 2.0, s0
	s_delay_alu instid0(VALU_DEP_1) | instskip(NEXT) | instid1(VALU_DEP_1)
	v_mul_f32_e32 v18, v18, v19
	v_add_f32_e32 v19, 1.0, v18
	v_add_f32_e32 v23, -1.0, v18
	s_delay_alu instid0(VALU_DEP_2) | instskip(NEXT) | instid1(VALU_DEP_1)
	v_add_f32_e32 v25, -1.0, v19
	v_sub_f32_e32 v18, v18, v25
	v_rcp_f32_e32 v22, v19
	s_waitcnt_depctr 0xfff
	v_mul_f32_e32 v24, v23, v22
	s_delay_alu instid0(VALU_DEP_1) | instskip(NEXT) | instid1(VALU_DEP_1)
	v_mul_f32_e32 v26, v19, v24
	v_fma_f32 v19, v24, v19, -v26
	s_delay_alu instid0(VALU_DEP_1) | instskip(NEXT) | instid1(VALU_DEP_1)
	v_fmac_f32_e32 v19, v24, v18
	v_add_f32_e32 v18, v26, v19
	s_delay_alu instid0(VALU_DEP_1) | instskip(NEXT) | instid1(VALU_DEP_1)
	v_sub_f32_e32 v25, v23, v18
	v_dual_sub_f32 v26, v18, v26 :: v_dual_sub_f32 v23, v23, v25
	s_delay_alu instid0(VALU_DEP_1) | instskip(NEXT) | instid1(VALU_DEP_1)
	v_dual_sub_f32 v19, v26, v19 :: v_dual_sub_f32 v18, v23, v18
	v_add_f32_e32 v18, v19, v18
	s_delay_alu instid0(VALU_DEP_1) | instskip(NEXT) | instid1(VALU_DEP_1)
	v_add_f32_e32 v18, v25, v18
	v_mul_f32_e32 v18, v22, v18
	s_delay_alu instid0(VALU_DEP_1) | instskip(NEXT) | instid1(VALU_DEP_1)
	v_add_f32_e32 v22, v24, v18
	v_sub_f32_e32 v19, v22, v24
	s_delay_alu instid0(VALU_DEP_1) | instskip(NEXT) | instid1(VALU_DEP_1)
	v_sub_f32_e32 v24, v18, v19
	v_dual_mul_f32 v23, v22, v22 :: v_dual_add_f32 v18, v24, v24
	s_delay_alu instid0(VALU_DEP_1) | instskip(NEXT) | instid1(VALU_DEP_1)
	v_fma_f32 v25, v22, v22, -v23
	v_fmac_f32_e32 v25, v22, v18
	v_cvt_f64_f32_e32 v[18:19], v21
	s_delay_alu instid0(VALU_DEP_2) | instskip(NEXT) | instid1(VALU_DEP_1)
	v_add_f32_e32 v26, v23, v25
	v_fmaak_f32 v27, s1, v26, 0x3e91f4c4
	v_sub_f32_e32 v23, v26, v23
	s_delay_alu instid0(VALU_DEP_2) | instskip(NEXT) | instid1(VALU_DEP_2)
	v_fmaak_f32 v27, v26, v27, 0x3ecccdef
	v_sub_f32_e32 v23, v25, v23
	s_delay_alu instid0(VALU_DEP_2) | instskip(NEXT) | instid1(VALU_DEP_1)
	v_mul_f32_e32 v28, v26, v27
	v_fma_f32 v25, v26, v27, -v28
	s_delay_alu instid0(VALU_DEP_1) | instskip(NEXT) | instid1(VALU_DEP_1)
	v_dual_fmac_f32 v25, v23, v27 :: v_dual_mul_f32 v30, v22, v26
	v_add_f32_e32 v27, v28, v25
	v_frexp_exp_i32_f64_e32 v18, v[18:19]
	s_delay_alu instid0(VALU_DEP_2) | instskip(NEXT) | instid1(VALU_DEP_1)
	v_sub_f32_e32 v28, v27, v28
	v_sub_f32_e32 v19, v25, v28
	v_fma_f32 v28, v26, v22, -v30
	s_delay_alu instid0(VALU_DEP_1) | instskip(NEXT) | instid1(VALU_DEP_1)
	v_dual_add_f32 v29, 0x3f2aaaaa, v27 :: v_dual_fmac_f32 v28, v26, v24
	v_add_f32_e32 v25, 0xbf2aaaaa, v29
	v_ldexp_f32 v24, v24, 1
	s_delay_alu instid0(VALU_DEP_3) | instskip(NEXT) | instid1(VALU_DEP_3)
	v_dual_fmac_f32 v28, v23, v22 :: v_dual_add_f32 v19, 0x31739010, v19
	v_sub_f32_e32 v25, v27, v25
	s_delay_alu instid0(VALU_DEP_1) | instskip(NEXT) | instid1(VALU_DEP_3)
	v_add_f32_e32 v19, v19, v25
	v_add_f32_e32 v25, v30, v28
	s_delay_alu instid0(VALU_DEP_2) | instskip(NEXT) | instid1(VALU_DEP_1)
	v_add_f32_e32 v23, v29, v19
	v_sub_f32_e32 v26, v29, v23
	s_delay_alu instid0(VALU_DEP_3) | instskip(SKIP_1) | instid1(VALU_DEP_3)
	v_mul_f32_e32 v27, v25, v23
	v_subrev_co_ci_u32_e64 v18, s0, 0, v18, s0
	v_add_f32_e32 v19, v19, v26
	s_delay_alu instid0(VALU_DEP_3) | instskip(NEXT) | instid1(VALU_DEP_3)
	v_fma_f32 v26, v25, v23, -v27
	v_cvt_f32_i32_e32 v18, v18
	v_sub_f32_e32 v29, v25, v30
	s_delay_alu instid0(VALU_DEP_3) | instskip(SKIP_1) | instid1(VALU_DEP_3)
	v_fmac_f32_e32 v26, v25, v19
	v_ldexp_f32 v19, v22, 1
	v_sub_f32_e32 v28, v28, v29
	s_delay_alu instid0(VALU_DEP_1) | instskip(NEXT) | instid1(VALU_DEP_1)
	v_fmac_f32_e32 v26, v28, v23
	v_add_f32_e32 v22, v27, v26
	s_delay_alu instid0(VALU_DEP_1) | instskip(SKIP_1) | instid1(VALU_DEP_2)
	v_add_f32_e32 v23, v19, v22
	v_sub_f32_e32 v25, v22, v27
	v_sub_f32_e32 v19, v23, v19
	s_delay_alu instid0(VALU_DEP_2) | instskip(NEXT) | instid1(VALU_DEP_1)
	v_sub_f32_e32 v25, v26, v25
	v_dual_sub_f32 v19, v22, v19 :: v_dual_add_f32 v22, v24, v25
	s_delay_alu instid0(VALU_DEP_1) | instskip(NEXT) | instid1(VALU_DEP_1)
	v_add_f32_e32 v19, v22, v19
	v_dual_mul_f32 v27, 0x3f317218, v18 :: v_dual_add_f32 v24, v23, v19
	s_delay_alu instid0(VALU_DEP_1) | instskip(NEXT) | instid1(VALU_DEP_1)
	v_fma_f32 v26, 0x3f317218, v18, -v27
	v_fmamk_f32 v18, v18, 0xb102e308, v26
	s_delay_alu instid0(VALU_DEP_1) | instskip(NEXT) | instid1(VALU_DEP_1)
	v_add_f32_e32 v22, v27, v18
	v_add_f32_e32 v25, v22, v24
	s_delay_alu instid0(VALU_DEP_1) | instskip(NEXT) | instid1(VALU_DEP_1)
	v_dual_sub_f32 v27, v22, v27 :: v_dual_sub_f32 v26, v25, v22
	v_sub_f32_e32 v18, v18, v27
	s_delay_alu instid0(VALU_DEP_2) | instskip(NEXT) | instid1(VALU_DEP_1)
	v_dual_sub_f32 v28, v25, v26 :: v_dual_sub_f32 v23, v24, v23
	v_dual_sub_f32 v22, v22, v28 :: v_dual_sub_f32 v19, v19, v23
	s_delay_alu instid0(VALU_DEP_1) | instskip(NEXT) | instid1(VALU_DEP_1)
	v_dual_sub_f32 v23, v24, v26 :: v_dual_add_f32 v24, v18, v19
	v_add_f32_e32 v22, v23, v22
	s_delay_alu instid0(VALU_DEP_2) | instskip(NEXT) | instid1(VALU_DEP_2)
	v_sub_f32_e32 v23, v24, v18
	v_add_f32_e32 v22, v24, v22
	s_delay_alu instid0(VALU_DEP_2) | instskip(NEXT) | instid1(VALU_DEP_2)
	v_sub_f32_e32 v24, v24, v23
	v_add_f32_e32 v26, v25, v22
	s_delay_alu instid0(VALU_DEP_2) | instskip(NEXT) | instid1(VALU_DEP_1)
	v_dual_sub_f32 v18, v18, v24 :: v_dual_sub_f32 v19, v19, v23
	v_dual_sub_f32 v23, v26, v25 :: v_dual_add_f32 v18, v19, v18
	s_delay_alu instid0(VALU_DEP_1) | instskip(NEXT) | instid1(VALU_DEP_1)
	v_sub_f32_e32 v19, v22, v23
	v_add_f32_e32 v18, v18, v19
	s_delay_alu instid0(VALU_DEP_1) | instskip(NEXT) | instid1(VALU_DEP_1)
	v_add_f32_e32 v19, v26, v18
	v_dual_sub_f32 v22, v19, v26 :: v_dual_mul_f32 v23, v20, v19
	s_delay_alu instid0(VALU_DEP_1) | instskip(NEXT) | instid1(VALU_DEP_2)
	v_sub_f32_e32 v18, v18, v22
	v_fma_f32 v19, v20, v19, -v23
	v_cmp_class_f32_e64 s0, v23, 0x204
	s_delay_alu instid0(VALU_DEP_2) | instskip(NEXT) | instid1(VALU_DEP_1)
	v_fmac_f32_e32 v19, v20, v18
	v_add_f32_e32 v18, v23, v19
	s_delay_alu instid0(VALU_DEP_1) | instskip(NEXT) | instid1(VALU_DEP_1)
	v_cndmask_b32_e64 v22, v18, v23, s0
	v_cmp_eq_f32_e64 s0, 0x42b17218, v22
	s_delay_alu instid0(VALU_DEP_1) | instskip(SKIP_1) | instid1(VALU_DEP_2)
	v_cndmask_b32_e64 v24, 0, 0x37000000, s0
	v_cmp_neq_f32_e64 s0, 0x7f800000, |v22|
	v_sub_f32_e32 v25, v22, v24
	v_trunc_f32_e32 v22, v20
	s_delay_alu instid0(VALU_DEP_2) | instskip(NEXT) | instid1(VALU_DEP_1)
	v_mul_f32_e32 v26, 0x3fb8aa3b, v25
	v_fma_f32 v27, 0x3fb8aa3b, v25, -v26
	v_rndne_f32_e32 v28, v26
	s_delay_alu instid0(VALU_DEP_1) | instskip(SKIP_2) | instid1(VALU_DEP_3)
	v_dual_sub_f32 v26, v26, v28 :: v_dual_fmamk_f32 v27, v25, 0x32a5705f, v27
	v_sub_f32_e32 v18, v18, v23
	v_cvt_i32_f32_e32 v23, v28
	v_add_f32_e32 v26, v26, v27
	s_delay_alu instid0(VALU_DEP_3) | instskip(NEXT) | instid1(VALU_DEP_2)
	v_sub_f32_e32 v18, v19, v18
	v_exp_f32_e32 v26, v26
	s_waitcnt_depctr 0xfff
	v_ldexp_f32 v19, v26, v23
	v_mul_f32_e32 v23, 0.5, v20
	v_cndmask_b32_e64 v18, 0, v18, s0
	v_cmp_ngt_f32_e64 s0, 0xc2ce8ed0, v25
	s_delay_alu instid0(VALU_DEP_3) | instskip(NEXT) | instid1(VALU_DEP_3)
	v_trunc_f32_e32 v26, v23
	v_add_f32_e32 v18, v24, v18
	s_delay_alu instid0(VALU_DEP_3) | instskip(SKIP_1) | instid1(VALU_DEP_4)
	v_cndmask_b32_e64 v19, 0, v19, s0
	v_cmp_nlt_f32_e64 s0, 0x42b17218, v25
	v_cmp_neq_f32_e64 s1, v26, v23
	s_delay_alu instid0(VALU_DEP_2) | instskip(SKIP_2) | instid1(VALU_DEP_3)
	v_cndmask_b32_e64 v19, 0x7f800000, v19, s0
	v_cmp_eq_f32_e64 s0, v22, v20
	v_cndmask_b32_e64 v20, v0, 1.0, vcc_lo
	v_fma_f32 v18, v19, v18, v19
	s_delay_alu instid0(VALU_DEP_3) | instskip(SKIP_1) | instid1(VALU_DEP_3)
	s_and_b32 vcc_lo, s0, s1
	v_cmp_class_f32_e64 s1, v19, 0x204
	v_cndmask_b32_e32 v22, 1.0, v20, vcc_lo
	s_delay_alu instid0(VALU_DEP_2) | instskip(NEXT) | instid1(VALU_DEP_1)
	v_cndmask_b32_e64 v18, v18, v19, s1
	v_bfi_b32 v18, 0x7fffffff, v18, v22
	v_cndmask_b32_e32 v22, 0, v20, vcc_lo
	v_cmp_gt_f32_e32 vcc_lo, 0, v20
	s_delay_alu instid0(VALU_DEP_3) | instskip(SKIP_1) | instid1(VALU_DEP_1)
	v_cndmask_b32_e64 v19, 0x7fc00000, v18, s0
	s_brev_b32 s0, -2
	v_cndmask_b32_e32 v18, v18, v19, vcc_lo
	v_bfi_b32 v19, s0, 0x7f800000, v22
	v_cmp_eq_f32_e32 vcc_lo, 0x7f800000, v21
	s_delay_alu instid0(VALU_DEP_2) | instskip(NEXT) | instid1(VALU_DEP_1)
	v_cndmask_b32_e32 v18, v18, v19, vcc_lo
	v_mul_f32_e32 v4, v18, v4
.LBB14_7:
	s_or_b32 exec_lo, exec_lo, s2
	s_waitcnt vmcnt(11)
	v_dual_add_f32 v18, 0x40c0ca2e, v0 :: v_dual_fmac_f32 v17, v9, v15
	s_waitcnt vmcnt(10)
	s_delay_alu instid0(VALU_DEP_1) | instskip(NEXT) | instid1(VALU_DEP_1)
	v_dual_add_f32 v15, -0.5, v18 :: v_dual_fmac_f32 v16, v9, v17
	v_div_scale_f32 v17, null, 0x402df854, 0x402df854, v15
	s_waitcnt vmcnt(9)
	s_delay_alu instid0(VALU_DEP_2) | instskip(NEXT) | instid1(VALU_DEP_2)
	v_fmac_f32_e32 v13, v9, v16
	v_rcp_f32_e32 v16, v17
	s_waitcnt vmcnt(8)
	s_delay_alu instid0(VALU_DEP_1) | instskip(SKIP_1) | instid1(VALU_DEP_1)
	v_fmac_f32_e32 v12, v9, v13
	s_waitcnt vmcnt(7)
	v_fmac_f32_e32 v7, v9, v12
	s_waitcnt_depctr 0xfff
	v_fma_f32 v12, -v17, v16, 1.0
	s_waitcnt vmcnt(6)
	v_fmac_f32_e32 v5, v9, v7
	v_div_scale_f32 v7, vcc_lo, v15, 0x402df854, v15
	s_delay_alu instid0(VALU_DEP_3) | instskip(SKIP_1) | instid1(VALU_DEP_1)
	v_fmac_f32_e32 v16, v12, v16
	s_waitcnt vmcnt(5)
	v_dual_fmac_f32 v10, v9, v5 :: v_dual_mul_f32 v5, v7, v16
	s_waitcnt vmcnt(4)
	s_delay_alu instid0(VALU_DEP_1) | instskip(NEXT) | instid1(VALU_DEP_2)
	v_fmac_f32_e32 v14, v9, v10
	v_fma_f32 v10, -v17, v5, v7
	s_delay_alu instid0(VALU_DEP_1) | instskip(SKIP_1) | instid1(VALU_DEP_3)
	v_fmac_f32_e32 v5, v10, v16
	s_waitcnt vmcnt(3)
	v_fmac_f32_e32 v11, v9, v14
	s_delay_alu instid0(VALU_DEP_2) | instskip(SKIP_1) | instid1(VALU_DEP_2)
	v_fma_f32 v7, -v17, v5, v7
	s_waitcnt vmcnt(2)
	v_fmac_f32_e32 v6, v9, v11
	s_delay_alu instid0(VALU_DEP_2) | instskip(SKIP_1) | instid1(VALU_DEP_2)
	v_div_fmas_f32 v5, v7, v16, v5
	s_waitcnt vmcnt(1)
	v_fmac_f32_e32 v3, v9, v6
	s_waitcnt vmcnt(0)
	s_delay_alu instid0(VALU_DEP_1) | instskip(SKIP_1) | instid1(VALU_DEP_1)
	v_fmac_f32_e32 v2, v9, v3
	v_div_fixup_f32 v3, v5, 0x402df854, v15
	v_mul_f32_e32 v6, 0x4f800000, v3
	v_cmp_gt_f32_e64 s0, 0xf800000, v3
	s_delay_alu instid0(VALU_DEP_1) | instskip(NEXT) | instid1(VALU_DEP_1)
	v_cndmask_b32_e64 v3, v3, v6, s0
	v_sqrt_f32_e32 v6, v3
	s_waitcnt_depctr 0xfff
	v_add_nc_u32_e32 v11, 1, v6
	v_div_scale_f32 v5, null, v2, v2, v4
	v_div_scale_f32 v10, vcc_lo, v4, v2, v4
	s_delay_alu instid0(VALU_DEP_3) | instskip(NEXT) | instid1(VALU_DEP_3)
	v_fma_f32 v14, -v11, v6, v3
	v_rcp_f32_e32 v7, v5
	s_waitcnt_depctr 0xfff
	v_fma_f32 v9, -v5, v7, 1.0
	s_delay_alu instid0(VALU_DEP_1) | instskip(NEXT) | instid1(VALU_DEP_1)
	v_fmac_f32_e32 v7, v9, v7
	v_dual_mul_f32 v12, v10, v7 :: v_dual_add_nc_u32 v9, -1, v6
	s_delay_alu instid0(VALU_DEP_1) | instskip(NEXT) | instid1(VALU_DEP_2)
	v_fma_f32 v13, -v9, v6, v3
	v_fma_f32 v16, -v5, v12, v10
	s_delay_alu instid0(VALU_DEP_2) | instskip(NEXT) | instid1(VALU_DEP_2)
	v_cmp_ge_f32_e64 s1, 0, v13
	v_fmac_f32_e32 v12, v16, v7
	s_delay_alu instid0(VALU_DEP_2) | instskip(SKIP_1) | instid1(VALU_DEP_3)
	v_cndmask_b32_e64 v6, v6, v9, s1
	v_cmp_lt_f32_e64 s1, 0, v14
	v_fma_f32 v5, -v5, v12, v10
	s_delay_alu instid0(VALU_DEP_2) | instskip(NEXT) | instid1(VALU_DEP_2)
	v_cndmask_b32_e64 v6, v6, v11, s1
	v_div_fmas_f32 v5, v5, v7, v12
	v_cmp_class_f32_e64 vcc_lo, v3, 0x260
	s_delay_alu instid0(VALU_DEP_3) | instskip(NEXT) | instid1(VALU_DEP_3)
	v_mul_f32_e32 v9, 0x37800000, v6
	v_div_fixup_f32 v2, v5, v2, v4
	s_delay_alu instid0(VALU_DEP_2) | instskip(SKIP_1) | instid1(VALU_DEP_2)
	v_cndmask_b32_e64 v6, v6, v9, s0
	v_cmp_ngt_f32_e64 s0, 0x43480000, v1
	v_cndmask_b32_e32 v3, v6, v3, vcc_lo
	s_delay_alu instid0(VALU_DEP_1) | instskip(NEXT) | instid1(VALU_DEP_1)
	v_div_scale_f32 v4, null, v2, v2, v3
	v_rcp_f32_e32 v5, v4
	s_waitcnt_depctr 0xfff
	v_fma_f32 v6, -v4, v5, 1.0
	s_delay_alu instid0(VALU_DEP_1) | instskip(SKIP_1) | instid1(VALU_DEP_1)
	v_fmac_f32_e32 v5, v6, v5
	v_div_scale_f32 v6, vcc_lo, v3, v2, v3
	v_mul_f32_e32 v7, v6, v5
	s_delay_alu instid0(VALU_DEP_1) | instskip(NEXT) | instid1(VALU_DEP_1)
	v_fma_f32 v9, -v4, v7, v6
	v_fmac_f32_e32 v7, v9, v5
	s_delay_alu instid0(VALU_DEP_1) | instskip(NEXT) | instid1(VALU_DEP_1)
	v_fma_f32 v4, -v4, v7, v6
	v_div_fmas_f32 v4, v4, v5, v7
	v_cmp_ngt_f32_e32 vcc_lo, 0x43480000, v0
	s_delay_alu instid0(VALU_DEP_2) | instskip(SKIP_1) | instid1(SALU_CYCLE_1)
	v_div_fixup_f32 v3, v4, v2, v3
	s_or_b32 s0, vcc_lo, s0
                                        ; implicit-def: $vgpr2
	s_and_saveexec_b32 s1, s0
	s_delay_alu instid0(SALU_CYCLE_1)
	s_xor_b32 s1, exec_lo, s1
	s_cbranch_execz .LBB14_9
; %bb.8:
	v_sub_f32_e32 v2, v1, v0
	s_mov_b32 s2, -2.0
	s_mov_b32 s3, 0xc0161945
	s_mov_b32 s0, 0x3e9b6dac
	;; [unrolled: 1-line block ×3, first 2 shown]
	v_add_f32_e32 v2, 0xc0c0ca2e, v2
	s_mov_b32 s7, 0x3e5ade15
	s_delay_alu instid0(VALU_DEP_1) | instskip(SKIP_1) | instid1(VALU_DEP_2)
	v_add_f32_e32 v4, 0.5, v2
	v_cvt_f64_f32_e32 v[1:2], v1
	v_div_scale_f32 v5, null, v15, v15, v4
	v_div_scale_f32 v8, vcc_lo, v4, v15, v4
	s_delay_alu instid0(VALU_DEP_2) | instskip(SKIP_2) | instid1(VALU_DEP_1)
	v_rcp_f32_e32 v6, v5
	s_waitcnt_depctr 0xfff
	v_fma_f32 v7, -v5, v6, 1.0
	v_fmac_f32_e32 v6, v7, v6
	s_delay_alu instid0(VALU_DEP_1) | instskip(NEXT) | instid1(VALU_DEP_1)
	v_mul_f32_e32 v7, v8, v6
	v_fma_f32 v9, -v5, v7, v8
	v_mul_f64 v[1:2], v[1:2], s[2:3]
	s_delay_alu instid0(VALU_DEP_2) | instskip(SKIP_2) | instid1(VALU_DEP_1)
	v_fmac_f32_e32 v7, v9, v6
	s_mov_b32 s2, 0x652b82fe
	s_mov_b32 s3, 0x3ff71547
	v_fma_f32 v5, -v5, v7, v8
	s_delay_alu instid0(VALU_DEP_1) | instskip(NEXT) | instid1(VALU_DEP_1)
	v_div_fmas_f32 v5, v5, v6, v7
	v_div_fixup_f32 v14, v5, v15, v4
	v_cvt_f64_f32_e32 v[4:5], v15
	s_delay_alu instid0(VALU_DEP_2) | instskip(NEXT) | instid1(VALU_DEP_1)
	v_add_f32_e32 v10, 1.0, v14
	v_cvt_f64_f32_e32 v[6:7], v10
	v_frexp_mant_f32_e32 v12, v10
	s_delay_alu instid0(VALU_DEP_1) | instskip(SKIP_1) | instid1(VALU_DEP_4)
	v_cmp_gt_f32_e32 vcc_lo, 0x3f2aaaab, v12
	v_div_scale_f64 v[8:9], null, v[4:5], v[4:5], v[1:2]
	v_frexp_exp_i32_f64_e32 v11, v[6:7]
	s_delay_alu instid0(VALU_DEP_2) | instskip(NEXT) | instid1(VALU_DEP_1)
	v_rcp_f64_e32 v[6:7], v[8:9]
	v_subrev_co_ci_u32_e32 v15, vcc_lo, 0, v11, vcc_lo
	v_add_f32_e32 v11, -1.0, v10
	s_delay_alu instid0(VALU_DEP_2) | instskip(SKIP_1) | instid1(VALU_DEP_3)
	v_sub_nc_u32_e32 v12, 0, v15
	v_cvt_f32_i32_e32 v15, v15
	v_sub_f32_e32 v13, v11, v10
	v_sub_f32_e32 v11, v14, v11
	s_delay_alu instid0(VALU_DEP_2) | instskip(NEXT) | instid1(VALU_DEP_1)
	v_add_f32_e32 v13, 1.0, v13
	v_add_f32_e32 v11, v11, v13
	v_ldexp_f32 v10, v10, v12
	s_delay_alu instid0(VALU_DEP_2) | instskip(NEXT) | instid1(VALU_DEP_2)
	v_ldexp_f32 v12, v11, v12
	v_add_f32_e32 v16, 1.0, v10
	s_delay_alu instid0(VALU_DEP_1) | instskip(NEXT) | instid1(VALU_DEP_1)
	v_add_f32_e32 v13, -1.0, v16
	v_sub_f32_e32 v11, v10, v13
	s_delay_alu instid0(VALU_DEP_1) | instskip(NEXT) | instid1(VALU_DEP_1)
	v_add_f32_e32 v18, v12, v11
	v_add_f32_e32 v19, v16, v18
	s_delay_alu instid0(VALU_DEP_1) | instskip(SKIP_1) | instid1(VALU_DEP_1)
	v_dual_add_f32 v17, -1.0, v10 :: v_dual_sub_f32 v16, v19, v16
	v_rcp_f32_e32 v20, v19
	v_dual_sub_f32 v16, v18, v16 :: v_dual_add_f32 v13, 1.0, v17
	s_delay_alu instid0(VALU_DEP_1) | instskip(NEXT) | instid1(TRANS32_DEP_2)
	v_sub_f32_e32 v13, v10, v13
	v_fma_f64 v[10:11], -v[8:9], v[6:7], 1.0
	s_delay_alu instid0(VALU_DEP_2) | instskip(NEXT) | instid1(VALU_DEP_1)
	v_add_f32_e32 v12, v12, v13
	v_add_f32_e32 v13, v17, v12
	s_waitcnt_depctr 0xfff
	v_mul_f32_e32 v21, v13, v20
	s_delay_alu instid0(VALU_DEP_1) | instskip(NEXT) | instid1(VALU_DEP_1)
	v_mul_f32_e32 v22, v19, v21
	v_fma_f32 v18, v21, v19, -v22
	s_delay_alu instid0(VALU_DEP_1) | instskip(NEXT) | instid1(VALU_DEP_1)
	v_fmac_f32_e32 v18, v21, v16
	v_add_f32_e32 v23, v22, v18
	v_fma_f64 v[6:7], v[6:7], v[10:11], v[6:7]
	v_sub_f32_e32 v10, v13, v17
	s_delay_alu instid0(VALU_DEP_3) | instskip(NEXT) | instid1(VALU_DEP_2)
	v_sub_f32_e32 v24, v13, v23
	v_sub_f32_e32 v10, v12, v10
	s_delay_alu instid0(VALU_DEP_2) | instskip(NEXT) | instid1(VALU_DEP_1)
	v_dual_sub_f32 v12, v23, v22 :: v_dual_sub_f32 v11, v13, v24
	v_dual_sub_f32 v12, v12, v18 :: v_dual_sub_f32 v11, v11, v23
	s_delay_alu instid0(VALU_DEP_1) | instskip(NEXT) | instid1(VALU_DEP_1)
	v_add_f32_e32 v10, v10, v11
	v_add_f32_e32 v12, v12, v10
	s_delay_alu instid0(VALU_DEP_1) | instskip(NEXT) | instid1(VALU_DEP_1)
	v_add_f32_e32 v13, v24, v12
	v_mul_f32_e32 v17, v20, v13
	v_sub_f32_e32 v23, v24, v13
	s_delay_alu instid0(VALU_DEP_2) | instskip(SKIP_1) | instid1(VALU_DEP_3)
	v_mul_f32_e32 v18, v19, v17
	v_fma_f64 v[10:11], -v[8:9], v[6:7], 1.0
	v_add_f32_e32 v12, v12, v23
	s_delay_alu instid0(VALU_DEP_3) | instskip(NEXT) | instid1(VALU_DEP_1)
	v_fma_f32 v19, v17, v19, -v18
	v_fmac_f32_e32 v19, v17, v16
	s_delay_alu instid0(VALU_DEP_1) | instskip(NEXT) | instid1(VALU_DEP_1)
	v_add_f32_e32 v16, v18, v19
	v_sub_f32_e32 v22, v13, v16
	s_delay_alu instid0(VALU_DEP_1) | instskip(NEXT) | instid1(VALU_DEP_1)
	v_sub_f32_e32 v13, v13, v22
	v_dual_sub_f32 v18, v16, v18 :: v_dual_sub_f32 v13, v13, v16
	s_delay_alu instid0(VALU_DEP_1) | instskip(NEXT) | instid1(VALU_DEP_2)
	v_sub_f32_e32 v16, v18, v19
	v_add_f32_e32 v12, v12, v13
	v_fma_f64 v[6:7], v[6:7], v[10:11], v[6:7]
	s_delay_alu instid0(VALU_DEP_2) | instskip(SKIP_1) | instid1(VALU_DEP_2)
	v_add_f32_e32 v16, v16, v12
	v_div_scale_f64 v[12:13], vcc_lo, v[1:2], v[4:5], v[1:2]
	v_dual_add_f32 v11, v22, v16 :: v_dual_add_f32 v18, v21, v17
	s_delay_alu instid0(VALU_DEP_1) | instskip(NEXT) | instid1(VALU_DEP_1)
	v_dual_mul_f32 v11, v20, v11 :: v_dual_sub_f32 v10, v18, v21
	v_dual_mul_f32 v21, 0x3f317218, v15 :: v_dual_sub_f32 v10, v17, v10
	s_delay_alu instid0(VALU_DEP_1) | instskip(NEXT) | instid1(VALU_DEP_1)
	v_add_f32_e32 v16, v10, v11
	v_add_f32_e32 v17, v18, v16
	s_delay_alu instid0(VALU_DEP_1) | instskip(SKIP_1) | instid1(VALU_DEP_2)
	v_mul_f32_e32 v10, v17, v17
	v_ldexp_f32 v20, v17, 1
	v_fmaak_f32 v11, s0, v10, 0x3ecc95a3
	v_mul_f32_e32 v19, v17, v10
	s_delay_alu instid0(VALU_DEP_2) | instskip(NEXT) | instid1(VALU_DEP_1)
	v_dual_sub_f32 v17, v17, v18 :: v_dual_fmaak_f32 v10, v10, v11, 0x3f2aaada
	v_mul_f32_e32 v19, v19, v10
	v_mul_f64 v[10:11], v[12:13], v[6:7]
	s_delay_alu instid0(VALU_DEP_2) | instskip(NEXT) | instid1(VALU_DEP_1)
	v_add_f32_e32 v18, v20, v19
	v_dual_sub_f32 v16, v16, v17 :: v_dual_sub_f32 v17, v18, v20
	v_fma_f32 v20, 0x3f317218, v15, -v21
	s_delay_alu instid0(VALU_DEP_2) | instskip(NEXT) | instid1(VALU_DEP_3)
	v_ldexp_f32 v16, v16, 1
	v_sub_f32_e32 v17, v19, v17
	s_delay_alu instid0(VALU_DEP_1) | instskip(NEXT) | instid1(VALU_DEP_1)
	v_dual_fmamk_f32 v15, v15, 0xb102e308, v20 :: v_dual_add_f32 v16, v16, v17
	v_add_f32_e32 v17, v21, v15
	s_delay_alu instid0(VALU_DEP_2) | instskip(NEXT) | instid1(VALU_DEP_2)
	v_add_f32_e32 v19, v18, v16
	v_sub_f32_e32 v21, v17, v21
	s_delay_alu instid0(VALU_DEP_2) | instskip(SKIP_1) | instid1(VALU_DEP_3)
	v_add_f32_e32 v20, v17, v19
	v_fma_f64 v[8:9], -v[8:9], v[10:11], v[12:13]
	v_sub_f32_e32 v13, v15, v21
	s_delay_alu instid0(VALU_DEP_3) | instskip(SKIP_1) | instid1(VALU_DEP_1)
	v_sub_f32_e32 v22, v20, v17
	v_sub_f32_e32 v18, v19, v18
	;; [unrolled: 1-line block ×3, first 2 shown]
	s_delay_alu instid0(VALU_DEP_3) | instskip(SKIP_1) | instid1(VALU_DEP_2)
	v_sub_f32_e32 v12, v20, v22
	v_sub_f32_e32 v16, v19, v22
	;; [unrolled: 1-line block ×3, first 2 shown]
	s_delay_alu instid0(VALU_DEP_1) | instskip(NEXT) | instid1(VALU_DEP_1)
	v_dual_add_f32 v17, v13, v15 :: v_dual_add_f32 v12, v16, v12
	v_sub_f32_e32 v16, v17, v13
	s_delay_alu instid0(VALU_DEP_2) | instskip(NEXT) | instid1(VALU_DEP_2)
	v_add_f32_e32 v12, v17, v12
	v_sub_f32_e32 v15, v15, v16
	s_delay_alu instid0(VALU_DEP_2) | instskip(SKIP_3) | instid1(VALU_DEP_1)
	v_add_f32_e32 v18, v20, v12
	v_div_fmas_f64 v[6:7], v[8:9], v[6:7], v[10:11]
	v_cmp_eq_f32_e32 vcc_lo, 0x7f800000, v14
	v_sub_f32_e32 v17, v17, v16
	v_dual_sub_f32 v16, v18, v20 :: v_dual_sub_f32 v13, v13, v17
	s_delay_alu instid0(VALU_DEP_1) | instskip(NEXT) | instid1(VALU_DEP_1)
	v_dual_sub_f32 v12, v12, v16 :: v_dual_add_f32 v13, v15, v13
                                        ; implicit-def: $vgpr15
	v_add_f32_e32 v12, v13, v12
	s_delay_alu instid0(VALU_DEP_1) | instskip(NEXT) | instid1(VALU_DEP_1)
	v_add_f32_e32 v8, v18, v12
	v_cndmask_b32_e32 v8, v8, v14, vcc_lo
	v_cmp_ngt_f32_e32 vcc_lo, -1.0, v14
	s_delay_alu instid0(VALU_DEP_2) | instskip(SKIP_1) | instid1(VALU_DEP_2)
	v_cndmask_b32_e32 v8, 0x7fc00000, v8, vcc_lo
	v_cmp_neq_f32_e32 vcc_lo, -1.0, v14
	v_cndmask_b32_e32 v8, 0xff800000, v8, vcc_lo
	v_cmp_gt_f32_e64 vcc_lo, 0x33800000, |v14|
	s_delay_alu instid0(VALU_DEP_2) | instskip(NEXT) | instid1(VALU_DEP_1)
	v_cndmask_b32_e32 v8, v8, v14, vcc_lo
	v_sub_f32_e32 v8, v8, v14
	s_delay_alu instid0(VALU_DEP_1) | instskip(SKIP_1) | instid1(VALU_DEP_2)
	v_mul_f32_e32 v8, v8, v0
	v_div_fixup_f64 v[0:1], v[6:7], v[4:5], v[1:2]
	v_cvt_f64_f32_e32 v[4:5], v8
	s_delay_alu instid0(VALU_DEP_1) | instskip(NEXT) | instid1(VALU_DEP_1)
	v_add_f64 v[0:1], v[4:5], v[0:1]
	v_mul_f64 v[4:5], v[0:1], s[2:3]
	s_mov_b32 s2, 0xfefa39ef
	s_mov_b32 s3, 0xbfe62e42
	v_cmp_nlt_f64_e32 vcc_lo, 0x40900000, v[0:1]
	v_cmp_ngt_f64_e64 s0, 0xc090cc00, v[0:1]
	s_delay_alu instid0(VALU_DEP_3) | instskip(NEXT) | instid1(VALU_DEP_1)
	v_rndne_f64_e32 v[4:5], v[4:5]
	v_fma_f64 v[6:7], v[4:5], s[2:3], v[0:1]
	s_mov_b32 s2, 0x3b39803f
	s_mov_b32 s3, 0xbc7abc9e
	v_cvt_i32_f64_e32 v2, v[4:5]
	v_cvt_f64_f32_e32 v[0:1], v3
	s_delay_alu instid0(VALU_DEP_3)
	v_fma_f64 v[6:7], v[4:5], s[2:3], v[6:7]
	s_mov_b32 s2, 0xfca7ab0c
	s_mov_b32 s3, 0x3e928af3
	s_delay_alu instid0(VALU_DEP_1) | instid1(SALU_CYCLE_1)
	v_fma_f64 v[8:9], v[6:7], s[6:7], s[2:3]
	s_mov_b32 s2, 0x623fde64
	s_mov_b32 s3, 0x3ec71dee
	s_delay_alu instid0(VALU_DEP_1) | instid1(SALU_CYCLE_1)
	;; [unrolled: 4-line block ×9, first 2 shown]
	v_fma_f64 v[8:9], v[6:7], v[8:9], s[2:3]
	s_delay_alu instid0(VALU_DEP_1) | instskip(NEXT) | instid1(VALU_DEP_1)
	v_fma_f64 v[8:9], v[6:7], v[8:9], 1.0
	v_fma_f64 v[4:5], v[6:7], v[8:9], 1.0
                                        ; implicit-def: $vgpr8
	s_delay_alu instid0(VALU_DEP_1) | instskip(NEXT) | instid1(VALU_DEP_1)
	v_ldexp_f64 v[4:5], v[4:5], v2
	v_cndmask_b32_e32 v2, 0x7ff00000, v5, vcc_lo
	s_and_b32 vcc_lo, s0, vcc_lo
	s_delay_alu instid0(VALU_DEP_1) | instskip(NEXT) | instid1(VALU_DEP_3)
	v_cndmask_b32_e64 v3, 0, v2, s0
	v_cndmask_b32_e32 v2, 0, v4, vcc_lo
	s_delay_alu instid0(VALU_DEP_1) | instskip(NEXT) | instid1(VALU_DEP_1)
	v_mul_f64 v[0:1], v[2:3], v[0:1]
                                        ; implicit-def: $vgpr3
	v_cvt_f32_f64_e32 v2, v[0:1]
                                        ; implicit-def: $vgpr1
                                        ; implicit-def: $vgpr0
.LBB14_9:
	s_and_not1_saveexec_b32 s5, s1
	s_cbranch_execz .LBB14_11
; %bb.10:
	v_div_scale_f32 v2, null, v15, v15, v1
	v_div_scale_f32 v6, vcc_lo, v1, v15, v1
	s_mov_b32 s2, 0x3e76c4e1
	s_delay_alu instid0(VALU_DEP_2) | instskip(SKIP_2) | instid1(VALU_DEP_1)
	v_rcp_f32_e32 v4, v2
	s_waitcnt_depctr 0xfff
	v_fma_f32 v5, -v2, v4, 1.0
	v_fmac_f32_e32 v4, v5, v4
	s_delay_alu instid0(VALU_DEP_1) | instskip(NEXT) | instid1(VALU_DEP_1)
	v_mul_f32_e32 v5, v6, v4
	v_fma_f32 v7, -v2, v5, v6
	s_delay_alu instid0(VALU_DEP_1) | instskip(NEXT) | instid1(VALU_DEP_1)
	v_fmac_f32_e32 v5, v7, v4
	v_fma_f32 v2, -v2, v5, v6
	s_delay_alu instid0(VALU_DEP_1) | instskip(NEXT) | instid1(VALU_DEP_1)
	v_div_fmas_f32 v2, v2, v4, v5
	v_div_fixup_f32 v4, v2, v15, v1
	s_delay_alu instid0(VALU_DEP_1) | instskip(NEXT) | instid1(VALU_DEP_1)
	v_cmp_eq_f32_e64 s0, 1.0, v4
	v_cndmask_b32_e64 v5, v0, 1.0, s0
	v_cndmask_b32_e64 v0, |v0|, 1.0, s0
	s_delay_alu instid0(VALU_DEP_2) | instskip(SKIP_2) | instid1(VALU_DEP_1)
	v_cmp_eq_f32_e32 vcc_lo, 0, v5
	v_cmp_gt_f32_e64 s3, 0, v5
	v_cndmask_b32_e64 v6, |v4|, 1.0, vcc_lo
	v_frexp_mant_f32_e32 v1, v6
	s_delay_alu instid0(VALU_DEP_1) | instskip(NEXT) | instid1(VALU_DEP_1)
	v_cmp_gt_f32_e64 s1, 0x3f2aaaab, v1
	v_cndmask_b32_e64 v2, 1.0, 2.0, s1
	s_delay_alu instid0(VALU_DEP_1) | instskip(NEXT) | instid1(VALU_DEP_1)
	v_mul_f32_e32 v1, v1, v2
	v_add_f32_e32 v2, 1.0, v1
	v_add_f32_e32 v9, -1.0, v1
	s_delay_alu instid0(VALU_DEP_2) | instskip(SKIP_2) | instid1(VALU_DEP_1)
	v_rcp_f32_e32 v7, v2
	s_waitcnt_depctr 0xfff
	v_dual_mul_f32 v10, v9, v7 :: v_dual_add_f32 v11, -1.0, v2
	v_dual_mul_f32 v12, v2, v10 :: v_dual_sub_f32 v1, v1, v11
	s_delay_alu instid0(VALU_DEP_1) | instskip(NEXT) | instid1(VALU_DEP_1)
	v_fma_f32 v2, v10, v2, -v12
	v_fmac_f32_e32 v2, v10, v1
	s_delay_alu instid0(VALU_DEP_1) | instskip(NEXT) | instid1(VALU_DEP_1)
	v_add_f32_e32 v1, v12, v2
	v_sub_f32_e32 v12, v1, v12
	s_delay_alu instid0(VALU_DEP_1) | instskip(NEXT) | instid1(VALU_DEP_1)
	v_dual_sub_f32 v11, v9, v1 :: v_dual_sub_f32 v2, v12, v2
	v_sub_f32_e32 v9, v9, v11
	s_delay_alu instid0(VALU_DEP_1) | instskip(NEXT) | instid1(VALU_DEP_1)
	v_sub_f32_e32 v1, v9, v1
	v_add_f32_e32 v1, v2, v1
	s_delay_alu instid0(VALU_DEP_1) | instskip(NEXT) | instid1(VALU_DEP_1)
	v_add_f32_e32 v1, v11, v1
	v_mul_f32_e32 v1, v7, v1
	s_delay_alu instid0(VALU_DEP_1) | instskip(NEXT) | instid1(VALU_DEP_1)
	v_add_f32_e32 v7, v10, v1
	v_sub_f32_e32 v2, v7, v10
	s_delay_alu instid0(VALU_DEP_1) | instskip(NEXT) | instid1(VALU_DEP_1)
	v_dual_sub_f32 v10, v1, v2 :: v_dual_mul_f32 v9, v7, v7
	v_add_f32_e32 v1, v10, v10
	s_delay_alu instid0(VALU_DEP_2) | instskip(NEXT) | instid1(VALU_DEP_1)
	v_fma_f32 v11, v7, v7, -v9
	v_fmac_f32_e32 v11, v7, v1
	v_cvt_f64_f32_e32 v[1:2], v6
	s_delay_alu instid0(VALU_DEP_2) | instskip(NEXT) | instid1(VALU_DEP_1)
	v_add_f32_e32 v12, v9, v11
	v_fmaak_f32 v13, s2, v12, 0x3e91f4c4
	v_dual_sub_f32 v9, v12, v9 :: v_dual_mul_f32 v16, v7, v12
	s_delay_alu instid0(VALU_DEP_2) | instskip(NEXT) | instid1(VALU_DEP_2)
	v_fmaak_f32 v13, v12, v13, 0x3ecccdef
	v_sub_f32_e32 v9, v11, v9
	s_delay_alu instid0(VALU_DEP_2) | instskip(NEXT) | instid1(VALU_DEP_1)
	v_mul_f32_e32 v14, v12, v13
	v_fma_f32 v11, v12, v13, -v14
	s_delay_alu instid0(VALU_DEP_1) | instskip(NEXT) | instid1(VALU_DEP_1)
	v_fmac_f32_e32 v11, v9, v13
	v_add_f32_e32 v13, v14, v11
	v_frexp_exp_i32_f64_e32 v1, v[1:2]
	s_delay_alu instid0(VALU_DEP_2) | instskip(NEXT) | instid1(VALU_DEP_1)
	v_dual_sub_f32 v14, v13, v14 :: v_dual_add_f32 v15, 0x3f2aaaaa, v13
	v_dual_sub_f32 v2, v11, v14 :: v_dual_add_f32 v11, 0xbf2aaaaa, v15
	v_fma_f32 v14, v12, v7, -v16
	s_delay_alu instid0(VALU_DEP_2) | instskip(NEXT) | instid1(VALU_DEP_2)
	v_dual_add_f32 v2, 0x31739010, v2 :: v_dual_sub_f32 v11, v13, v11
	v_fmac_f32_e32 v14, v12, v10
	v_ldexp_f32 v10, v10, 1
	s_delay_alu instid0(VALU_DEP_3) | instskip(NEXT) | instid1(VALU_DEP_1)
	v_add_f32_e32 v2, v2, v11
	v_dual_fmac_f32 v14, v9, v7 :: v_dual_add_f32 v9, v15, v2
	s_delay_alu instid0(VALU_DEP_1) | instskip(NEXT) | instid1(VALU_DEP_1)
	v_dual_add_f32 v11, v16, v14 :: v_dual_sub_f32 v12, v15, v9
	v_mul_f32_e32 v13, v11, v9
	v_sub_f32_e32 v15, v11, v16
	s_delay_alu instid0(VALU_DEP_3) | instskip(NEXT) | instid1(VALU_DEP_3)
	v_add_f32_e32 v2, v2, v12
	v_fma_f32 v12, v11, v9, -v13
	s_delay_alu instid0(VALU_DEP_3) | instskip(NEXT) | instid1(VALU_DEP_2)
	v_sub_f32_e32 v14, v14, v15
	v_fmac_f32_e32 v12, v11, v2
	v_ldexp_f32 v2, v7, 1
	v_subrev_co_ci_u32_e64 v1, s1, 0, v1, s1
	s_delay_alu instid0(VALU_DEP_3) | instskip(NEXT) | instid1(VALU_DEP_2)
	v_fmac_f32_e32 v12, v14, v9
	v_cvt_f32_i32_e32 v1, v1
	s_delay_alu instid0(VALU_DEP_2) | instskip(NEXT) | instid1(VALU_DEP_1)
	v_add_f32_e32 v7, v13, v12
	v_add_f32_e32 v9, v2, v7
	s_delay_alu instid0(VALU_DEP_1) | instskip(NEXT) | instid1(VALU_DEP_1)
	v_dual_sub_f32 v2, v9, v2 :: v_dual_sub_f32 v11, v7, v13
	v_dual_mul_f32 v13, 0x3f317218, v1 :: v_dual_sub_f32 v2, v7, v2
	s_delay_alu instid0(VALU_DEP_2) | instskip(NEXT) | instid1(VALU_DEP_2)
	v_sub_f32_e32 v11, v12, v11
	v_fma_f32 v12, 0x3f317218, v1, -v13
	s_delay_alu instid0(VALU_DEP_2) | instskip(NEXT) | instid1(VALU_DEP_1)
	v_add_f32_e32 v7, v10, v11
	v_dual_fmamk_f32 v1, v1, 0xb102e308, v12 :: v_dual_add_f32 v2, v7, v2
	s_delay_alu instid0(VALU_DEP_1) | instskip(NEXT) | instid1(VALU_DEP_2)
	v_add_f32_e32 v7, v13, v1
	v_add_f32_e32 v10, v9, v2
	s_delay_alu instid0(VALU_DEP_1) | instskip(NEXT) | instid1(VALU_DEP_1)
	v_add_f32_e32 v11, v7, v10
	v_sub_f32_e32 v12, v11, v7
	v_sub_f32_e32 v13, v7, v13
	s_delay_alu instid0(VALU_DEP_2) | instskip(NEXT) | instid1(VALU_DEP_2)
	v_dual_sub_f32 v14, v11, v12 :: v_dual_sub_f32 v9, v10, v9
	v_sub_f32_e32 v1, v1, v13
	s_delay_alu instid0(VALU_DEP_2) | instskip(NEXT) | instid1(VALU_DEP_1)
	v_dual_sub_f32 v7, v7, v14 :: v_dual_sub_f32 v2, v2, v9
	v_dual_sub_f32 v9, v10, v12 :: v_dual_add_f32 v10, v1, v2
	s_delay_alu instid0(VALU_DEP_1) | instskip(NEXT) | instid1(VALU_DEP_2)
	v_add_f32_e32 v7, v9, v7
	v_sub_f32_e32 v9, v10, v1
	s_delay_alu instid0(VALU_DEP_2) | instskip(NEXT) | instid1(VALU_DEP_2)
	v_add_f32_e32 v7, v10, v7
	v_sub_f32_e32 v10, v10, v9
	s_delay_alu instid0(VALU_DEP_2) | instskip(NEXT) | instid1(VALU_DEP_1)
	v_add_f32_e32 v12, v11, v7
	v_dual_sub_f32 v2, v2, v9 :: v_dual_sub_f32 v9, v12, v11
	s_delay_alu instid0(VALU_DEP_3) | instskip(NEXT) | instid1(VALU_DEP_1)
	v_sub_f32_e32 v1, v1, v10
	v_add_f32_e32 v1, v2, v1
	s_delay_alu instid0(VALU_DEP_3) | instskip(NEXT) | instid1(VALU_DEP_1)
	v_sub_f32_e32 v2, v7, v9
	v_add_f32_e32 v1, v1, v2
	s_delay_alu instid0(VALU_DEP_1) | instskip(NEXT) | instid1(VALU_DEP_1)
	v_add_f32_e32 v2, v12, v1
	v_sub_f32_e32 v7, v2, v12
	v_mul_f32_e32 v9, v5, v2
	s_delay_alu instid0(VALU_DEP_2) | instskip(NEXT) | instid1(VALU_DEP_2)
	v_sub_f32_e32 v1, v1, v7
	v_fma_f32 v2, v5, v2, -v9
	v_cmp_class_f32_e64 s1, v9, 0x204
	s_delay_alu instid0(VALU_DEP_2) | instskip(NEXT) | instid1(VALU_DEP_1)
	v_fmac_f32_e32 v2, v5, v1
	v_add_f32_e32 v1, v9, v2
	s_delay_alu instid0(VALU_DEP_1) | instskip(SKIP_1) | instid1(VALU_DEP_2)
	v_cndmask_b32_e64 v7, v1, v9, s1
	v_sub_f32_e32 v1, v1, v9
	v_cmp_eq_f32_e64 s1, 0x42b17218, v7
	s_delay_alu instid0(VALU_DEP_2) | instskip(SKIP_1) | instid1(VALU_DEP_3)
	v_sub_f32_e32 v1, v2, v1
	v_trunc_f32_e32 v2, v5
	v_cndmask_b32_e64 v10, 0, 0x37000000, s1
	v_cmp_neq_f32_e64 s1, 0x7f800000, |v7|
	s_delay_alu instid0(VALU_DEP_2) | instskip(NEXT) | instid1(VALU_DEP_2)
	v_sub_f32_e32 v11, v7, v10
	v_cndmask_b32_e64 v1, 0, v1, s1
	s_delay_alu instid0(VALU_DEP_2) | instskip(SKIP_2) | instid1(VALU_DEP_4)
	v_mul_f32_e32 v12, 0x3fb8aa3b, v11
	v_cmp_ngt_f32_e64 s1, 0xc2ce8ed0, v11
	v_cmp_nlt_f32_e64 s0, 0x42b17218, v11
	v_add_f32_e32 v1, v10, v1
	s_delay_alu instid0(VALU_DEP_4) | instskip(SKIP_1) | instid1(VALU_DEP_1)
	v_fma_f32 v13, 0x3fb8aa3b, v11, -v12
	v_rndne_f32_e32 v14, v12
	v_dual_fmac_f32 v13, 0x32a5705f, v11 :: v_dual_sub_f32 v12, v12, v14
	v_cvt_i32_f32_e32 v9, v14
	s_delay_alu instid0(VALU_DEP_2) | instskip(NEXT) | instid1(VALU_DEP_1)
	v_dual_add_f32 v12, v12, v13 :: v_dual_mul_f32 v13, 0x3fb8aa3b, v8
	v_exp_f32_e32 v12, v12
	s_delay_alu instid0(VALU_DEP_1) | instskip(SKIP_1) | instid1(VALU_DEP_1)
	v_rndne_f32_e32 v15, v13
	v_fma_f32 v16, 0x3fb8aa3b, v8, -v13
	v_dual_sub_f32 v13, v13, v15 :: v_dual_fmac_f32 v16, 0x32a5705f, v8
	s_waitcnt_depctr 0xfff
	v_ldexp_f32 v9, v12, v9
	v_mul_f32_e32 v12, 0.5, v5
	s_delay_alu instid0(VALU_DEP_2) | instskip(NEXT) | instid1(VALU_DEP_2)
	v_cndmask_b32_e64 v7, 0, v9, s1
	v_trunc_f32_e32 v9, v12
	s_delay_alu instid0(VALU_DEP_2) | instskip(SKIP_1) | instid1(VALU_DEP_3)
	v_cndmask_b32_e64 v7, 0x7f800000, v7, s0
	v_cmp_eq_f32_e64 s0, v2, v5
	v_cmp_neq_f32_e64 s1, v9, v12
	v_cndmask_b32_e64 v2, v4, 1.0, vcc_lo
	v_cmp_neq_f32_e32 vcc_lo, v5, v0
	v_fma_f32 v1, v7, v1, v7
	v_cmp_class_f32_e64 s2, v7, 0x204
	s_and_b32 s1, s0, s1
	v_add_f32_e32 v4, v13, v16
	v_cndmask_b32_e64 v9, 1.0, v2, s1
	s_delay_alu instid0(VALU_DEP_3) | instskip(SKIP_1) | instid1(VALU_DEP_4)
	v_cndmask_b32_e64 v1, v1, v7, s2
	v_cmp_gt_f32_e64 s2, 1.0, v6
	v_exp_f32_e32 v4, v4
	s_delay_alu instid0(VALU_DEP_2) | instskip(NEXT) | instid1(VALU_DEP_2)
	v_bfi_b32 v1, 0x7fffffff, v1, v9
	s_xor_b32 s2, vcc_lo, s2
	v_cmp_eq_f32_e32 vcc_lo, 0, v2
	v_cndmask_b32_e64 v7, v0, 0, s2
	v_cvt_i32_f32_e32 v9, v15
	v_cndmask_b32_e64 v10, 0x7fc00000, v1, s0
	v_cmp_eq_f32_e64 s0, 1.0, v6
	s_delay_alu instid0(TRANS32_DEP_1) | instid1(VALU_DEP_3)
	v_ldexp_f32 v4, v4, v9
	s_delay_alu instid0(VALU_DEP_2) | instskip(SKIP_1) | instid1(SALU_CYCLE_1)
	v_cndmask_b32_e64 v7, v7, v6, s0
	s_xor_b32 s0, s3, vcc_lo
	v_cndmask_b32_e64 v11, 0x7f800000, 0, s0
	v_cmp_gt_f32_e64 s0, 0, v2
	s_delay_alu instid0(VALU_DEP_1) | instskip(SKIP_3) | instid1(VALU_DEP_2)
	v_cndmask_b32_e64 v1, v1, v10, s0
	v_cndmask_b32_e64 v10, 0, v2, s1
	v_cmp_eq_f32_e64 s1, 0x7f800000, v0
	v_cmp_eq_f32_e64 s0, 0x7f800000, v6
	v_cndmask_b32_e64 v0, v1, v7, s1
	s_delay_alu instid0(VALU_DEP_4) | instskip(SKIP_1) | instid1(VALU_DEP_4)
	v_bfi_b32 v1, 0x7fffffff, v11, v10
	v_cmp_ngt_f32_e64 s1, 0xc2ce8ed0, v8
	s_or_b32 vcc_lo, s0, vcc_lo
	s_delay_alu instid0(VALU_DEP_2) | instskip(NEXT) | instid1(VALU_DEP_2)
	v_cndmask_b32_e32 v0, v0, v1, vcc_lo
	v_cndmask_b32_e64 v4, 0, v4, s1
	v_cmp_nlt_f32_e32 vcc_lo, 0x42b17218, v8
	s_delay_alu instid0(VALU_DEP_2) | instskip(SKIP_2) | instid1(VALU_DEP_1)
	v_cndmask_b32_e32 v1, 0x7f800000, v4, vcc_lo
	v_cmp_o_f32_e32 vcc_lo, v2, v5
	v_cndmask_b32_e32 v0, 0x7fc00000, v0, vcc_lo
	v_mul_f32_e32 v0, v1, v0
	s_delay_alu instid0(VALU_DEP_1)
	v_mul_f32_e32 v2, v0, v3
.LBB14_11:
	s_or_b32 exec_lo, exec_lo, s5
                                        ; implicit-def: $vgpr1
                                        ; implicit-def: $vgpr0
	s_and_not1_saveexec_b32 s2, s4
	s_cbranch_execz .LBB14_2
.LBB14_12:
	v_and_b32_e32 v2, 0x7fffffff, v0
	s_mov_b32 s1, exec_lo
                                        ; implicit-def: $vgpr3
	v_cmpx_ngt_f32_e64 0x3c800000, |v0|
	s_xor_b32 s1, exec_lo, s1
	s_cbranch_execz .LBB14_42
; %bb.13:
	s_mov_b32 s3, exec_lo
                                        ; implicit-def: $vgpr3
	v_cmpx_nlt_f32_e64 |v0|, 2.0
	s_xor_b32 s3, exec_lo, s3
	s_cbranch_execz .LBB14_23
; %bb.14:
	v_cmp_ngt_f32_e64 s0, 0x41000000, |v0|
                                        ; implicit-def: $vgpr3
	s_delay_alu instid0(VALU_DEP_1) | instskip(NEXT) | instid1(SALU_CYCLE_1)
	s_and_saveexec_b32 s4, s0
	s_xor_b32 s0, exec_lo, s4
	s_cbranch_execz .LBB14_20
; %bb.15:
	v_cmp_ngt_f32_e64 s4, 0x5c800000, |v0|
                                        ; implicit-def: $vgpr3
	s_delay_alu instid0(VALU_DEP_1) | instskip(NEXT) | instid1(SALU_CYCLE_1)
	s_and_saveexec_b32 s5, s4
	s_xor_b32 s4, exec_lo, s5
	s_cbranch_execz .LBB14_17
; %bb.16:
	v_cmp_gt_f32_e64 s5, 0x800000, |v0|
	s_delay_alu instid0(VALU_DEP_1) | instskip(NEXT) | instid1(VALU_DEP_1)
	v_cndmask_b32_e64 v3, 1.0, 0x4f800000, s5
	v_mul_f32_e64 v3, |v0|, v3
	s_delay_alu instid0(VALU_DEP_1) | instskip(SKIP_3) | instid1(VALU_DEP_2)
	v_log_f32_e32 v3, v3
	s_waitcnt_depctr 0xfff
	v_mul_f32_e32 v4, 0x3f317217, v3
	v_cmp_gt_f32_e64 vcc_lo, 0x7f800000, |v3|
	v_fma_f32 v5, 0x3f317217, v3, -v4
	s_delay_alu instid0(VALU_DEP_1) | instskip(NEXT) | instid1(VALU_DEP_1)
	v_fmamk_f32 v5, v3, 0x3377d1cf, v5
	v_add_f32_e32 v4, v4, v5
	s_delay_alu instid0(VALU_DEP_1) | instskip(SKIP_1) | instid1(VALU_DEP_1)
	v_cndmask_b32_e32 v3, v3, v4, vcc_lo
	v_cndmask_b32_e64 v4, 0, 0x41b17218, s5
	v_sub_f32_e32 v3, v3, v4
	s_delay_alu instid0(VALU_DEP_1)
	v_fma_f32 v3, |v0|, v3, -|v0|
.LBB14_17:
	s_and_not1_saveexec_b32 s4, s4
	s_cbranch_execz .LBB14_19
; %bb.18:
	v_cmp_gt_f32_e64 s5, 0x800000, |v0|
	v_rcp_f32_e64 v4, |v0|
	s_mov_b32 s6, 0xbad5c4e8
	s_delay_alu instid0(VALU_DEP_1) | instskip(NEXT) | instid1(VALU_DEP_1)
	v_cndmask_b32_e64 v3, 1.0, 0x4f800000, s5
	v_mul_f32_e64 v3, |v0|, v3
	s_delay_alu instid0(VALU_DEP_1) | instskip(SKIP_3) | instid1(VALU_DEP_2)
	v_log_f32_e32 v3, v3
	s_waitcnt_depctr 0xfff
	v_dual_mul_f32 v5, v4, v4 :: v_dual_mul_f32 v6, 0x3f317217, v3
	v_cmp_gt_f32_e64 vcc_lo, 0x7f800000, |v3|
	v_fma_f32 v8, 0x3f317217, v3, -v6
	s_delay_alu instid0(VALU_DEP_1) | instskip(NEXT) | instid1(VALU_DEP_1)
	v_fmamk_f32 v8, v3, 0x3377d1cf, v8
	v_dual_fmaak_f32 v7, s6, v5, 0x3a5b3dd2 :: v_dual_add_f32 v6, v6, v8
	s_delay_alu instid0(VALU_DEP_1) | instskip(SKIP_1) | instid1(VALU_DEP_1)
	v_cndmask_b32_e32 v3, v3, v6, vcc_lo
	v_cndmask_b32_e64 v6, 0, 0x41b17218, s5
	v_dual_fmaak_f32 v7, v5, v7, 0xba1c065c :: v_dual_sub_f32 v6, v3, v6
	s_delay_alu instid0(VALU_DEP_1) | instskip(NEXT) | instid1(VALU_DEP_1)
	v_fmaak_f32 v7, v5, v7, 0x3a500cfd
	v_fmaak_f32 v7, v5, v7, 0xbb360b61
	s_delay_alu instid0(VALU_DEP_1) | instskip(NEXT) | instid1(VALU_DEP_1)
	v_fmaak_f32 v5, v5, v7, 0x3daaaaab
	v_fmaak_f32 v3, v4, v5, 0x3ed67f1d
	v_add_f32_e64 v4, |v0|, -0.5
	v_add_f32_e32 v5, -1.0, v6
	s_delay_alu instid0(VALU_DEP_1)
	v_fmac_f32_e32 v3, v4, v5
.LBB14_19:
	s_or_b32 exec_lo, exec_lo, s4
.LBB14_20:
	s_and_not1_saveexec_b32 s4, s0
	s_cbranch_execz .LBB14_22
; %bb.21:
	v_cvt_i32_f32_e32 v3, v2
	s_mov_b32 s5, 0x3805ff67
	s_mov_b32 s0, 0x36f5d7bd
	s_delay_alu instid0(VALU_DEP_1) | instskip(SKIP_1) | instid1(VALU_DEP_2)
	v_cvt_f32_i32_e32 v4, v3
	v_cmp_lt_i32_e32 vcc_lo, 2, v3
	v_sub_f32_e64 v4, |v0|, v4
	s_delay_alu instid0(VALU_DEP_1) | instskip(SKIP_2) | instid1(VALU_DEP_2)
	v_add_f32_e32 v6, 0x40400000, v4
	v_add_f32_e32 v5, 2.0, v4
	v_add_f32_e32 v7, 4.0, v4
	v_cndmask_b32_e32 v5, 1.0, v5, vcc_lo
	v_cmp_lt_i32_e32 vcc_lo, 3, v3
	v_cndmask_b32_e32 v6, 1.0, v6, vcc_lo
	v_cmp_lt_i32_e32 vcc_lo, 4, v3
	s_delay_alu instid0(VALU_DEP_2) | instskip(SKIP_2) | instid1(VALU_DEP_2)
	v_dual_add_f32 v8, 0x40a00000, v4 :: v_dual_mul_f32 v5, v5, v6
	v_dual_add_f32 v6, 0x40c00000, v4 :: v_dual_cndmask_b32 v7, 1.0, v7
	v_cmp_lt_i32_e32 vcc_lo, 5, v3
	v_dual_mul_f32 v5, v7, v5 :: v_dual_cndmask_b32 v8, 1.0, v8
	v_cmp_lt_i32_e32 vcc_lo, 6, v3
	v_fmaak_f32 v7, s5, v4, 0x3af135b4
	s_delay_alu instid0(VALU_DEP_3) | instskip(SKIP_1) | instid1(VALU_DEP_1)
	v_mul_f32_e32 v5, v8, v5
	v_cndmask_b32_e32 v3, 1.0, v6, vcc_lo
	v_mul_f32_e32 v3, v3, v5
	s_delay_alu instid0(VALU_DEP_1) | instskip(SKIP_1) | instid1(VALU_DEP_1)
	v_cmp_gt_f32_e32 vcc_lo, 0x800000, v3
	v_cndmask_b32_e64 v6, 1.0, 0x4f800000, vcc_lo
	v_dual_mul_f32 v3, v3, v6 :: v_dual_fmaak_f32 v6, v4, v7, 0x3cda40e4
	s_delay_alu instid0(VALU_DEP_1) | instskip(NEXT) | instid1(VALU_DEP_1)
	v_log_f32_e32 v3, v3
	v_fmaak_f32 v6, v4, v6, 0x3e15dce6
	s_delay_alu instid0(VALU_DEP_1) | instskip(SKIP_2) | instid1(VALU_DEP_1)
	v_fmaak_f32 v6, v4, v6, 0x3ea6cc7a
	s_waitcnt_depctr 0xfff
	v_mul_f32_e32 v7, 0x3f317217, v3
	v_fma_f32 v8, 0x3f317217, v3, -v7
	s_delay_alu instid0(VALU_DEP_1) | instskip(NEXT) | instid1(VALU_DEP_1)
	v_fmamk_f32 v8, v3, 0x3377d1cf, v8
	v_dual_fmaak_f32 v6, v4, v6, 0x3e5c245a :: v_dual_add_f32 v7, v7, v8
	s_delay_alu instid0(VALU_DEP_1) | instskip(SKIP_2) | instid1(VALU_DEP_3)
	v_fmaak_f32 v6, v4, v6, 0xbd9e233f
	v_fmaak_f32 v5, s0, v4, 0x3a4beed6
	v_cmp_gt_f32_e64 s0, 0x7f800000, |v3|
	v_mul_f32_e32 v6, v4, v6
	s_delay_alu instid0(VALU_DEP_3) | instskip(NEXT) | instid1(VALU_DEP_3)
	v_fmaak_f32 v5, v4, v5, 0x3c98bf54
	v_cndmask_b32_e64 v3, v3, v7, s0
	s_delay_alu instid0(VALU_DEP_2) | instskip(NEXT) | instid1(VALU_DEP_1)
	v_fmaak_f32 v5, v4, v5, 0x3e300f6e
	v_fmaak_f32 v5, v4, v5, 0x3f38d0c5
	s_delay_alu instid0(VALU_DEP_1) | instskip(NEXT) | instid1(VALU_DEP_1)
	v_fmaak_f32 v5, v4, v5, 0x3fb22d3b
	v_fma_f32 v5, v4, v5, 1.0
	s_delay_alu instid0(VALU_DEP_1) | instskip(SKIP_3) | instid1(VALU_DEP_2)
	v_rcp_f32_e32 v5, v5
	s_waitcnt_depctr 0xfff
	v_mul_f32_e32 v5, v6, v5
	v_cndmask_b32_e64 v6, 0, 0x41b17218, vcc_lo
	v_fmac_f32_e32 v5, 0.5, v4
	s_delay_alu instid0(VALU_DEP_2) | instskip(NEXT) | instid1(VALU_DEP_1)
	v_sub_f32_e32 v3, v3, v6
	v_add_f32_e32 v3, v3, v5
.LBB14_22:
	s_or_b32 exec_lo, exec_lo, s4
.LBB14_23:
	s_and_not1_saveexec_b32 s3, s3
	s_cbranch_execz .LBB14_41
; %bb.24:
	s_mov_b32 s4, exec_lo
                                        ; implicit-def: $vgpr3
                                        ; implicit-def: $vgpr5
                                        ; implicit-def: $vgpr4
	v_cmpx_ge_f32_e64 0x3f666666, |v0|
	s_xor_b32 s4, exec_lo, s4
	s_cbranch_execz .LBB14_26
; %bb.25:
	v_cmp_gt_f32_e64 s0, 0x800000, |v0|
	v_sub_f32_e64 v6, 1.0, |v0|
	v_cmp_gt_f32_e64 vcc_lo, 0x3f3b4a23, |v0|
	s_delay_alu instid0(VALU_DEP_3) | instskip(SKIP_1) | instid1(VALU_DEP_2)
	v_cndmask_b32_e64 v3, 1.0, 0x4f800000, s0
	v_cndmask_b32_e64 v7, 0, 0x41b17218, s0
	v_mul_f32_e64 v3, |v0|, v3
	s_delay_alu instid0(VALU_DEP_1) | instskip(SKIP_3) | instid1(VALU_DEP_2)
	v_log_f32_e32 v3, v3
	s_waitcnt_depctr 0xfff
	v_mul_f32_e32 v4, 0x3f317217, v3
	v_cmp_gt_f32_e64 s0, 0x7f800000, |v3|
	v_fma_f32 v5, 0x3f317217, v3, -v4
	s_delay_alu instid0(VALU_DEP_1) | instskip(NEXT) | instid1(VALU_DEP_1)
	v_fmamk_f32 v5, v3, 0x3377d1cf, v5
	v_add_f32_e32 v4, v4, v5
	v_add_f32_e64 v5, 0xbeec5b0c, |v0|
	s_delay_alu instid0(VALU_DEP_2) | instskip(NEXT) | instid1(VALU_DEP_2)
	v_cndmask_b32_e64 v3, v3, v4, s0
	v_cndmask_b32_e32 v4, v6, v5, vcc_lo
	v_cndmask_b32_e64 v5, 0, 1, vcc_lo
	v_cmp_gt_f32_e64 s0, 0x3e6d3309, |v0|
	s_delay_alu instid0(VALU_DEP_4) | instskip(NEXT) | instid1(VALU_DEP_2)
	v_sub_f32_e32 v3, v3, v7
	v_cndmask_b32_e64 v4, v4, |v0|, s0
	s_delay_alu instid0(VALU_DEP_4) | instskip(NEXT) | instid1(VALU_DEP_3)
	v_cndmask_b32_e64 v5, v5, 2, s0
	v_xor_b32_e32 v3, 0x80000000, v3
.LBB14_26:
	s_and_not1_saveexec_b32 s0, s4
; %bb.27:
	v_sub_f32_e64 v3, 2.0, |v0|
	v_add_f32_e64 v4, 0xbfbb16c3, |v0|
	v_cmp_gt_f32_e64 vcc_lo, 0x3fdda512, |v0|
	v_add_f32_e64 v5, |v0|, -1.0
	s_delay_alu instid0(VALU_DEP_3) | instskip(NEXT) | instid1(VALU_DEP_3)
	v_cndmask_b32_e32 v4, v3, v4, vcc_lo
	v_cndmask_b32_e64 v3, v3, 1.0, vcc_lo
	v_cmp_gt_f32_e64 vcc_lo, 0x3f9d70a4, |v0|
	s_delay_alu instid0(VALU_DEP_2) | instskip(NEXT) | instid1(VALU_DEP_4)
	v_cvt_i32_f32_e32 v3, v3
	v_cndmask_b32_e32 v4, v4, v5, vcc_lo
	s_delay_alu instid0(VALU_DEP_2)
	v_cndmask_b32_e64 v5, v3, 2, vcc_lo
	v_mov_b32_e32 v3, 0
; %bb.28:
	s_or_b32 exec_lo, exec_lo, s0
	s_delay_alu instid0(SALU_CYCLE_1) | instskip(NEXT) | instid1(VALU_DEP_2)
	s_mov_b32 s0, exec_lo
	v_cmpx_lt_i32_e32 0, v5
	s_xor_b32 s0, exec_lo, s0
	s_cbranch_execz .LBB14_36
; %bb.29:
	s_mov_b32 s4, exec_lo
	v_cmpx_lt_i32_e32 1, v5
	s_xor_b32 s4, exec_lo, s4
	s_cbranch_execz .LBB14_33
; %bb.30:
	s_mov_b32 s5, exec_lo
	v_cmpx_eq_u32_e32 2, v5
	s_cbranch_execz .LBB14_32
; %bb.31:
	s_mov_b32 s6, 0x3b52d5db
	s_delay_alu instid0(SALU_CYCLE_1) | instskip(SKIP_1) | instid1(SALU_CYCLE_1)
	v_fmaak_f32 v5, s6, v4, 0x3dd572af
	s_mov_b32 s6, 0x3c5b3c5e
	v_fmaak_f32 v6, s6, v4, 0x3e6a7578
	s_delay_alu instid0(VALU_DEP_1) | instskip(NEXT) | instid1(VALU_DEP_1)
	v_fmaak_f32 v6, v4, v6, 0x3f7a4bb2
	v_fmaak_f32 v6, v4, v6, 0x3fba3ae7
	s_delay_alu instid0(VALU_DEP_1) | instskip(NEXT) | instid1(VALU_DEP_1)
	v_fmaak_f32 v6, v4, v6, 0x3f2200f4
	v_fmaak_f32 v6, v4, v6, 0xbd9e233f
	s_delay_alu instid0(VALU_DEP_1) | instskip(SKIP_1) | instid1(VALU_DEP_1)
	v_mul_f32_e32 v6, v4, v6
	v_fmaak_f32 v5, v4, v5, 0x3f44efdf
	v_fmaak_f32 v5, v4, v5, 0x4008392d
	s_delay_alu instid0(VALU_DEP_1) | instskip(NEXT) | instid1(VALU_DEP_1)
	v_fmaak_f32 v5, v4, v5, 0x401d2ebe
	v_fma_f32 v5, v4, v5, 1.0
	s_delay_alu instid0(VALU_DEP_1) | instskip(SKIP_2) | instid1(VALU_DEP_1)
	v_rcp_f32_e32 v5, v5
	s_waitcnt_depctr 0xfff
	v_mul_f32_e32 v5, v6, v5
	v_fmac_f32_e32 v5, -0.5, v4
	s_delay_alu instid0(VALU_DEP_1)
	v_add_f32_e32 v3, v3, v5
.LBB14_32:
	s_or_b32 exec_lo, exec_lo, s5
                                        ; implicit-def: $vgpr4
.LBB14_33:
	s_and_not1_saveexec_b32 s4, s4
	s_cbranch_execz .LBB14_35
; %bb.34:
	s_mov_b32 s6, 0x39afe9f7
	v_mul_f32_e32 v5, v4, v4
	s_mov_b32 s5, 0xb9a3f927
	s_delay_alu instid0(VALU_DEP_1) | instskip(NEXT) | instid1(VALU_DEP_1)
	v_mul_f32_e32 v6, v4, v5
	v_fmaak_f32 v7, s5, v6, 0x3a66f867
	v_fmaak_f32 v8, s6, v6, 0xba0d3085
	s_mov_b32 s5, 0x39a57b6b
	s_delay_alu instid0(SALU_CYCLE_1) | instskip(NEXT) | instid1(VALU_DEP_3)
	v_fmaak_f32 v9, s5, v6, 0xbab7f476
	v_fmaak_f32 v7, v6, v7, 0xbb7177fe
	s_delay_alu instid0(VALU_DEP_3) | instskip(NEXT) | instid1(VALU_DEP_3)
	v_fmaak_f32 v8, v6, v8, 0x3b141699
	v_fmaak_f32 v9, v6, v9, 0x3bc7e707
	s_delay_alu instid0(VALU_DEP_3) | instskip(NEXT) | instid1(VALU_DEP_3)
	;; [unrolled: 3-line block ×3, first 2 shown]
	v_fmaak_f32 v9, v6, v9, 0xbd064d47
	v_fmaak_f32 v7, v6, v7, 0xbe17213c
	s_delay_alu instid0(VALU_DEP_3) | instskip(NEXT) | instid1(VALU_DEP_1)
	v_fmaak_f32 v8, v6, v8, 0x3d845a15
	v_dual_fmac_f32 v7, v4, v8 :: v_dual_fmaak_f32 v4, v6, v9, 0x3ef7b95e
	s_delay_alu instid0(VALU_DEP_1) | instskip(NEXT) | instid1(VALU_DEP_1)
	v_fma_f32 v6, v6, -v7, 0xa2863e55
	v_fma_f32 v4, v5, v4, -v6
	s_delay_alu instid0(VALU_DEP_1) | instskip(NEXT) | instid1(VALU_DEP_1)
	v_add_f32_e32 v4, 0xbdf8cdce, v4
	v_add_f32_e32 v3, v3, v4
.LBB14_35:
	s_or_b32 exec_lo, exec_lo, s4
                                        ; implicit-def: $vgpr5
                                        ; implicit-def: $vgpr4
.LBB14_36:
	s_and_not1_saveexec_b32 s0, s0
	s_cbranch_execz .LBB14_40
; %bb.37:
	s_mov_b32 s4, exec_lo
	v_cmpx_eq_u32_e32 0, v5
	s_cbranch_execz .LBB14_39
; %bb.38:
	v_mul_f32_e32 v5, v4, v4
	s_mov_b32 s5, 0x383c2c75
	s_delay_alu instid0(VALU_DEP_1) | instid1(SALU_CYCLE_1)
	v_fmaak_f32 v6, s5, v5, 0x38e28445
	s_mov_b32 s5, 0x37d383a2
	s_delay_alu instid0(SALU_CYCLE_1) | instskip(NEXT) | instid1(VALU_DEP_2)
	v_fmaak_f32 v7, s5, v5, 0x39679767
	v_fmaak_f32 v6, v5, v6, 0x3a05b634
	s_delay_alu instid0(VALU_DEP_2) | instskip(NEXT) | instid1(VALU_DEP_2)
	v_fmaak_f32 v7, v5, v7, 0x3a9c54a1
	v_fmaak_f32 v6, v5, v6, 0x3b3d6ec6
	s_delay_alu instid0(VALU_DEP_2) | instskip(NEXT) | instid1(VALU_DEP_2)
	;; [unrolled: 3-line block ×4, first 2 shown]
	v_fmaak_f32 v7, v5, v7, 0x3d9e233f
	v_mul_f32_e32 v5, v5, v6
	s_delay_alu instid0(VALU_DEP_1) | instskip(NEXT) | instid1(VALU_DEP_1)
	v_fmac_f32_e32 v5, v4, v7
	v_fmac_f32_e32 v5, -0.5, v4
	s_delay_alu instid0(VALU_DEP_1)
	v_add_f32_e32 v3, v3, v5
.LBB14_39:
	s_or_b32 exec_lo, exec_lo, s4
.LBB14_40:
	s_delay_alu instid0(SALU_CYCLE_1)
	s_or_b32 exec_lo, exec_lo, s0
.LBB14_41:
	s_delay_alu instid0(SALU_CYCLE_1)
	s_or_b32 exec_lo, exec_lo, s3
.LBB14_42:
	s_and_not1_saveexec_b32 s0, s1
	s_cbranch_execz .LBB14_44
; %bb.43:
	v_cmp_gt_f32_e64 s1, 0x800000, |v0|
	s_mov_b32 s3, 0x3e8a8991
	s_delay_alu instid0(SALU_CYCLE_1) | instskip(NEXT) | instid1(VALU_DEP_2)
	v_fma_f32 v6, |v0|, s3, 0xbecd26ab
	v_cndmask_b32_e64 v3, 1.0, 0x4f800000, s1
	s_delay_alu instid0(VALU_DEP_1) | instskip(NEXT) | instid1(VALU_DEP_1)
	v_mul_f32_e64 v3, |v0|, v3
	v_log_f32_e32 v3, v3
	s_waitcnt_depctr 0xfff
	v_mul_f32_e32 v4, 0x3f317217, v3
	v_cmp_gt_f32_e64 vcc_lo, 0x7f800000, |v3|
	s_delay_alu instid0(VALU_DEP_2) | instskip(NEXT) | instid1(VALU_DEP_1)
	v_fma_f32 v5, 0x3f317217, v3, -v4
	v_fmamk_f32 v5, v3, 0x3377d1cf, v5
	s_delay_alu instid0(VALU_DEP_1) | instskip(SKIP_1) | instid1(VALU_DEP_2)
	v_add_f32_e32 v4, v4, v5
	v_fma_f32 v5, |v0|, v6, 0x3f528d33
	v_cndmask_b32_e32 v3, v3, v4, vcc_lo
	v_cndmask_b32_e64 v4, 0, 0x41b17218, s1
	s_delay_alu instid0(VALU_DEP_3) | instskip(NEXT) | instid1(VALU_DEP_2)
	v_fma_f32 v5, |v0|, v5, 0xbf13c468
	v_sub_f32_e32 v3, v3, v4
	s_delay_alu instid0(VALU_DEP_1)
	v_fma_f32 v3, |v0|, v5, -v3
.LBB14_44:
	s_or_b32 exec_lo, exec_lo, s0
	v_cmp_le_f32_e32 vcc_lo, 0, v0
	s_mov_b32 s1, exec_lo
	v_cmpx_nle_f32_e32 0, v0
	s_xor_b32 s3, exec_lo, s1
	s_cbranch_execz .LBB14_48
; %bb.45:
	v_cmp_gt_f32_e64 s0, 0x4b000000, |v0|
	v_cmp_lt_f32_e64 s1, 0x35000000, |v0|
	s_delay_alu instid0(VALU_DEP_1) | instskip(NEXT) | instid1(SALU_CYCLE_1)
	s_and_b32 s0, s0, s1
	s_and_saveexec_b32 s4, s0
	s_cbranch_execz .LBB14_47
; %bb.46:
	v_mul_f32_e64 v4, |v0|, 0.5
	s_mov_b32 s1, 0x3d4be544
	v_xor_b32_e32 v2, v2, v0
	s_delay_alu instid0(VALU_DEP_2) | instskip(SKIP_1) | instid1(VALU_DEP_2)
	v_floor_f32_e32 v5, v4
	v_cmp_neq_f32_e64 s0, 0x7f800000, v4
	v_sub_f32_e32 v5, v4, v5
	s_delay_alu instid0(VALU_DEP_1) | instskip(NEXT) | instid1(VALU_DEP_1)
	v_min_f32_e32 v5, 0x3f7fffff, v5
	v_add_f32_e32 v5, v5, v5
	s_delay_alu instid0(VALU_DEP_1) | instskip(SKIP_1) | instid1(VALU_DEP_1)
	v_cndmask_b32_e64 v4, 0, v5, s0
	v_cmp_gt_f32_e64 s0, |v0|, 1.0
	v_cndmask_b32_e64 v4, |v0|, v4, s0
	s_mov_b32 s0, 0x3e75aa41
	s_delay_alu instid0(VALU_DEP_1) | instskip(NEXT) | instid1(VALU_DEP_1)
	v_add_f32_e32 v5, v4, v4
	v_rndne_f32_e32 v5, v5
	s_delay_alu instid0(VALU_DEP_1) | instskip(SKIP_1) | instid1(VALU_DEP_2)
	v_fmac_f32_e32 v4, -0.5, v5
	v_cvt_i32_f32_e32 v5, v5
	v_mul_f32_e32 v6, v4, v4
	s_delay_alu instid0(VALU_DEP_1) | instskip(SKIP_1) | instid1(VALU_DEP_2)
	v_fmaak_f32 v7, s0, v6, 0xbf1f24be
	v_fmaak_f32 v8, s1, v6, 0x3e642e9d
	;; [unrolled: 1-line block ×3, first 2 shown]
	s_delay_alu instid0(VALU_DEP_2) | instskip(NEXT) | instid1(VALU_DEP_2)
	v_dual_fmaak_f32 v8, v6, v8, 0xbfaad1da :: v_dual_mul_f32 v9, v4, v6
	v_fmaak_f32 v7, v6, v7, 0xc0a55e0e
	s_delay_alu instid0(VALU_DEP_1) | instskip(NEXT) | instid1(VALU_DEP_1)
	v_dual_fmaak_f32 v8, v6, v8, 0x4081e0d3 :: v_dual_mul_f32 v7, v9, v7
	v_dual_fmaak_f32 v8, v6, v8, 0xc09de9e6 :: v_dual_and_b32 v9, 1, v5
	s_delay_alu instid0(VALU_DEP_2) | instskip(NEXT) | instid1(VALU_DEP_2)
	v_dual_fmamk_f32 v4, v4, 0x40490fdb, v7 :: v_dual_lshlrev_b32 v5, 30, v5
	v_fma_f32 v6, v6, v8, 1.0
	s_delay_alu instid0(VALU_DEP_3) | instskip(NEXT) | instid1(VALU_DEP_3)
	v_cmp_eq_u32_e64 s0, 0, v9
	v_and_b32_e32 v5, 0x80000000, v5
	s_delay_alu instid0(VALU_DEP_2) | instskip(NEXT) | instid1(VALU_DEP_1)
	v_cndmask_b32_e64 v4, v6, v4, s0
	v_xor3_b32 v2, v2, v5, v4
	s_delay_alu instid0(VALU_DEP_1) | instskip(NEXT) | instid1(VALU_DEP_1)
	v_mul_f32_e32 v2, v2, v0
	v_frexp_mant_f32_e64 v4, |v2|
	v_frexp_exp_i32_f32_e32 v2, v2
	s_delay_alu instid0(VALU_DEP_2) | instskip(NEXT) | instid1(VALU_DEP_1)
	v_rcp_f32_e32 v4, v4
	v_sub_nc_u32_e32 v2, 2, v2
	s_waitcnt_depctr 0xfff
	v_mul_f32_e32 v4, 0x3f490fdb, v4
	s_delay_alu instid0(VALU_DEP_1) | instskip(NEXT) | instid1(VALU_DEP_1)
	v_ldexp_f32 v2, v4, v2
	v_cmp_gt_f32_e64 s0, 0x800000, v2
	s_delay_alu instid0(VALU_DEP_1) | instskip(NEXT) | instid1(VALU_DEP_1)
	v_cndmask_b32_e64 v4, 1.0, 0x4f800000, s0
	v_mul_f32_e32 v2, v2, v4
	s_delay_alu instid0(VALU_DEP_1) | instskip(SKIP_3) | instid1(VALU_DEP_2)
	v_log_f32_e32 v2, v2
	s_waitcnt_depctr 0xfff
	v_mul_f32_e32 v4, 0x3f317217, v2
	v_cmp_gt_f32_e64 s1, 0x7f800000, |v2|
	v_fma_f32 v5, 0x3f317217, v2, -v4
	s_delay_alu instid0(VALU_DEP_1) | instskip(NEXT) | instid1(VALU_DEP_1)
	v_fmamk_f32 v5, v2, 0x3377d1cf, v5
	v_add_f32_e32 v4, v4, v5
	v_floor_f32_e32 v5, v0
	s_delay_alu instid0(VALU_DEP_2) | instskip(NEXT) | instid1(VALU_DEP_2)
	v_cndmask_b32_e64 v2, v2, v4, s1
	v_sub_f32_e32 v5, v0, v5
	v_cndmask_b32_e64 v4, 0, 0x41b17218, s0
	s_delay_alu instid0(VALU_DEP_1) | instskip(NEXT) | instid1(VALU_DEP_3)
	v_sub_f32_e32 v2, v2, v4
	v_min_f32_e32 v4, 0x3f7fffff, v5
	s_delay_alu instid0(VALU_DEP_2) | instskip(NEXT) | instid1(VALU_DEP_2)
	v_sub_f32_e32 v2, v2, v3
	v_cmp_neq_f32_e64 s0, 0, v4
	s_delay_alu instid0(VALU_DEP_1)
	v_cndmask_b32_e64 v3, 0x7f800000, v2, s0
.LBB14_47:
	s_or_b32 exec_lo, exec_lo, s4
.LBB14_48:
	s_and_not1_saveexec_b32 s3, s3
; %bb.49:
	v_cmp_eq_f32_e64 s0, 1.0, v0
	v_cmp_eq_f32_e64 s1, 2.0, v0
	s_delay_alu instid0(VALU_DEP_1) | instskip(NEXT) | instid1(SALU_CYCLE_1)
	s_or_b32 s0, s0, s1
	v_cndmask_b32_e64 v3, v3, 0, s0
; %bb.50:
	s_or_b32 exec_lo, exec_lo, s3
	v_cmp_gt_f32_e64 s0, 0x800000, v1
	v_cmp_gt_f32_e64 s1, 0x4b000000, |v0|
	s_delay_alu instid0(VALU_DEP_2) | instskip(NEXT) | instid1(VALU_DEP_2)
	v_cndmask_b32_e64 v2, 1.0, 0x4f800000, s0
	s_or_b32 vcc_lo, vcc_lo, s1
	s_delay_alu instid0(VALU_DEP_1) | instskip(NEXT) | instid1(VALU_DEP_1)
	v_dual_cndmask_b32 v3, 0x7f800000, v3 :: v_dual_mul_f32 v2, v1, v2
	v_log_f32_e32 v2, v2
	s_waitcnt_depctr 0xfff
	v_mul_f32_e32 v4, 0x3f317217, v2
	v_cmp_gt_f32_e64 vcc_lo, 0x7f800000, |v2|
	s_delay_alu instid0(VALU_DEP_2) | instskip(NEXT) | instid1(VALU_DEP_1)
	v_fma_f32 v5, 0x3f317217, v2, -v4
	v_fmamk_f32 v5, v2, 0x3377d1cf, v5
	s_delay_alu instid0(VALU_DEP_1) | instskip(SKIP_2) | instid1(VALU_DEP_3)
	v_add_f32_e32 v4, v4, v5
	v_cndmask_b32_e64 v5, 0, 0x41b17218, s0
	v_cmp_class_f32_e64 s0, v0, 0x264
	v_cndmask_b32_e32 v2, v2, v4, vcc_lo
	v_cmp_u_f32_e32 vcc_lo, v0, v0
	s_delay_alu instid0(VALU_DEP_3) | instskip(SKIP_1) | instid1(VALU_DEP_1)
	v_cndmask_b32_e64 v3, v3, 0x7f800000, s0
	s_mov_b32 s0, exec_lo
	v_dual_sub_f32 v2, v2, v5 :: v_dual_cndmask_b32 v3, v3, v0
	s_delay_alu instid0(VALU_DEP_1) | instskip(SKIP_1) | instid1(VALU_DEP_2)
	v_fma_f32 v0, v2, v0, -v1
	v_mov_b32_e32 v2, 0
	v_sub_f32_e32 v0, v0, v3
	s_delay_alu instid0(VALU_DEP_1)
	v_cmpx_ngt_f32_e32 0xc2b17218, v0
	s_cbranch_execz .LBB14_52
; %bb.51:
	v_mul_f32_e32 v1, 0x3fb8aa3b, v0
	v_cmp_ngt_f32_e32 vcc_lo, 0xc2ce8ed0, v0
	s_delay_alu instid0(VALU_DEP_2) | instskip(SKIP_1) | instid1(VALU_DEP_2)
	v_rndne_f32_e32 v2, v1
	v_fma_f32 v3, 0x3fb8aa3b, v0, -v1
	v_sub_f32_e32 v1, v1, v2
	s_delay_alu instid0(VALU_DEP_2) | instskip(SKIP_1) | instid1(VALU_DEP_2)
	v_fmamk_f32 v3, v0, 0x32a5705f, v3
	v_cvt_i32_f32_e32 v2, v2
	v_add_f32_e32 v1, v1, v3
	s_delay_alu instid0(VALU_DEP_1) | instskip(SKIP_2) | instid1(VALU_DEP_1)
	v_exp_f32_e32 v1, v1
	s_waitcnt_depctr 0xfff
	v_ldexp_f32 v1, v1, v2
	v_cndmask_b32_e32 v1, 0, v1, vcc_lo
	v_cmp_nlt_f32_e32 vcc_lo, 0x42b17218, v0
	s_delay_alu instid0(VALU_DEP_2)
	v_cndmask_b32_e32 v2, 0x7f800000, v1, vcc_lo
.LBB14_52:
	s_or_b32 exec_lo, exec_lo, s0
	s_delay_alu instid0(SALU_CYCLE_1) | instskip(NEXT) | instid1(VALU_DEP_1)
	s_or_b32 exec_lo, exec_lo, s2
	v_mov_b32_e32 v0, v2
	s_setpc_b64 s[30:31]
.Lfunc_end14:
	.size	_ZN12_GLOBAL__N_116_igam_helper_facIfEET_S1_S1_, .Lfunc_end14-_ZN12_GLOBAL__N_116_igam_helper_facIfEET_S1_S1_
                                        ; -- End function
	.section	.AMDGPU.csdata,"",@progbits
; Function info:
; codeLenInByte = 8500
; NumSgprs: 34
; NumVgprs: 54
; ScratchSize: 0
; MemoryBound: 0
	.text
	.p2align	2                               ; -- Begin function _ZN12_GLOBAL__N_120_igamc_helper_seriesIfEET_S1_S1_
	.type	_ZN12_GLOBAL__N_120_igamc_helper_seriesIfEET_S1_S1_,@function
_ZN12_GLOBAL__N_120_igamc_helper_seriesIfEET_S1_S1_: ; @_ZN12_GLOBAL__N_120_igamc_helper_seriesIfEET_S1_S1_
; %bb.0:
	s_waitcnt vmcnt(0) expcnt(0) lgkmcnt(0)
	v_dual_mov_b32 v3, 1.0 :: v_dual_mov_b32 v2, 0
	s_mov_b32 s1, 1
	s_mov_b32 s0, 0
.LBB15_1:                               ; =>This Inner Loop Header: Depth=1
	v_cvt_f32_u32_e32 v4, s1
	s_add_i32 s2, s1, 1
	s_cmpk_eq_i32 s1, 0x7cf
	s_cselect_b32 s1, -1, 0
	s_delay_alu instid0(VALU_DEP_1) | instskip(SKIP_1) | instid1(VALU_DEP_2)
	v_div_scale_f32 v5, null, v4, v4, -v1
	v_div_scale_f32 v8, vcc_lo, -v1, v4, -v1
	v_rcp_f32_e32 v6, v5
	s_waitcnt_depctr 0xfff
	v_fma_f32 v7, -v5, v6, 1.0
	s_delay_alu instid0(VALU_DEP_1) | instskip(NEXT) | instid1(VALU_DEP_1)
	v_fmac_f32_e32 v6, v7, v6
	v_mul_f32_e32 v7, v8, v6
	s_delay_alu instid0(VALU_DEP_1) | instskip(NEXT) | instid1(VALU_DEP_1)
	v_fma_f32 v9, -v5, v7, v8
	v_fmac_f32_e32 v7, v9, v6
	s_delay_alu instid0(VALU_DEP_1) | instskip(NEXT) | instid1(VALU_DEP_1)
	v_fma_f32 v5, -v5, v7, v8
	v_div_fmas_f32 v5, v5, v6, v7
	s_delay_alu instid0(VALU_DEP_1) | instskip(NEXT) | instid1(VALU_DEP_1)
	v_div_fixup_f32 v5, v5, v4, -v1
	v_dual_add_f32 v4, v4, v0 :: v_dual_mul_f32 v3, v3, v5
	s_delay_alu instid0(VALU_DEP_1) | instskip(SKIP_1) | instid1(VALU_DEP_2)
	v_div_scale_f32 v5, null, v4, v4, v3
	v_div_scale_f32 v8, vcc_lo, v3, v4, v3
	v_rcp_f32_e32 v6, v5
	s_waitcnt_depctr 0xfff
	v_fma_f32 v7, -v5, v6, 1.0
	s_delay_alu instid0(VALU_DEP_1) | instskip(NEXT) | instid1(VALU_DEP_1)
	v_fmac_f32_e32 v6, v7, v6
	v_mul_f32_e32 v7, v8, v6
	s_delay_alu instid0(VALU_DEP_1) | instskip(NEXT) | instid1(VALU_DEP_1)
	v_fma_f32 v9, -v5, v7, v8
	v_fmac_f32_e32 v7, v9, v6
	s_delay_alu instid0(VALU_DEP_1) | instskip(NEXT) | instid1(VALU_DEP_1)
	v_fma_f32 v5, -v5, v7, v8
	v_div_fmas_f32 v5, v5, v6, v7
	s_delay_alu instid0(VALU_DEP_1) | instskip(NEXT) | instid1(VALU_DEP_1)
	v_div_fixup_f32 v4, v5, v4, v3
	v_add_f32_e32 v2, v2, v4
	s_delay_alu instid0(VALU_DEP_1) | instskip(NEXT) | instid1(VALU_DEP_1)
	v_mul_f32_e64 v5, 0x33800000, |v2|
	v_cmp_le_f32_e64 s3, |v4|, v5
	s_delay_alu instid0(VALU_DEP_1) | instskip(NEXT) | instid1(SALU_CYCLE_1)
	s_or_b32 s1, s3, s1
	s_and_b32 s1, exec_lo, s1
	s_delay_alu instid0(SALU_CYCLE_1)
	s_or_b32 s0, s1, s0
	s_mov_b32 s1, s2
	s_and_not1_b32 exec_lo, exec_lo, s0
	s_cbranch_execnz .LBB15_1
; %bb.2:
	s_or_b32 exec_lo, exec_lo, s0
	v_add_f32_e32 v3, 1.0, v0
	s_mov_b32 s1, exec_lo
                                        ; implicit-def: $vgpr4
	s_delay_alu instid0(VALU_DEP_1)
	v_and_b32_e32 v5, 0x7fffffff, v3
	v_cmpx_ngt_f32_e64 0x3c800000, |v3|
	s_xor_b32 s1, exec_lo, s1
	s_cbranch_execz .LBB15_32
; %bb.3:
	s_mov_b32 s2, exec_lo
                                        ; implicit-def: $vgpr4
	v_cmpx_nlt_f32_e64 |v3|, 2.0
	s_xor_b32 s2, exec_lo, s2
	s_cbranch_execz .LBB15_13
; %bb.4:
	v_cmp_ngt_f32_e64 s0, 0x41000000, |v3|
                                        ; implicit-def: $vgpr4
	s_delay_alu instid0(VALU_DEP_1) | instskip(NEXT) | instid1(SALU_CYCLE_1)
	s_and_saveexec_b32 s3, s0
	s_xor_b32 s0, exec_lo, s3
	s_cbranch_execz .LBB15_10
; %bb.5:
	v_cmp_ngt_f32_e64 s3, 0x5c800000, |v3|
                                        ; implicit-def: $vgpr4
	s_delay_alu instid0(VALU_DEP_1) | instskip(NEXT) | instid1(SALU_CYCLE_1)
	s_and_saveexec_b32 s4, s3
	s_xor_b32 s3, exec_lo, s4
	s_cbranch_execz .LBB15_7
; %bb.6:
	v_cmp_gt_f32_e64 s4, 0x800000, |v3|
	s_delay_alu instid0(VALU_DEP_1) | instskip(NEXT) | instid1(VALU_DEP_1)
	v_cndmask_b32_e64 v4, 1.0, 0x4f800000, s4
	v_mul_f32_e64 v4, |v3|, v4
	s_delay_alu instid0(VALU_DEP_1) | instskip(SKIP_3) | instid1(VALU_DEP_2)
	v_log_f32_e32 v4, v4
	s_waitcnt_depctr 0xfff
	v_mul_f32_e32 v6, 0x3f317217, v4
	v_cmp_gt_f32_e64 vcc_lo, 0x7f800000, |v4|
	v_fma_f32 v7, 0x3f317217, v4, -v6
	s_delay_alu instid0(VALU_DEP_1) | instskip(NEXT) | instid1(VALU_DEP_1)
	v_fmamk_f32 v7, v4, 0x3377d1cf, v7
	v_add_f32_e32 v6, v6, v7
	s_delay_alu instid0(VALU_DEP_1) | instskip(SKIP_1) | instid1(VALU_DEP_1)
	v_cndmask_b32_e32 v4, v4, v6, vcc_lo
	v_cndmask_b32_e64 v6, 0, 0x41b17218, s4
	v_sub_f32_e32 v4, v4, v6
	s_delay_alu instid0(VALU_DEP_1)
	v_fma_f32 v4, |v3|, v4, -|v3|
.LBB15_7:
	s_and_not1_saveexec_b32 s3, s3
	s_cbranch_execz .LBB15_9
; %bb.8:
	v_cmp_gt_f32_e64 s4, 0x800000, |v3|
	v_rcp_f32_e64 v6, |v3|
	s_mov_b32 s5, 0xbad5c4e8
	s_delay_alu instid0(VALU_DEP_1) | instskip(NEXT) | instid1(VALU_DEP_1)
	v_cndmask_b32_e64 v4, 1.0, 0x4f800000, s4
	v_mul_f32_e64 v4, |v3|, v4
	s_delay_alu instid0(VALU_DEP_1) | instskip(SKIP_3) | instid1(VALU_DEP_2)
	v_log_f32_e32 v4, v4
	s_waitcnt_depctr 0xfff
	v_dual_mul_f32 v7, v6, v6 :: v_dual_mul_f32 v8, 0x3f317217, v4
	v_cmp_gt_f32_e64 vcc_lo, 0x7f800000, |v4|
	v_fma_f32 v10, 0x3f317217, v4, -v8
	s_delay_alu instid0(VALU_DEP_1) | instskip(NEXT) | instid1(VALU_DEP_1)
	v_fmamk_f32 v10, v4, 0x3377d1cf, v10
	v_dual_fmaak_f32 v9, s5, v7, 0x3a5b3dd2 :: v_dual_add_f32 v8, v8, v10
	s_delay_alu instid0(VALU_DEP_1) | instskip(SKIP_1) | instid1(VALU_DEP_1)
	v_dual_fmaak_f32 v9, v7, v9, 0xba1c065c :: v_dual_cndmask_b32 v4, v4, v8
	v_cndmask_b32_e64 v8, 0, 0x41b17218, s4
	v_dual_fmaak_f32 v9, v7, v9, 0x3a500cfd :: v_dual_sub_f32 v8, v4, v8
	s_delay_alu instid0(VALU_DEP_1) | instskip(NEXT) | instid1(VALU_DEP_1)
	v_fmaak_f32 v9, v7, v9, 0xbb360b61
	v_fmaak_f32 v7, v7, v9, 0x3daaaaab
	s_delay_alu instid0(VALU_DEP_1) | instskip(SKIP_2) | instid1(VALU_DEP_1)
	v_fmaak_f32 v4, v6, v7, 0x3ed67f1d
	v_add_f32_e64 v6, |v3|, -0.5
	v_add_f32_e32 v7, -1.0, v8
	v_fmac_f32_e32 v4, v6, v7
.LBB15_9:
	s_or_b32 exec_lo, exec_lo, s3
.LBB15_10:
	s_and_not1_saveexec_b32 s3, s0
	s_cbranch_execz .LBB15_12
; %bb.11:
	v_cvt_i32_f32_e32 v4, v5
	s_mov_b32 s0, 0x36f5d7bd
	s_mov_b32 s4, 0x3805ff67
	s_delay_alu instid0(VALU_DEP_1) | instskip(SKIP_1) | instid1(VALU_DEP_2)
	v_cvt_f32_i32_e32 v6, v4
	v_cmp_lt_i32_e32 vcc_lo, 2, v4
	v_sub_f32_e64 v6, |v3|, v6
	s_delay_alu instid0(VALU_DEP_1) | instskip(SKIP_1) | instid1(VALU_DEP_1)
	v_add_f32_e32 v8, 0x40400000, v6
	v_add_f32_e32 v7, 2.0, v6
	v_cndmask_b32_e32 v7, 1.0, v7, vcc_lo
	v_cmp_lt_i32_e32 vcc_lo, 3, v4
	s_delay_alu instid0(VALU_DEP_4) | instskip(SKIP_1) | instid1(VALU_DEP_2)
	v_cndmask_b32_e32 v8, 1.0, v8, vcc_lo
	v_cmp_lt_i32_e32 vcc_lo, 4, v4
	v_dual_mul_f32 v7, v7, v8 :: v_dual_add_f32 v8, 0x40c00000, v6
	v_add_f32_e32 v9, 4.0, v6
	s_delay_alu instid0(VALU_DEP_1) | instskip(SKIP_1) | instid1(VALU_DEP_2)
	v_dual_add_f32 v10, 0x40a00000, v6 :: v_dual_cndmask_b32 v9, 1.0, v9
	v_cmp_lt_i32_e32 vcc_lo, 5, v4
	v_dual_mul_f32 v7, v9, v7 :: v_dual_cndmask_b32 v10, 1.0, v10
	v_cmp_lt_i32_e32 vcc_lo, 6, v4
	v_fmaak_f32 v9, s4, v6, 0x3af135b4
	s_delay_alu instid0(VALU_DEP_3) | instskip(NEXT) | instid1(VALU_DEP_1)
	v_dual_mul_f32 v7, v10, v7 :: v_dual_cndmask_b32 v4, 1.0, v8
	v_dual_mul_f32 v4, v4, v7 :: v_dual_fmaak_f32 v7, s0, v6, 0x3a4beed6
	s_delay_alu instid0(VALU_DEP_1) | instskip(SKIP_1) | instid1(VALU_DEP_1)
	v_cmp_gt_f32_e32 vcc_lo, 0x800000, v4
	v_cndmask_b32_e64 v8, 1.0, 0x4f800000, vcc_lo
	v_mul_f32_e32 v4, v4, v8
	v_fmaak_f32 v8, v6, v9, 0x3cda40e4
	s_delay_alu instid0(VALU_DEP_2) | instskip(SKIP_3) | instid1(VALU_DEP_2)
	v_log_f32_e32 v4, v4
	s_waitcnt_depctr 0xfff
	v_mul_f32_e32 v9, 0x3f317217, v4
	v_cmp_gt_f32_e64 s0, 0x7f800000, |v4|
	v_fma_f32 v10, 0x3f317217, v4, -v9
	s_delay_alu instid0(VALU_DEP_1) | instskip(NEXT) | instid1(VALU_DEP_1)
	v_fmamk_f32 v10, v4, 0x3377d1cf, v10
	v_dual_add_f32 v9, v9, v10 :: v_dual_fmaak_f32 v8, v6, v8, 0x3e15dce6
	s_delay_alu instid0(VALU_DEP_1) | instskip(SKIP_1) | instid1(VALU_DEP_3)
	v_cndmask_b32_e64 v4, v4, v9, s0
	v_fmaak_f32 v7, v6, v7, 0x3c98bf54
	v_fmaak_f32 v8, v6, v8, 0x3ea6cc7a
	s_delay_alu instid0(VALU_DEP_2) | instskip(NEXT) | instid1(VALU_DEP_2)
	v_fmaak_f32 v7, v6, v7, 0x3e300f6e
	v_fmaak_f32 v8, v6, v8, 0x3e5c245a
	s_delay_alu instid0(VALU_DEP_2) | instskip(NEXT) | instid1(VALU_DEP_2)
	;; [unrolled: 3-line block ×3, first 2 shown]
	v_fmaak_f32 v7, v6, v7, 0x3fb22d3b
	v_mul_f32_e32 v8, v6, v8
	s_delay_alu instid0(VALU_DEP_2) | instskip(NEXT) | instid1(VALU_DEP_1)
	v_fma_f32 v7, v6, v7, 1.0
	v_rcp_f32_e32 v7, v7
	s_waitcnt_depctr 0xfff
	v_mul_f32_e32 v7, v8, v7
	v_cndmask_b32_e64 v8, 0, 0x41b17218, vcc_lo
	s_delay_alu instid0(VALU_DEP_1) | instskip(NEXT) | instid1(VALU_DEP_1)
	v_dual_fmac_f32 v7, 0.5, v6 :: v_dual_sub_f32 v4, v4, v8
	v_add_f32_e32 v4, v4, v7
.LBB15_12:
	s_or_b32 exec_lo, exec_lo, s3
.LBB15_13:
	s_and_not1_saveexec_b32 s2, s2
	s_cbranch_execz .LBB15_31
; %bb.14:
	s_mov_b32 s3, exec_lo
                                        ; implicit-def: $vgpr4
                                        ; implicit-def: $vgpr7
                                        ; implicit-def: $vgpr6
	v_cmpx_ge_f32_e64 0x3f666666, |v3|
	s_xor_b32 s3, exec_lo, s3
	s_cbranch_execz .LBB15_16
; %bb.15:
	v_cmp_gt_f32_e64 s0, 0x800000, |v3|
	v_sub_f32_e64 v8, 1.0, |v3|
	v_cmp_gt_f32_e64 vcc_lo, 0x3f3b4a23, |v3|
	s_delay_alu instid0(VALU_DEP_3) | instskip(SKIP_1) | instid1(VALU_DEP_2)
	v_cndmask_b32_e64 v4, 1.0, 0x4f800000, s0
	v_cndmask_b32_e64 v9, 0, 0x41b17218, s0
	v_mul_f32_e64 v4, |v3|, v4
	s_delay_alu instid0(VALU_DEP_1) | instskip(SKIP_3) | instid1(VALU_DEP_2)
	v_log_f32_e32 v4, v4
	s_waitcnt_depctr 0xfff
	v_mul_f32_e32 v6, 0x3f317217, v4
	v_cmp_gt_f32_e64 s0, 0x7f800000, |v4|
	v_fma_f32 v7, 0x3f317217, v4, -v6
	s_delay_alu instid0(VALU_DEP_1) | instskip(NEXT) | instid1(VALU_DEP_1)
	v_fmamk_f32 v7, v4, 0x3377d1cf, v7
	v_add_f32_e32 v6, v6, v7
	v_add_f32_e64 v7, 0xbeec5b0c, |v3|
	s_delay_alu instid0(VALU_DEP_2) | instskip(NEXT) | instid1(VALU_DEP_2)
	v_cndmask_b32_e64 v4, v4, v6, s0
	v_cndmask_b32_e32 v6, v8, v7, vcc_lo
	v_cndmask_b32_e64 v7, 0, 1, vcc_lo
	v_cmp_gt_f32_e64 s0, 0x3e6d3309, |v3|
	s_delay_alu instid0(VALU_DEP_4) | instskip(NEXT) | instid1(VALU_DEP_2)
	v_sub_f32_e32 v4, v4, v9
	v_cndmask_b32_e64 v6, v6, |v3|, s0
	s_delay_alu instid0(VALU_DEP_4) | instskip(NEXT) | instid1(VALU_DEP_3)
	v_cndmask_b32_e64 v7, v7, 2, s0
	v_xor_b32_e32 v4, 0x80000000, v4
.LBB15_16:
	s_and_not1_saveexec_b32 s0, s3
; %bb.17:
	v_sub_f32_e64 v4, 2.0, |v3|
	v_add_f32_e64 v6, 0xbfbb16c3, |v3|
	v_cmp_gt_f32_e64 vcc_lo, 0x3fdda512, |v3|
	v_add_f32_e64 v7, |v3|, -1.0
	s_delay_alu instid0(VALU_DEP_3) | instskip(NEXT) | instid1(VALU_DEP_3)
	v_cndmask_b32_e32 v6, v4, v6, vcc_lo
	v_cndmask_b32_e64 v4, v4, 1.0, vcc_lo
	v_cmp_gt_f32_e64 vcc_lo, 0x3f9d70a4, |v3|
	s_delay_alu instid0(VALU_DEP_2) | instskip(NEXT) | instid1(VALU_DEP_4)
	v_cvt_i32_f32_e32 v4, v4
	v_cndmask_b32_e32 v6, v6, v7, vcc_lo
	s_delay_alu instid0(VALU_DEP_2)
	v_cndmask_b32_e64 v7, v4, 2, vcc_lo
	v_mov_b32_e32 v4, 0
; %bb.18:
	s_or_b32 exec_lo, exec_lo, s0
	s_delay_alu instid0(SALU_CYCLE_1) | instskip(NEXT) | instid1(VALU_DEP_2)
	s_mov_b32 s0, exec_lo
	v_cmpx_lt_i32_e32 0, v7
	s_xor_b32 s0, exec_lo, s0
	s_cbranch_execz .LBB15_26
; %bb.19:
	s_mov_b32 s3, exec_lo
	v_cmpx_lt_i32_e32 1, v7
	s_xor_b32 s3, exec_lo, s3
	s_cbranch_execz .LBB15_23
; %bb.20:
	s_mov_b32 s4, exec_lo
	v_cmpx_eq_u32_e32 2, v7
	s_cbranch_execz .LBB15_22
; %bb.21:
	s_mov_b32 s5, 0x3b52d5db
	s_delay_alu instid0(SALU_CYCLE_1) | instskip(SKIP_1) | instid1(SALU_CYCLE_1)
	v_fmaak_f32 v7, s5, v6, 0x3dd572af
	s_mov_b32 s5, 0x3c5b3c5e
	v_fmaak_f32 v8, s5, v6, 0x3e6a7578
	s_delay_alu instid0(VALU_DEP_1) | instskip(NEXT) | instid1(VALU_DEP_1)
	v_fmaak_f32 v8, v6, v8, 0x3f7a4bb2
	v_fmaak_f32 v8, v6, v8, 0x3fba3ae7
	s_delay_alu instid0(VALU_DEP_1) | instskip(NEXT) | instid1(VALU_DEP_1)
	v_fmaak_f32 v8, v6, v8, 0x3f2200f4
	v_fmaak_f32 v8, v6, v8, 0xbd9e233f
	s_delay_alu instid0(VALU_DEP_1) | instskip(SKIP_1) | instid1(VALU_DEP_1)
	v_mul_f32_e32 v8, v6, v8
	v_fmaak_f32 v7, v6, v7, 0x3f44efdf
	v_fmaak_f32 v7, v6, v7, 0x4008392d
	s_delay_alu instid0(VALU_DEP_1) | instskip(NEXT) | instid1(VALU_DEP_1)
	v_fmaak_f32 v7, v6, v7, 0x401d2ebe
	v_fma_f32 v7, v6, v7, 1.0
	s_delay_alu instid0(VALU_DEP_1) | instskip(SKIP_2) | instid1(VALU_DEP_1)
	v_rcp_f32_e32 v7, v7
	s_waitcnt_depctr 0xfff
	v_mul_f32_e32 v7, v8, v7
	v_fmac_f32_e32 v7, -0.5, v6
	s_delay_alu instid0(VALU_DEP_1)
	v_add_f32_e32 v4, v4, v7
.LBB15_22:
	s_or_b32 exec_lo, exec_lo, s4
                                        ; implicit-def: $vgpr6
.LBB15_23:
	s_and_not1_saveexec_b32 s3, s3
	s_cbranch_execz .LBB15_25
; %bb.24:
	s_mov_b32 s5, 0x39afe9f7
	v_mul_f32_e32 v7, v6, v6
	s_mov_b32 s4, 0xb9a3f927
	s_delay_alu instid0(VALU_DEP_1) | instskip(NEXT) | instid1(VALU_DEP_1)
	v_mul_f32_e32 v8, v6, v7
	v_fmaak_f32 v10, s5, v8, 0xba0d3085
	v_fmaak_f32 v9, s4, v8, 0x3a66f867
	s_mov_b32 s4, 0x39a57b6b
	s_delay_alu instid0(SALU_CYCLE_1) | instskip(NEXT) | instid1(VALU_DEP_3)
	v_fmaak_f32 v11, s4, v8, 0xbab7f476
	v_fmaak_f32 v10, v8, v10, 0x3b141699
	s_delay_alu instid0(VALU_DEP_3) | instskip(NEXT) | instid1(VALU_DEP_3)
	v_fmaak_f32 v9, v8, v9, 0xbb7177fe
	v_fmaak_f32 v11, v8, v11, 0x3bc7e707
	s_delay_alu instid0(VALU_DEP_3) | instskip(NEXT) | instid1(VALU_DEP_3)
	;; [unrolled: 3-line block ×3, first 2 shown]
	v_fmaak_f32 v11, v8, v11, 0xbd064d47
	v_fmaak_f32 v10, v8, v10, 0x3d845a15
	s_delay_alu instid0(VALU_DEP_3) | instskip(NEXT) | instid1(VALU_DEP_1)
	v_fmaak_f32 v9, v8, v9, 0xbe17213c
	v_dual_fmac_f32 v9, v6, v10 :: v_dual_fmaak_f32 v6, v8, v11, 0x3ef7b95e
	s_delay_alu instid0(VALU_DEP_1) | instskip(NEXT) | instid1(VALU_DEP_1)
	v_fma_f32 v8, v8, -v9, 0xa2863e55
	v_fma_f32 v6, v7, v6, -v8
	s_delay_alu instid0(VALU_DEP_1) | instskip(NEXT) | instid1(VALU_DEP_1)
	v_add_f32_e32 v6, 0xbdf8cdce, v6
	v_add_f32_e32 v4, v4, v6
.LBB15_25:
	s_or_b32 exec_lo, exec_lo, s3
                                        ; implicit-def: $vgpr7
                                        ; implicit-def: $vgpr6
.LBB15_26:
	s_and_not1_saveexec_b32 s0, s0
	s_cbranch_execz .LBB15_30
; %bb.27:
	s_mov_b32 s3, exec_lo
	v_cmpx_eq_u32_e32 0, v7
	s_cbranch_execz .LBB15_29
; %bb.28:
	v_mul_f32_e32 v7, v6, v6
	s_mov_b32 s4, 0x383c2c75
	s_delay_alu instid0(VALU_DEP_1) | instid1(SALU_CYCLE_1)
	v_fmaak_f32 v8, s4, v7, 0x38e28445
	s_mov_b32 s4, 0x37d383a2
	s_delay_alu instid0(SALU_CYCLE_1) | instskip(NEXT) | instid1(VALU_DEP_2)
	v_fmaak_f32 v9, s4, v7, 0x39679767
	v_fmaak_f32 v8, v7, v8, 0x3a05b634
	s_delay_alu instid0(VALU_DEP_2) | instskip(NEXT) | instid1(VALU_DEP_2)
	v_fmaak_f32 v9, v7, v9, 0x3a9c54a1
	v_fmaak_f32 v8, v7, v8, 0x3b3d6ec6
	s_delay_alu instid0(VALU_DEP_2) | instskip(NEXT) | instid1(VALU_DEP_2)
	;; [unrolled: 3-line block ×4, first 2 shown]
	v_fmaak_f32 v9, v7, v9, 0x3d9e233f
	v_mul_f32_e32 v7, v7, v8
	s_delay_alu instid0(VALU_DEP_1) | instskip(NEXT) | instid1(VALU_DEP_1)
	v_fmac_f32_e32 v7, v6, v9
	v_fmac_f32_e32 v7, -0.5, v6
	s_delay_alu instid0(VALU_DEP_1)
	v_add_f32_e32 v4, v4, v7
.LBB15_29:
	s_or_b32 exec_lo, exec_lo, s3
.LBB15_30:
	s_delay_alu instid0(SALU_CYCLE_1)
	s_or_b32 exec_lo, exec_lo, s0
.LBB15_31:
	s_delay_alu instid0(SALU_CYCLE_1)
	s_or_b32 exec_lo, exec_lo, s2
.LBB15_32:
	s_and_not1_saveexec_b32 s0, s1
	s_cbranch_execz .LBB15_34
; %bb.33:
	v_cmp_gt_f32_e64 s1, 0x800000, |v3|
	s_mov_b32 s2, 0x3e8a8991
	s_delay_alu instid0(SALU_CYCLE_1) | instskip(NEXT) | instid1(VALU_DEP_2)
	v_fma_f32 v8, |v3|, s2, 0xbecd26ab
	v_cndmask_b32_e64 v4, 1.0, 0x4f800000, s1
	s_delay_alu instid0(VALU_DEP_1) | instskip(NEXT) | instid1(VALU_DEP_1)
	v_mul_f32_e64 v4, |v3|, v4
	v_log_f32_e32 v4, v4
	s_waitcnt_depctr 0xfff
	v_mul_f32_e32 v6, 0x3f317217, v4
	v_cmp_gt_f32_e64 vcc_lo, 0x7f800000, |v4|
	s_delay_alu instid0(VALU_DEP_2) | instskip(NEXT) | instid1(VALU_DEP_1)
	v_fma_f32 v7, 0x3f317217, v4, -v6
	v_fmamk_f32 v7, v4, 0x3377d1cf, v7
	s_delay_alu instid0(VALU_DEP_1) | instskip(SKIP_1) | instid1(VALU_DEP_2)
	v_add_f32_e32 v6, v6, v7
	v_fma_f32 v7, |v3|, v8, 0x3f528d33
	v_cndmask_b32_e32 v4, v4, v6, vcc_lo
	v_cndmask_b32_e64 v6, 0, 0x41b17218, s1
	s_delay_alu instid0(VALU_DEP_3) | instskip(NEXT) | instid1(VALU_DEP_2)
	v_fma_f32 v7, |v3|, v7, 0xbf13c468
	v_sub_f32_e32 v4, v4, v6
	s_delay_alu instid0(VALU_DEP_1)
	v_fma_f32 v4, |v3|, v7, -v4
.LBB15_34:
	s_or_b32 exec_lo, exec_lo, s0
	v_cmp_le_f32_e32 vcc_lo, 0, v3
	s_mov_b32 s1, exec_lo
	v_cmpx_nle_f32_e32 0, v3
	s_xor_b32 s2, exec_lo, s1
	s_cbranch_execz .LBB15_38
; %bb.35:
	v_cmp_gt_f32_e64 s0, 0x4b000000, |v3|
	v_cmp_lt_f32_e64 s1, 0x35000000, |v3|
	s_delay_alu instid0(VALU_DEP_1) | instskip(NEXT) | instid1(SALU_CYCLE_1)
	s_and_b32 s0, s0, s1
	s_and_saveexec_b32 s3, s0
	s_cbranch_execz .LBB15_37
; %bb.36:
	v_mul_f32_e64 v6, |v3|, 0.5
	s_mov_b32 s1, 0x3d4be544
	v_xor_b32_e32 v5, v5, v3
	s_delay_alu instid0(VALU_DEP_2) | instskip(SKIP_1) | instid1(VALU_DEP_2)
	v_floor_f32_e32 v7, v6
	v_cmp_neq_f32_e64 s0, 0x7f800000, v6
	v_sub_f32_e32 v7, v6, v7
	s_delay_alu instid0(VALU_DEP_1) | instskip(NEXT) | instid1(VALU_DEP_1)
	v_min_f32_e32 v7, 0x3f7fffff, v7
	v_add_f32_e32 v7, v7, v7
	s_delay_alu instid0(VALU_DEP_1) | instskip(SKIP_1) | instid1(VALU_DEP_1)
	v_cndmask_b32_e64 v6, 0, v7, s0
	v_cmp_gt_f32_e64 s0, |v3|, 1.0
	v_cndmask_b32_e64 v6, |v3|, v6, s0
	s_mov_b32 s0, 0x3e75aa41
	s_delay_alu instid0(VALU_DEP_1) | instskip(NEXT) | instid1(VALU_DEP_1)
	v_add_f32_e32 v7, v6, v6
	v_rndne_f32_e32 v7, v7
	s_delay_alu instid0(VALU_DEP_1) | instskip(SKIP_1) | instid1(VALU_DEP_2)
	v_fmac_f32_e32 v6, -0.5, v7
	v_cvt_i32_f32_e32 v7, v7
	v_mul_f32_e32 v8, v6, v6
	s_delay_alu instid0(VALU_DEP_1) | instskip(SKIP_1) | instid1(VALU_DEP_2)
	v_fmaak_f32 v9, s0, v8, 0xbf1f24be
	v_fmaak_f32 v10, s1, v8, 0x3e642e9d
	;; [unrolled: 1-line block ×3, first 2 shown]
	s_delay_alu instid0(VALU_DEP_2) | instskip(NEXT) | instid1(VALU_DEP_2)
	v_dual_fmaak_f32 v10, v8, v10, 0xbfaad1da :: v_dual_mul_f32 v11, v6, v8
	v_fmaak_f32 v9, v8, v9, 0xc0a55e0e
	s_delay_alu instid0(VALU_DEP_1) | instskip(NEXT) | instid1(VALU_DEP_1)
	v_dual_fmaak_f32 v10, v8, v10, 0x4081e0d3 :: v_dual_mul_f32 v9, v11, v9
	v_dual_fmaak_f32 v10, v8, v10, 0xc09de9e6 :: v_dual_and_b32 v11, 1, v7
	s_delay_alu instid0(VALU_DEP_2) | instskip(NEXT) | instid1(VALU_DEP_2)
	v_dual_fmamk_f32 v6, v6, 0x40490fdb, v9 :: v_dual_lshlrev_b32 v7, 30, v7
	v_fma_f32 v8, v8, v10, 1.0
	s_delay_alu instid0(VALU_DEP_3) | instskip(NEXT) | instid1(VALU_DEP_3)
	v_cmp_eq_u32_e64 s0, 0, v11
	v_and_b32_e32 v7, 0x80000000, v7
	s_delay_alu instid0(VALU_DEP_2) | instskip(NEXT) | instid1(VALU_DEP_1)
	v_cndmask_b32_e64 v6, v8, v6, s0
	v_xor3_b32 v5, v5, v7, v6
	s_delay_alu instid0(VALU_DEP_1) | instskip(NEXT) | instid1(VALU_DEP_1)
	v_mul_f32_e32 v5, v3, v5
	v_frexp_mant_f32_e64 v6, |v5|
	v_frexp_exp_i32_f32_e32 v5, v5
	s_delay_alu instid0(VALU_DEP_2) | instskip(NEXT) | instid1(VALU_DEP_1)
	v_rcp_f32_e32 v6, v6
	v_sub_nc_u32_e32 v5, 2, v5
	s_waitcnt_depctr 0xfff
	v_mul_f32_e32 v6, 0x3f490fdb, v6
	s_delay_alu instid0(VALU_DEP_1) | instskip(NEXT) | instid1(VALU_DEP_1)
	v_ldexp_f32 v5, v6, v5
	v_cmp_gt_f32_e64 s0, 0x800000, v5
	s_delay_alu instid0(VALU_DEP_1) | instskip(NEXT) | instid1(VALU_DEP_1)
	v_cndmask_b32_e64 v6, 1.0, 0x4f800000, s0
	v_mul_f32_e32 v5, v5, v6
	s_delay_alu instid0(VALU_DEP_1) | instskip(SKIP_3) | instid1(VALU_DEP_2)
	v_log_f32_e32 v5, v5
	s_waitcnt_depctr 0xfff
	v_mul_f32_e32 v6, 0x3f317217, v5
	v_cmp_gt_f32_e64 s1, 0x7f800000, |v5|
	v_fma_f32 v7, 0x3f317217, v5, -v6
	s_delay_alu instid0(VALU_DEP_1) | instskip(NEXT) | instid1(VALU_DEP_1)
	v_fmamk_f32 v7, v5, 0x3377d1cf, v7
	v_add_f32_e32 v6, v6, v7
	v_floor_f32_e32 v7, v3
	s_delay_alu instid0(VALU_DEP_2) | instskip(SKIP_1) | instid1(VALU_DEP_3)
	v_cndmask_b32_e64 v5, v5, v6, s1
	v_cndmask_b32_e64 v6, 0, 0x41b17218, s0
	v_sub_f32_e32 v7, v3, v7
	s_delay_alu instid0(VALU_DEP_1) | instskip(NEXT) | instid1(VALU_DEP_1)
	v_dual_sub_f32 v5, v5, v6 :: v_dual_min_f32 v6, 0x3f7fffff, v7
	v_sub_f32_e32 v4, v5, v4
	s_delay_alu instid0(VALU_DEP_2) | instskip(NEXT) | instid1(VALU_DEP_1)
	v_cmp_neq_f32_e64 s0, 0, v6
	v_cndmask_b32_e64 v4, 0x7f800000, v4, s0
.LBB15_37:
	s_or_b32 exec_lo, exec_lo, s3
.LBB15_38:
	s_and_not1_saveexec_b32 s2, s2
; %bb.39:
	v_cmp_eq_f32_e64 s0, 1.0, v3
	v_cmp_eq_f32_e64 s1, 2.0, v3
	s_delay_alu instid0(VALU_DEP_1) | instskip(NEXT) | instid1(SALU_CYCLE_1)
	s_or_b32 s0, s0, s1
	v_cndmask_b32_e64 v4, v4, 0, s0
; %bb.40:
	s_or_b32 exec_lo, exec_lo, s2
	v_and_b32_e32 v5, 0x7fffffff, v0
                                        ; implicit-def: $vgpr6
	s_mov_b32 s1, exec_lo
	v_cmpx_ngt_f32_e64 0x3c800000, |v0|
	s_xor_b32 s2, exec_lo, s1
	s_cbranch_execz .LBB15_70
; %bb.41:
                                        ; implicit-def: $vgpr6
	s_mov_b32 s1, exec_lo
	v_cmpx_nlt_f32_e64 |v0|, 2.0
	s_xor_b32 s3, exec_lo, s1
	s_cbranch_execz .LBB15_51
; %bb.42:
	s_mov_b32 s1, exec_lo
                                        ; implicit-def: $vgpr6
	v_cmpx_ngt_f32_e64 0x41000000, |v0|
	s_xor_b32 s1, exec_lo, s1
	s_cbranch_execz .LBB15_48
; %bb.43:
	s_mov_b32 s4, exec_lo
                                        ; implicit-def: $vgpr6
	v_cmpx_ngt_f32_e64 0x5c800000, |v0|
	s_xor_b32 s4, exec_lo, s4
	s_cbranch_execz .LBB15_45
; %bb.44:
	v_cmp_gt_f32_e64 s5, 0x800000, |v0|
	s_delay_alu instid0(VALU_DEP_1) | instskip(NEXT) | instid1(VALU_DEP_1)
	v_cndmask_b32_e64 v6, 1.0, 0x4f800000, s5
	v_mul_f32_e64 v6, |v0|, v6
	s_delay_alu instid0(VALU_DEP_1) | instskip(SKIP_3) | instid1(VALU_DEP_2)
	v_log_f32_e32 v6, v6
	s_waitcnt_depctr 0xfff
	v_mul_f32_e32 v7, 0x3f317217, v6
	v_cmp_gt_f32_e64 s0, 0x7f800000, |v6|
	v_fma_f32 v8, 0x3f317217, v6, -v7
	s_delay_alu instid0(VALU_DEP_1) | instskip(NEXT) | instid1(VALU_DEP_1)
	v_fmamk_f32 v8, v6, 0x3377d1cf, v8
	v_add_f32_e32 v7, v7, v8
	s_delay_alu instid0(VALU_DEP_1) | instskip(SKIP_1) | instid1(VALU_DEP_1)
	v_cndmask_b32_e64 v6, v6, v7, s0
	v_cndmask_b32_e64 v7, 0, 0x41b17218, s5
	v_sub_f32_e32 v6, v6, v7
	s_delay_alu instid0(VALU_DEP_1)
	v_fma_f32 v6, |v0|, v6, -|v0|
.LBB15_45:
	s_and_not1_saveexec_b32 s4, s4
	s_cbranch_execz .LBB15_47
; %bb.46:
	v_cmp_gt_f32_e64 s5, 0x800000, |v0|
	v_rcp_f32_e64 v7, |v0|
	s_mov_b32 s0, 0xbad5c4e8
	s_delay_alu instid0(VALU_DEP_1) | instskip(NEXT) | instid1(VALU_DEP_1)
	v_cndmask_b32_e64 v6, 1.0, 0x4f800000, s5
	v_mul_f32_e64 v6, |v0|, v6
	s_delay_alu instid0(VALU_DEP_1) | instskip(SKIP_2) | instid1(VALU_DEP_1)
	v_log_f32_e32 v6, v6
	s_waitcnt_depctr 0xfff
	v_dual_mul_f32 v8, v7, v7 :: v_dual_mul_f32 v9, 0x3f317217, v6
	v_fma_f32 v11, 0x3f317217, v6, -v9
	s_delay_alu instid0(VALU_DEP_1) | instskip(NEXT) | instid1(VALU_DEP_3)
	v_fmamk_f32 v11, v6, 0x3377d1cf, v11
	v_fmaak_f32 v10, s0, v8, 0x3a5b3dd2
	v_cmp_gt_f32_e64 s0, 0x7f800000, |v6|
	s_delay_alu instid0(VALU_DEP_3) | instskip(NEXT) | instid1(VALU_DEP_1)
	v_add_f32_e32 v9, v9, v11
	v_cndmask_b32_e64 v6, v6, v9, s0
	v_cndmask_b32_e64 v9, 0, 0x41b17218, s5
	s_delay_alu instid0(VALU_DEP_1) | instskip(NEXT) | instid1(VALU_DEP_1)
	v_dual_fmaak_f32 v10, v8, v10, 0xba1c065c :: v_dual_sub_f32 v9, v6, v9
	v_fmaak_f32 v10, v8, v10, 0x3a500cfd
	s_delay_alu instid0(VALU_DEP_1) | instskip(NEXT) | instid1(VALU_DEP_1)
	v_fmaak_f32 v10, v8, v10, 0xbb360b61
	v_fmaak_f32 v8, v8, v10, 0x3daaaaab
	s_delay_alu instid0(VALU_DEP_1) | instskip(SKIP_2) | instid1(VALU_DEP_1)
	v_fmaak_f32 v6, v7, v8, 0x3ed67f1d
	v_add_f32_e64 v7, |v0|, -0.5
	v_add_f32_e32 v8, -1.0, v9
	v_fmac_f32_e32 v6, v7, v8
.LBB15_47:
	s_or_b32 exec_lo, exec_lo, s4
.LBB15_48:
	s_and_not1_saveexec_b32 s4, s1
	s_cbranch_execz .LBB15_50
; %bb.49:
	v_cvt_i32_f32_e32 v6, v5
	s_mov_b32 s1, 0x3805ff67
	s_delay_alu instid0(VALU_DEP_1) | instskip(SKIP_1) | instid1(VALU_DEP_2)
	v_cvt_f32_i32_e32 v7, v6
	v_cmp_lt_i32_e64 s0, 2, v6
	v_sub_f32_e64 v7, |v0|, v7
	s_delay_alu instid0(VALU_DEP_1) | instskip(SKIP_2) | instid1(VALU_DEP_3)
	v_add_f32_e32 v8, 2.0, v7
	v_add_f32_e32 v9, 0x40400000, v7
	v_add_f32_e32 v10, 4.0, v7
	v_cndmask_b32_e64 v8, 1.0, v8, s0
	v_cmp_lt_i32_e64 s0, 3, v6
	s_delay_alu instid0(VALU_DEP_1) | instskip(SKIP_1) | instid1(VALU_DEP_2)
	v_cndmask_b32_e64 v9, 1.0, v9, s0
	v_cmp_lt_i32_e64 s0, 4, v6
	v_dual_add_f32 v11, 0x40a00000, v7 :: v_dual_mul_f32 v8, v8, v9
	s_delay_alu instid0(VALU_DEP_2) | instskip(SKIP_1) | instid1(VALU_DEP_2)
	v_cndmask_b32_e64 v10, 1.0, v10, s0
	v_cmp_lt_i32_e64 s0, 5, v6
	v_mul_f32_e32 v8, v10, v8
	s_delay_alu instid0(VALU_DEP_2) | instskip(SKIP_3) | instid1(VALU_DEP_4)
	v_cndmask_b32_e64 v11, 1.0, v11, s0
	v_add_f32_e32 v9, 0x40c00000, v7
	v_cmp_lt_i32_e64 s0, 6, v6
	v_fmaak_f32 v10, s1, v7, 0x3af135b4
	v_mul_f32_e32 v8, v11, v8
	s_delay_alu instid0(VALU_DEP_3) | instskip(SKIP_1) | instid1(VALU_DEP_1)
	v_cndmask_b32_e64 v6, 1.0, v9, s0
	s_mov_b32 s0, 0x36f5d7bd
	v_mul_f32_e32 v6, v6, v8
	v_fmaak_f32 v8, s0, v7, 0x3a4beed6
	s_delay_alu instid0(VALU_DEP_2) | instskip(NEXT) | instid1(VALU_DEP_1)
	v_cmp_gt_f32_e64 s0, 0x800000, v6
	v_cndmask_b32_e64 v9, 1.0, 0x4f800000, s0
	s_delay_alu instid0(VALU_DEP_1) | instskip(NEXT) | instid1(VALU_DEP_1)
	v_dual_mul_f32 v6, v6, v9 :: v_dual_fmaak_f32 v9, v7, v10, 0x3cda40e4
	v_log_f32_e32 v6, v6
	s_delay_alu instid0(VALU_DEP_1) | instskip(NEXT) | instid1(VALU_DEP_1)
	v_fmaak_f32 v9, v7, v9, 0x3e15dce6
	v_fmaak_f32 v9, v7, v9, 0x3ea6cc7a
	s_waitcnt_depctr 0xfff
	v_mul_f32_e32 v10, 0x3f317217, v6
	v_cmp_gt_f32_e64 s1, 0x7f800000, |v6|
	s_delay_alu instid0(VALU_DEP_2) | instskip(NEXT) | instid1(VALU_DEP_1)
	v_fma_f32 v11, 0x3f317217, v6, -v10
	v_fmamk_f32 v11, v6, 0x3377d1cf, v11
	s_delay_alu instid0(VALU_DEP_1) | instskip(NEXT) | instid1(VALU_DEP_1)
	v_dual_fmaak_f32 v9, v7, v9, 0x3e5c245a :: v_dual_add_f32 v10, v10, v11
	v_fmaak_f32 v9, v7, v9, 0xbd9e233f
	s_delay_alu instid0(VALU_DEP_2) | instskip(NEXT) | instid1(VALU_DEP_2)
	v_cndmask_b32_e64 v6, v6, v10, s1
	v_mul_f32_e32 v9, v7, v9
	v_fmaak_f32 v8, v7, v8, 0x3c98bf54
	s_delay_alu instid0(VALU_DEP_1) | instskip(NEXT) | instid1(VALU_DEP_1)
	v_fmaak_f32 v8, v7, v8, 0x3e300f6e
	v_fmaak_f32 v8, v7, v8, 0x3f38d0c5
	s_delay_alu instid0(VALU_DEP_1) | instskip(NEXT) | instid1(VALU_DEP_1)
	v_fmaak_f32 v8, v7, v8, 0x3fb22d3b
	v_fma_f32 v8, v7, v8, 1.0
	s_delay_alu instid0(VALU_DEP_1) | instskip(SKIP_3) | instid1(VALU_DEP_2)
	v_rcp_f32_e32 v8, v8
	s_waitcnt_depctr 0xfff
	v_mul_f32_e32 v8, v9, v8
	v_cndmask_b32_e64 v9, 0, 0x41b17218, s0
	v_fmac_f32_e32 v8, 0.5, v7
	s_delay_alu instid0(VALU_DEP_2) | instskip(NEXT) | instid1(VALU_DEP_1)
	v_sub_f32_e32 v6, v6, v9
	v_add_f32_e32 v6, v6, v8
.LBB15_50:
	s_or_b32 exec_lo, exec_lo, s4
.LBB15_51:
	s_and_not1_saveexec_b32 s3, s3
	s_cbranch_execz .LBB15_69
; %bb.52:
                                        ; implicit-def: $vgpr6
                                        ; implicit-def: $vgpr8
                                        ; implicit-def: $vgpr7
	s_mov_b32 s1, exec_lo
	v_cmpx_ge_f32_e64 0x3f666666, |v0|
	s_xor_b32 s4, exec_lo, s1
	s_cbranch_execz .LBB15_54
; %bb.53:
	v_cmp_gt_f32_e64 s1, 0x800000, |v0|
	v_sub_f32_e64 v9, 1.0, |v0|
	v_cmp_gt_f32_e64 s0, 0x3f3b4a23, |v0|
	s_delay_alu instid0(VALU_DEP_3) | instskip(SKIP_1) | instid1(VALU_DEP_2)
	v_cndmask_b32_e64 v6, 1.0, 0x4f800000, s1
	v_cndmask_b32_e64 v10, 0, 0x41b17218, s1
	v_mul_f32_e64 v6, |v0|, v6
	s_delay_alu instid0(VALU_DEP_1) | instskip(SKIP_3) | instid1(VALU_DEP_2)
	v_log_f32_e32 v6, v6
	s_waitcnt_depctr 0xfff
	v_mul_f32_e32 v7, 0x3f317217, v6
	v_cmp_gt_f32_e64 s1, 0x7f800000, |v6|
	v_fma_f32 v8, 0x3f317217, v6, -v7
	s_delay_alu instid0(VALU_DEP_1) | instskip(NEXT) | instid1(VALU_DEP_1)
	v_fmamk_f32 v8, v6, 0x3377d1cf, v8
	v_add_f32_e32 v7, v7, v8
	v_add_f32_e64 v8, 0xbeec5b0c, |v0|
	s_delay_alu instid0(VALU_DEP_2) | instskip(NEXT) | instid1(VALU_DEP_2)
	v_cndmask_b32_e64 v6, v6, v7, s1
	v_cndmask_b32_e64 v7, v9, v8, s0
	;; [unrolled: 1-line block ×3, first 2 shown]
	v_cmp_gt_f32_e64 s0, 0x3e6d3309, |v0|
	s_delay_alu instid0(VALU_DEP_4) | instskip(NEXT) | instid1(VALU_DEP_2)
	v_sub_f32_e32 v6, v6, v10
	v_cndmask_b32_e64 v7, v7, |v0|, s0
	s_delay_alu instid0(VALU_DEP_4) | instskip(NEXT) | instid1(VALU_DEP_3)
	v_cndmask_b32_e64 v8, v8, 2, s0
	v_xor_b32_e32 v6, 0x80000000, v6
.LBB15_54:
	s_and_not1_saveexec_b32 s1, s4
; %bb.55:
	v_sub_f32_e64 v6, 2.0, |v0|
	v_add_f32_e64 v7, 0xbfbb16c3, |v0|
	v_cmp_gt_f32_e64 s0, 0x3fdda512, |v0|
	v_add_f32_e64 v8, |v0|, -1.0
	s_delay_alu instid0(VALU_DEP_2) | instskip(SKIP_2) | instid1(VALU_DEP_2)
	v_cndmask_b32_e64 v7, v6, v7, s0
	v_cndmask_b32_e64 v6, v6, 1.0, s0
	v_cmp_gt_f32_e64 s0, 0x3f9d70a4, |v0|
	v_cvt_i32_f32_e32 v6, v6
	s_delay_alu instid0(VALU_DEP_2) | instskip(NEXT) | instid1(VALU_DEP_2)
	v_cndmask_b32_e64 v7, v7, v8, s0
	v_cndmask_b32_e64 v8, v6, 2, s0
	v_mov_b32_e32 v6, 0
; %bb.56:
	s_or_b32 exec_lo, exec_lo, s1
	s_delay_alu instid0(SALU_CYCLE_1) | instskip(NEXT) | instid1(VALU_DEP_2)
	s_mov_b32 s1, exec_lo
	v_cmpx_lt_i32_e32 0, v8
	s_xor_b32 s1, exec_lo, s1
	s_cbranch_execz .LBB15_64
; %bb.57:
	s_mov_b32 s4, exec_lo
	v_cmpx_lt_i32_e32 1, v8
	s_xor_b32 s4, exec_lo, s4
	s_cbranch_execz .LBB15_61
; %bb.58:
	s_mov_b32 s5, exec_lo
	v_cmpx_eq_u32_e32 2, v8
	s_cbranch_execz .LBB15_60
; %bb.59:
	s_mov_b32 s0, 0x3b52d5db
	s_delay_alu instid0(SALU_CYCLE_1) | instskip(SKIP_1) | instid1(SALU_CYCLE_1)
	v_fmaak_f32 v8, s0, v7, 0x3dd572af
	s_mov_b32 s0, 0x3c5b3c5e
	v_fmaak_f32 v9, s0, v7, 0x3e6a7578
	s_delay_alu instid0(VALU_DEP_1) | instskip(NEXT) | instid1(VALU_DEP_1)
	v_fmaak_f32 v9, v7, v9, 0x3f7a4bb2
	v_fmaak_f32 v9, v7, v9, 0x3fba3ae7
	s_delay_alu instid0(VALU_DEP_1) | instskip(NEXT) | instid1(VALU_DEP_1)
	v_fmaak_f32 v9, v7, v9, 0x3f2200f4
	v_fmaak_f32 v9, v7, v9, 0xbd9e233f
	s_delay_alu instid0(VALU_DEP_1) | instskip(SKIP_1) | instid1(VALU_DEP_1)
	v_mul_f32_e32 v9, v7, v9
	v_fmaak_f32 v8, v7, v8, 0x3f44efdf
	v_fmaak_f32 v8, v7, v8, 0x4008392d
	s_delay_alu instid0(VALU_DEP_1) | instskip(NEXT) | instid1(VALU_DEP_1)
	v_fmaak_f32 v8, v7, v8, 0x401d2ebe
	v_fma_f32 v8, v7, v8, 1.0
	s_delay_alu instid0(VALU_DEP_1) | instskip(SKIP_2) | instid1(VALU_DEP_1)
	v_rcp_f32_e32 v8, v8
	s_waitcnt_depctr 0xfff
	v_mul_f32_e32 v8, v9, v8
	v_fmac_f32_e32 v8, -0.5, v7
	s_delay_alu instid0(VALU_DEP_1)
	v_add_f32_e32 v6, v6, v8
.LBB15_60:
	s_or_b32 exec_lo, exec_lo, s5
                                        ; implicit-def: $vgpr7
.LBB15_61:
	s_and_not1_saveexec_b32 s0, s4
	s_cbranch_execz .LBB15_63
; %bb.62:
	s_mov_b32 s5, 0x39afe9f7
	v_mul_f32_e32 v8, v7, v7
	s_mov_b32 s4, 0xb9a3f927
	s_delay_alu instid0(VALU_DEP_1) | instskip(NEXT) | instid1(VALU_DEP_1)
	v_mul_f32_e32 v9, v7, v8
	v_fmaak_f32 v10, s4, v9, 0x3a66f867
	v_fmaak_f32 v11, s5, v9, 0xba0d3085
	s_mov_b32 s4, 0x39a57b6b
	s_delay_alu instid0(SALU_CYCLE_1) | instskip(NEXT) | instid1(VALU_DEP_3)
	v_fmaak_f32 v12, s4, v9, 0xbab7f476
	v_fmaak_f32 v10, v9, v10, 0xbb7177fe
	s_delay_alu instid0(VALU_DEP_3) | instskip(NEXT) | instid1(VALU_DEP_3)
	v_fmaak_f32 v11, v9, v11, 0x3b141699
	v_fmaak_f32 v12, v9, v12, 0x3bc7e707
	s_delay_alu instid0(VALU_DEP_3) | instskip(NEXT) | instid1(VALU_DEP_3)
	;; [unrolled: 3-line block ×3, first 2 shown]
	v_fmaak_f32 v12, v9, v12, 0xbd064d47
	v_fmaak_f32 v10, v9, v10, 0xbe17213c
	s_delay_alu instid0(VALU_DEP_3) | instskip(NEXT) | instid1(VALU_DEP_1)
	v_fmaak_f32 v11, v9, v11, 0x3d845a15
	v_dual_fmac_f32 v10, v7, v11 :: v_dual_fmaak_f32 v7, v9, v12, 0x3ef7b95e
	s_delay_alu instid0(VALU_DEP_1) | instskip(NEXT) | instid1(VALU_DEP_1)
	v_fma_f32 v9, v9, -v10, 0xa2863e55
	v_fma_f32 v7, v8, v7, -v9
	s_delay_alu instid0(VALU_DEP_1) | instskip(NEXT) | instid1(VALU_DEP_1)
	v_add_f32_e32 v7, 0xbdf8cdce, v7
	v_add_f32_e32 v6, v6, v7
.LBB15_63:
	s_or_b32 exec_lo, exec_lo, s0
                                        ; implicit-def: $vgpr8
                                        ; implicit-def: $vgpr7
.LBB15_64:
	s_and_not1_saveexec_b32 s1, s1
	s_cbranch_execz .LBB15_68
; %bb.65:
	s_mov_b32 s4, exec_lo
	v_cmpx_eq_u32_e32 0, v8
	s_cbranch_execz .LBB15_67
; %bb.66:
	v_mul_f32_e32 v8, v7, v7
	s_mov_b32 s0, 0x383c2c75
	s_delay_alu instid0(VALU_DEP_1) | instid1(SALU_CYCLE_1)
	v_fmaak_f32 v9, s0, v8, 0x38e28445
	s_mov_b32 s0, 0x37d383a2
	s_delay_alu instid0(SALU_CYCLE_1) | instskip(NEXT) | instid1(VALU_DEP_2)
	v_fmaak_f32 v10, s0, v8, 0x39679767
	v_fmaak_f32 v9, v8, v9, 0x3a05b634
	s_delay_alu instid0(VALU_DEP_2) | instskip(NEXT) | instid1(VALU_DEP_2)
	v_fmaak_f32 v10, v8, v10, 0x3a9c54a1
	v_fmaak_f32 v9, v8, v9, 0x3b3d6ec6
	s_delay_alu instid0(VALU_DEP_2) | instskip(NEXT) | instid1(VALU_DEP_2)
	;; [unrolled: 3-line block ×4, first 2 shown]
	v_fmaak_f32 v10, v8, v10, 0x3d9e233f
	v_mul_f32_e32 v8, v8, v9
	s_delay_alu instid0(VALU_DEP_1) | instskip(NEXT) | instid1(VALU_DEP_1)
	v_fmac_f32_e32 v8, v7, v10
	v_fmac_f32_e32 v8, -0.5, v7
	s_delay_alu instid0(VALU_DEP_1)
	v_add_f32_e32 v6, v6, v8
.LBB15_67:
	s_or_b32 exec_lo, exec_lo, s4
.LBB15_68:
	s_delay_alu instid0(SALU_CYCLE_1)
	s_or_b32 exec_lo, exec_lo, s1
.LBB15_69:
	s_delay_alu instid0(SALU_CYCLE_1)
	s_or_b32 exec_lo, exec_lo, s3
.LBB15_70:
	s_and_not1_saveexec_b32 s1, s2
	s_cbranch_execz .LBB15_72
; %bb.71:
	v_cmp_gt_f32_e64 s2, 0x800000, |v0|
	s_mov_b32 s0, 0x3e8a8991
	s_delay_alu instid0(SALU_CYCLE_1) | instskip(NEXT) | instid1(VALU_DEP_2)
	v_fma_f32 v9, |v0|, s0, 0xbecd26ab
	v_cndmask_b32_e64 v6, 1.0, 0x4f800000, s2
	s_delay_alu instid0(VALU_DEP_1) | instskip(NEXT) | instid1(VALU_DEP_1)
	v_mul_f32_e64 v6, |v0|, v6
	v_log_f32_e32 v6, v6
	s_waitcnt_depctr 0xfff
	v_mul_f32_e32 v7, 0x3f317217, v6
	v_cmp_gt_f32_e64 s0, 0x7f800000, |v6|
	s_delay_alu instid0(VALU_DEP_2) | instskip(NEXT) | instid1(VALU_DEP_1)
	v_fma_f32 v8, 0x3f317217, v6, -v7
	v_fmamk_f32 v8, v6, 0x3377d1cf, v8
	s_delay_alu instid0(VALU_DEP_1) | instskip(SKIP_1) | instid1(VALU_DEP_2)
	v_add_f32_e32 v7, v7, v8
	v_fma_f32 v8, |v0|, v9, 0x3f528d33
	v_cndmask_b32_e64 v6, v6, v7, s0
	v_cndmask_b32_e64 v7, 0, 0x41b17218, s2
	s_delay_alu instid0(VALU_DEP_3) | instskip(NEXT) | instid1(VALU_DEP_2)
	v_fma_f32 v8, |v0|, v8, 0xbf13c468
	v_sub_f32_e32 v6, v6, v7
	s_delay_alu instid0(VALU_DEP_1)
	v_fma_f32 v6, |v0|, v8, -v6
.LBB15_72:
	s_or_b32 exec_lo, exec_lo, s1
	v_cmp_le_f32_e64 s0, 0, v0
	s_mov_b32 s2, exec_lo
	v_cmpx_nle_f32_e32 0, v0
	s_xor_b32 s3, exec_lo, s2
	s_cbranch_execz .LBB15_76
; %bb.73:
	v_cmp_gt_f32_e64 s1, 0x4b000000, |v0|
	v_cmp_lt_f32_e64 s2, 0x35000000, |v0|
	s_delay_alu instid0(VALU_DEP_1) | instskip(NEXT) | instid1(SALU_CYCLE_1)
	s_and_b32 s1, s1, s2
	s_and_saveexec_b32 s4, s1
	s_cbranch_execz .LBB15_75
; %bb.74:
	v_mul_f32_e64 v7, |v0|, 0.5
	s_mov_b32 s2, 0x3d4be544
	v_xor_b32_e32 v5, v5, v0
	s_delay_alu instid0(VALU_DEP_2) | instskip(SKIP_1) | instid1(VALU_DEP_2)
	v_floor_f32_e32 v8, v7
	v_cmp_neq_f32_e64 s1, 0x7f800000, v7
	v_sub_f32_e32 v8, v7, v8
	s_delay_alu instid0(VALU_DEP_1) | instskip(NEXT) | instid1(VALU_DEP_1)
	v_min_f32_e32 v8, 0x3f7fffff, v8
	v_add_f32_e32 v8, v8, v8
	s_delay_alu instid0(VALU_DEP_1) | instskip(SKIP_1) | instid1(VALU_DEP_1)
	v_cndmask_b32_e64 v7, 0, v8, s1
	v_cmp_gt_f32_e64 s1, |v0|, 1.0
	v_cndmask_b32_e64 v7, |v0|, v7, s1
	s_mov_b32 s1, 0x3e75aa41
	s_delay_alu instid0(VALU_DEP_1) | instskip(NEXT) | instid1(VALU_DEP_1)
	v_add_f32_e32 v8, v7, v7
	v_rndne_f32_e32 v8, v8
	s_delay_alu instid0(VALU_DEP_1) | instskip(SKIP_1) | instid1(VALU_DEP_2)
	v_fmac_f32_e32 v7, -0.5, v8
	v_cvt_i32_f32_e32 v8, v8
	v_mul_f32_e32 v9, v7, v7
	s_delay_alu instid0(VALU_DEP_1) | instskip(SKIP_1) | instid1(VALU_DEP_2)
	v_fmaak_f32 v10, s1, v9, 0xbf1f24be
	v_fmaak_f32 v11, s2, v9, 0x3e642e9d
	;; [unrolled: 1-line block ×3, first 2 shown]
	s_delay_alu instid0(VALU_DEP_2) | instskip(NEXT) | instid1(VALU_DEP_2)
	v_dual_fmaak_f32 v11, v9, v11, 0xbfaad1da :: v_dual_mul_f32 v12, v7, v9
	v_fmaak_f32 v10, v9, v10, 0xc0a55e0e
	s_delay_alu instid0(VALU_DEP_1) | instskip(NEXT) | instid1(VALU_DEP_1)
	v_dual_fmaak_f32 v11, v9, v11, 0x4081e0d3 :: v_dual_mul_f32 v10, v12, v10
	v_dual_fmaak_f32 v11, v9, v11, 0xc09de9e6 :: v_dual_and_b32 v12, 1, v8
	s_delay_alu instid0(VALU_DEP_2) | instskip(NEXT) | instid1(VALU_DEP_2)
	v_dual_fmamk_f32 v7, v7, 0x40490fdb, v10 :: v_dual_lshlrev_b32 v8, 30, v8
	v_fma_f32 v9, v9, v11, 1.0
	s_delay_alu instid0(VALU_DEP_3) | instskip(NEXT) | instid1(VALU_DEP_3)
	v_cmp_eq_u32_e64 s1, 0, v12
	v_and_b32_e32 v8, 0x80000000, v8
	s_delay_alu instid0(VALU_DEP_2) | instskip(NEXT) | instid1(VALU_DEP_1)
	v_cndmask_b32_e64 v7, v9, v7, s1
	v_xor3_b32 v5, v5, v8, v7
	s_delay_alu instid0(VALU_DEP_1) | instskip(NEXT) | instid1(VALU_DEP_1)
	v_mul_f32_e32 v5, v5, v0
	v_frexp_mant_f32_e64 v7, |v5|
	v_frexp_exp_i32_f32_e32 v5, v5
	s_delay_alu instid0(VALU_DEP_2) | instskip(NEXT) | instid1(VALU_DEP_1)
	v_rcp_f32_e32 v7, v7
	v_sub_nc_u32_e32 v5, 2, v5
	s_waitcnt_depctr 0xfff
	v_mul_f32_e32 v7, 0x3f490fdb, v7
	s_delay_alu instid0(VALU_DEP_1) | instskip(NEXT) | instid1(VALU_DEP_1)
	v_ldexp_f32 v5, v7, v5
	v_cmp_gt_f32_e64 s1, 0x800000, v5
	s_delay_alu instid0(VALU_DEP_1) | instskip(NEXT) | instid1(VALU_DEP_1)
	v_cndmask_b32_e64 v7, 1.0, 0x4f800000, s1
	v_mul_f32_e32 v5, v5, v7
	s_delay_alu instid0(VALU_DEP_1) | instskip(SKIP_3) | instid1(VALU_DEP_2)
	v_log_f32_e32 v5, v5
	s_waitcnt_depctr 0xfff
	v_mul_f32_e32 v7, 0x3f317217, v5
	v_cmp_gt_f32_e64 s2, 0x7f800000, |v5|
	v_fma_f32 v8, 0x3f317217, v5, -v7
	s_delay_alu instid0(VALU_DEP_1) | instskip(NEXT) | instid1(VALU_DEP_1)
	v_fmamk_f32 v8, v5, 0x3377d1cf, v8
	v_add_f32_e32 v7, v7, v8
	v_floor_f32_e32 v8, v0
	s_delay_alu instid0(VALU_DEP_2) | instskip(NEXT) | instid1(VALU_DEP_2)
	v_cndmask_b32_e64 v5, v5, v7, s2
	v_sub_f32_e32 v8, v0, v8
	v_cndmask_b32_e64 v7, 0, 0x41b17218, s1
	s_delay_alu instid0(VALU_DEP_1) | instskip(NEXT) | instid1(VALU_DEP_3)
	v_sub_f32_e32 v5, v5, v7
	v_min_f32_e32 v7, 0x3f7fffff, v8
	s_delay_alu instid0(VALU_DEP_2) | instskip(NEXT) | instid1(VALU_DEP_2)
	v_sub_f32_e32 v5, v5, v6
	v_cmp_neq_f32_e64 s1, 0, v7
	s_delay_alu instid0(VALU_DEP_1)
	v_cndmask_b32_e64 v6, 0x7f800000, v5, s1
.LBB15_75:
	s_or_b32 exec_lo, exec_lo, s4
.LBB15_76:
	s_and_not1_saveexec_b32 s3, s3
; %bb.77:
	v_cmp_eq_f32_e64 s1, 1.0, v0
	v_cmp_eq_f32_e64 s2, 2.0, v0
	s_delay_alu instid0(VALU_DEP_1) | instskip(NEXT) | instid1(SALU_CYCLE_1)
	s_or_b32 s1, s1, s2
	v_cndmask_b32_e64 v6, v6, 0, s1
; %bb.78:
	s_or_b32 exec_lo, exec_lo, s3
	v_cmp_gt_f32_e64 s1, 0x800000, v1
	v_cmp_gt_f32_e64 s2, 0x4b000000, |v3|
	s_delay_alu instid0(VALU_DEP_2) | instskip(NEXT) | instid1(VALU_DEP_2)
	v_cndmask_b32_e64 v5, 1.0, 0x4f800000, s1
	s_or_b32 vcc_lo, vcc_lo, s2
	s_delay_alu instid0(VALU_DEP_1) | instskip(NEXT) | instid1(VALU_DEP_1)
	v_dual_cndmask_b32 v4, 0x7f800000, v4 :: v_dual_mul_f32 v1, v1, v5
	v_log_f32_e32 v1, v1
	s_waitcnt_depctr 0xfff
	v_mul_f32_e32 v5, 0x3f317217, v1
	v_cmp_gt_f32_e64 vcc_lo, 0x7f800000, |v1|
	s_delay_alu instid0(VALU_DEP_2) | instskip(NEXT) | instid1(VALU_DEP_1)
	v_fma_f32 v7, 0x3f317217, v1, -v5
	v_fmamk_f32 v7, v1, 0x3377d1cf, v7
	s_delay_alu instid0(VALU_DEP_1) | instskip(SKIP_2) | instid1(VALU_DEP_3)
	v_add_f32_e32 v5, v5, v7
	v_cndmask_b32_e64 v7, 0, 0x41b17218, s1
	v_cmp_class_f32_e64 s1, v3, 0x244
	v_cndmask_b32_e32 v1, v1, v5, vcc_lo
	v_cmp_u_f32_e32 vcc_lo, v3, v3
	s_delay_alu instid0(VALU_DEP_3) | instskip(SKIP_1) | instid1(VALU_DEP_4)
	v_cndmask_b32_e64 v4, v4, 0x7f800000, s1
	v_cmp_gt_f32_e64 s1, 0x4b000000, |v0|
	v_sub_f32_e32 v1, v1, v7
	s_delay_alu instid0(VALU_DEP_3) | instskip(NEXT) | instid1(VALU_DEP_3)
	v_cndmask_b32_e32 v3, v4, v3, vcc_lo
	s_or_b32 vcc_lo, s0, s1
	s_mov_b32 s0, 0x395133b1
	v_cndmask_b32_e32 v6, 0x7f800000, v6, vcc_lo
	v_cmp_u_f32_e32 vcc_lo, v0, v0
	v_fma_f32 v3, v1, v0, -v3
	s_delay_alu instid0(VALU_DEP_1) | instskip(NEXT) | instid1(VALU_DEP_1)
	v_mul_f32_e32 v4, 0x3fb8aa3b, v3
	v_rndne_f32_e32 v4, v4
	s_delay_alu instid0(VALU_DEP_1) | instskip(NEXT) | instid1(VALU_DEP_1)
	v_fmamk_f32 v5, v4, 0xbf317218, v3
	v_fmamk_f32 v5, v4, 0x3102e308, v5
	s_delay_alu instid0(VALU_DEP_1) | instskip(SKIP_1) | instid1(VALU_DEP_2)
	v_fmaak_f32 v7, s0, v5, 0x3ab69700
	v_cmp_class_f32_e64 s0, v0, 0x264
	v_fmaak_f32 v7, v5, v7, 0x3c0887f9
	s_delay_alu instid0(VALU_DEP_2) | instskip(NEXT) | instid1(VALU_DEP_1)
	v_cndmask_b32_e64 v6, v6, 0x7f800000, s0
	v_dual_fmaak_f32 v7, v5, v7, 0x3d2aaa81 :: v_dual_cndmask_b32 v6, v6, v0
	v_cmp_eq_f32_e32 vcc_lo, 0x43000000, v4
	s_delay_alu instid0(VALU_DEP_2) | instskip(SKIP_1) | instid1(VALU_DEP_4)
	v_fma_f32 v0, v1, v0, -v6
	v_cvt_i32_f32_e32 v1, v4
	v_fmaak_f32 v6, v5, v7, 0x3e2aaaab
	s_delay_alu instid0(VALU_DEP_3) | instskip(NEXT) | instid1(VALU_DEP_3)
	v_mul_f32_e32 v7, 0x3fb8aa3b, v0
	v_cndmask_b32_e64 v1, v1, 0x7f, vcc_lo
	s_delay_alu instid0(VALU_DEP_3) | instskip(NEXT) | instid1(VALU_DEP_3)
	v_fma_f32 v4, v5, v6, 0.5
	v_fma_f32 v6, 0x3fb8aa3b, v0, -v7
	v_rndne_f32_e32 v8, v7
	s_delay_alu instid0(VALU_DEP_4) | instskip(NEXT) | instid1(VALU_DEP_4)
	v_ldexp_f32 v1, 1.0, v1
	v_mul_f32_e32 v4, v5, v4
	s_delay_alu instid0(VALU_DEP_3) | instskip(NEXT) | instid1(VALU_DEP_3)
	v_dual_fmamk_f32 v6, v0, 0x32a5705f, v6 :: v_dual_sub_f32 v7, v7, v8
	v_add_f32_e32 v9, -1.0, v1
	s_delay_alu instid0(VALU_DEP_2) | instskip(NEXT) | instid1(VALU_DEP_1)
	v_dual_fmac_f32 v5, v5, v4 :: v_dual_add_f32 v4, v7, v6
	v_fmac_f32_e32 v9, v1, v5
	v_cvt_i32_f32_e32 v5, v8
	s_delay_alu instid0(VALU_DEP_3) | instskip(NEXT) | instid1(VALU_DEP_2)
	v_exp_f32_e32 v1, v4
	v_add_f32_e32 v4, v9, v9
	s_waitcnt_depctr 0xfff
	v_ldexp_f32 v1, v1, v5
	v_cndmask_b32_e32 v4, v9, v4, vcc_lo
	v_cmp_nlt_f32_e32 vcc_lo, 0x42b17217, v3
	s_delay_alu instid0(VALU_DEP_2) | instskip(SKIP_3) | instid1(VALU_DEP_4)
	v_cndmask_b32_e64 v4, 0xff800000, -v4, vcc_lo
	v_cmp_ngt_f32_e32 vcc_lo, 0xc2ce8ed0, v0
	v_cndmask_b32_e32 v1, 0, v1, vcc_lo
	v_cmp_ngt_f32_e32 vcc_lo, 0xc1880000, v3
	v_cndmask_b32_e32 v3, 1.0, v4, vcc_lo
	v_cmp_nlt_f32_e32 vcc_lo, 0x42b17218, v0
	s_delay_alu instid0(VALU_DEP_4) | instskip(NEXT) | instid1(VALU_DEP_1)
	v_cndmask_b32_e32 v0, 0x7f800000, v1, vcc_lo
	v_fma_f32 v0, -v2, v0, v3
	s_setpc_b64 s[30:31]
.Lfunc_end15:
	.size	_ZN12_GLOBAL__N_120_igamc_helper_seriesIfEET_S1_S1_, .Lfunc_end15-_ZN12_GLOBAL__N_120_igamc_helper_seriesIfEET_S1_S1_
                                        ; -- End function
	.section	.AMDGPU.csdata,"",@progbits
; Function info:
; codeLenInByte = 6160
; NumSgprs: 34
; NumVgprs: 13
; ScratchSize: 0
; MemoryBound: 0
	.text
	.p2align	2                               ; -- Begin function _ZN12_GLOBAL__N_112calc_igammacIfEET_S1_S1_
	.type	_ZN12_GLOBAL__N_112calc_igammacIfEET_S1_S1_,@function
_ZN12_GLOBAL__N_112calc_igammacIfEET_S1_S1_: ; @_ZN12_GLOBAL__N_112calc_igammacIfEET_S1_S1_
; %bb.0:
	s_waitcnt vmcnt(0) expcnt(0) lgkmcnt(0)
	s_mov_b32 s22, s33
	s_mov_b32 s33, s32
	s_or_saveexec_b32 s0, -1
	scratch_store_b32 off, v40, s33         ; 4-byte Folded Spill
	s_mov_b32 exec_lo, s0
	v_writelane_b32 v40, s30, 0
	s_add_i32 s32, s32, 16
	v_writelane_b32 v40, s31, 1
	v_dual_max_f32 v2, v1, v1 :: v_dual_max_f32 v3, v0, v0
	s_delay_alu instid0(VALU_DEP_1) | instskip(NEXT) | instid1(VALU_DEP_1)
	v_min_f32_e32 v2, v3, v2
	v_cmp_ngt_f32_e32 vcc_lo, 0, v2
	v_mov_b32_e32 v2, 0x7fc00000
	s_and_saveexec_b32 s15, vcc_lo
	s_cbranch_execz .LBB16_58
; %bb.1:
                                        ; implicit-def: $vgpr2
	s_mov_b32 s0, exec_lo
	v_cmpx_neq_f32_e32 0, v0
	s_xor_b32 s16, exec_lo, s0
	s_cbranch_execz .LBB16_53
; %bb.2:
	v_mov_b32_e32 v2, 1.0
	s_mov_b32 s17, exec_lo
	v_cmpx_neq_f32_e32 0, v1
	s_cbranch_execz .LBB16_52
; %bb.3:
	v_cmp_neq_f32_e64 s0, 0x7f800000, |v1|
                                        ; implicit-def: $vgpr2
	s_mov_b32 s2, exec_lo
	v_cmpx_neq_f32_e64 0x7f800000, |v0|
	s_xor_b32 s18, exec_lo, s2
	s_cbranch_execz .LBB16_47
; %bb.4:
	v_mov_b32_e32 v2, 0
	s_and_saveexec_b32 s19, s0
	s_cbranch_execz .LBB16_46
; %bb.5:
	v_sub_f32_e32 v2, v1, v0
	v_cmp_nlt_f32_e64 s1, 0x41a00000, v0
	s_delay_alu instid0(VALU_DEP_2) | instskip(NEXT) | instid1(VALU_DEP_1)
	v_and_b32_e32 v3, 0x7fffffff, v2
	v_div_scale_f32 v4, null, v0, v0, v3
	v_div_scale_f32 v3, vcc_lo, v3, v0, v3
	s_delay_alu instid0(VALU_DEP_2) | instskip(SKIP_2) | instid1(VALU_DEP_1)
	v_rcp_f32_e32 v5, v4
	s_waitcnt_depctr 0xfff
	v_fma_f32 v6, -v4, v5, 1.0
	v_fmac_f32_e32 v5, v6, v5
	s_delay_alu instid0(VALU_DEP_1) | instskip(NEXT) | instid1(VALU_DEP_1)
	v_mul_f32_e32 v6, v3, v5
	v_fma_f32 v7, -v4, v6, v3
	s_delay_alu instid0(VALU_DEP_1) | instskip(NEXT) | instid1(VALU_DEP_1)
	v_fmac_f32_e32 v6, v7, v5
	v_fma_f32 v3, -v4, v6, v3
	s_delay_alu instid0(VALU_DEP_1) | instskip(SKIP_1) | instid1(VALU_DEP_2)
	v_div_fmas_f32 v3, v3, v5, v6
	v_cmp_ngt_f32_e32 vcc_lo, 0x43480000, v0
	v_div_fixup_f32 v3, v3, v0, |v2|
                                        ; implicit-def: $vgpr2
	s_delay_alu instid0(VALU_DEP_1) | instskip(NEXT) | instid1(VALU_DEP_1)
	v_cmp_ngt_f32_e64 s0, 0x3e99999a, v3
	s_or_b32 s0, vcc_lo, s0
	s_delay_alu instid0(SALU_CYCLE_1) | instskip(NEXT) | instid1(SALU_CYCLE_1)
	s_or_b32 s0, s0, s1
	s_and_saveexec_b32 s1, s0
	s_delay_alu instid0(SALU_CYCLE_1)
	s_xor_b32 s20, exec_lo, s1
	s_cbranch_execz .LBB16_43
; %bb.6:
	s_mov_b32 s0, -1
	s_mov_b32 s9, 0
	s_mov_b32 s1, exec_lo
	v_cmpx_lt_f32_e32 0x43480000, v0
	s_cbranch_execz .LBB16_8
; %bb.7:
	v_mul_f32_e32 v2, 0x4f800000, v0
	v_cmp_gt_f32_e32 vcc_lo, 0xf800000, v0
	s_mov_b32 s9, exec_lo
	s_delay_alu instid0(VALU_DEP_2) | instskip(NEXT) | instid1(VALU_DEP_1)
	v_cndmask_b32_e32 v2, v0, v2, vcc_lo
	v_sqrt_f32_e32 v4, v2
	s_waitcnt_depctr 0xfff
	v_add_nc_u32_e32 v5, -1, v4
	v_add_nc_u32_e32 v6, 1, v4
	s_delay_alu instid0(VALU_DEP_2) | instskip(NEXT) | instid1(VALU_DEP_2)
	v_fma_f32 v7, -v5, v4, v2
	v_fma_f32 v8, -v6, v4, v2
	s_delay_alu instid0(VALU_DEP_2) | instskip(NEXT) | instid1(VALU_DEP_1)
	v_cmp_ge_f32_e64 s0, 0, v7
	v_cndmask_b32_e64 v4, v4, v5, s0
	s_delay_alu instid0(VALU_DEP_3) | instskip(NEXT) | instid1(VALU_DEP_1)
	v_cmp_lt_f32_e64 s0, 0, v8
	v_cndmask_b32_e64 v4, v4, v6, s0
	s_delay_alu instid0(VALU_DEP_1) | instskip(NEXT) | instid1(VALU_DEP_1)
	v_mul_f32_e32 v5, 0x37800000, v4
	v_cndmask_b32_e32 v4, v4, v5, vcc_lo
	v_cmp_class_f32_e64 vcc_lo, v2, 0x260
	s_delay_alu instid0(VALU_DEP_2) | instskip(NEXT) | instid1(VALU_DEP_1)
	v_cndmask_b32_e32 v2, v4, v2, vcc_lo
	v_div_scale_f32 v4, null, v2, v2, 0x40900000
	s_delay_alu instid0(VALU_DEP_1) | instskip(SKIP_2) | instid1(VALU_DEP_1)
	v_rcp_f32_e32 v5, v4
	s_waitcnt_depctr 0xfff
	v_fma_f32 v6, -v4, v5, 1.0
	v_fmac_f32_e32 v5, v6, v5
	v_div_scale_f32 v6, vcc_lo, 0x40900000, v2, 0x40900000
	s_delay_alu instid0(VALU_DEP_1) | instskip(NEXT) | instid1(VALU_DEP_1)
	v_mul_f32_e32 v7, v6, v5
	v_fma_f32 v8, -v4, v7, v6
	s_delay_alu instid0(VALU_DEP_1) | instskip(NEXT) | instid1(VALU_DEP_1)
	v_fmac_f32_e32 v7, v8, v5
	v_fma_f32 v4, -v4, v7, v6
	s_delay_alu instid0(VALU_DEP_1) | instskip(NEXT) | instid1(VALU_DEP_1)
	v_div_fmas_f32 v4, v4, v5, v7
	v_div_fixup_f32 v2, v4, v2, 0x40900000
	s_delay_alu instid0(VALU_DEP_1)
	v_cmp_nlt_f32_e32 vcc_lo, v3, v2
	s_or_not1_b32 s0, vcc_lo, exec_lo
.LBB16_8:
	s_or_b32 exec_lo, exec_lo, s1
                                        ; implicit-def: $vgpr2
	s_and_saveexec_b32 s1, s0
	s_delay_alu instid0(SALU_CYCLE_1)
	s_xor_b32 s10, exec_lo, s1
	s_cbranch_execz .LBB16_40
; %bb.9:
	v_cvt_f64_f32_e32 v[5:6], v1
	s_mov_b32 s0, 0x9999999a
	s_mov_b32 s1, 0x3ff19999
                                        ; implicit-def: $vgpr2
	s_delay_alu instid0(VALU_DEP_1) | instid1(SALU_CYCLE_1)
	v_cmp_nlt_f64_e32 vcc_lo, s[0:1], v[5:6]
	s_and_saveexec_b32 s0, vcc_lo
	s_delay_alu instid0(SALU_CYCLE_1)
	s_xor_b32 s8, exec_lo, s0
	s_cbranch_execz .LBB16_31
; %bb.10:
	v_cvt_f64_f32_e32 v[3:4], v0
                                        ; implicit-def: $vgpr2
	s_mov_b32 s0, exec_lo
	v_cmpx_ge_f32_e32 0.5, v1
	s_xor_b32 s11, exec_lo, s0
	s_cbranch_execz .LBB16_20
; %bb.11:
	v_cmp_gt_f32_e32 vcc_lo, 0x800000, v1
	s_mov_b32 s0, 0x9999999a
	s_mov_b32 s1, 0xbfd99999
	v_cndmask_b32_e64 v2, 1.0, 0x4f800000, vcc_lo
	s_delay_alu instid0(VALU_DEP_1) | instskip(NEXT) | instid1(VALU_DEP_1)
	v_mul_f32_e32 v2, v1, v2
	v_log_f32_e32 v2, v2
	s_waitcnt_depctr 0xfff
	v_mul_f32_e32 v5, 0x3f317217, v2
	s_delay_alu instid0(VALU_DEP_1) | instskip(NEXT) | instid1(VALU_DEP_1)
	v_fma_f32 v6, 0x3f317217, v2, -v5
	v_fmamk_f32 v6, v2, 0x3377d1cf, v6
	s_delay_alu instid0(VALU_DEP_1) | instskip(SKIP_2) | instid1(VALU_DEP_3)
	v_add_f32_e32 v5, v5, v6
	v_cndmask_b32_e64 v6, 0, 0x41b17218, vcc_lo
	v_cmp_gt_f32_e64 vcc_lo, 0x7f800000, |v2|
	v_cndmask_b32_e32 v2, v2, v5, vcc_lo
	s_delay_alu instid0(VALU_DEP_1) | instskip(NEXT) | instid1(VALU_DEP_1)
	v_sub_f32_e32 v2, v2, v6
	v_cvt_f64_f32_e32 v[5:6], v2
                                        ; implicit-def: $vgpr2
	s_delay_alu instid0(VALU_DEP_1) | instskip(NEXT) | instid1(VALU_DEP_1)
	v_div_scale_f64 v[7:8], null, v[5:6], v[5:6], s[0:1]
	v_rcp_f64_e32 v[9:10], v[7:8]
	s_waitcnt_depctr 0xfff
	v_fma_f64 v[11:12], -v[7:8], v[9:10], 1.0
	s_delay_alu instid0(VALU_DEP_1) | instskip(NEXT) | instid1(VALU_DEP_1)
	v_fma_f64 v[9:10], v[9:10], v[11:12], v[9:10]
	v_fma_f64 v[11:12], -v[7:8], v[9:10], 1.0
	s_delay_alu instid0(VALU_DEP_1) | instskip(SKIP_1) | instid1(VALU_DEP_1)
	v_fma_f64 v[9:10], v[9:10], v[11:12], v[9:10]
	v_div_scale_f64 v[11:12], vcc_lo, s[0:1], v[5:6], s[0:1]
	v_mul_f64 v[13:14], v[11:12], v[9:10]
	s_delay_alu instid0(VALU_DEP_1) | instskip(NEXT) | instid1(VALU_DEP_1)
	v_fma_f64 v[7:8], -v[7:8], v[13:14], v[11:12]
	v_div_fmas_f64 v[7:8], v[7:8], v[9:10], v[13:14]
	s_delay_alu instid0(VALU_DEP_1) | instskip(SKIP_1) | instid1(VALU_DEP_1)
	v_div_fixup_f64 v[5:6], v[7:8], v[5:6], s[0:1]
	s_mov_b32 s0, exec_lo
	v_cmpx_nlt_f64_e32 v[5:6], v[3:4]
	s_xor_b32 s6, exec_lo, s0
	s_cbranch_execz .LBB16_13
; %bb.12:
	s_getpc_b64 s[0:1]
	s_add_u32 s0, s0, _ZN12_GLOBAL__N_120_igamc_helper_seriesIfEET_S1_S1_@rel32@lo+4
	s_addc_u32 s1, s1, _ZN12_GLOBAL__N_120_igamc_helper_seriesIfEET_S1_S1_@rel32@hi+12
	v_dual_mov_b32 v13, v0 :: v_dual_mov_b32 v14, v1
	s_swappc_b64 s[30:31], s[0:1]
	s_delay_alu instid0(VALU_DEP_1) | instskip(NEXT) | instid1(VALU_DEP_2)
	v_dual_mov_b32 v1, v14 :: v_dual_mov_b32 v2, v0
	v_mov_b32_e32 v0, v13
.LBB16_13:
	s_and_not1_saveexec_b32 s12, s6
	s_cbranch_execz .LBB16_19
; %bb.14:
	s_getpc_b64 s[0:1]
	s_add_u32 s0, s0, _ZN12_GLOBAL__N_116_igam_helper_facIfEET_S1_S1_@rel32@lo+4
	s_addc_u32 s1, s1, _ZN12_GLOBAL__N_116_igam_helper_facIfEET_S1_S1_@rel32@hi+12
	v_dual_mov_b32 v54, v0 :: v_dual_mov_b32 v55, v1
	s_swappc_b64 s[30:31], s[0:1]
	s_delay_alu instid0(VALU_DEP_1) | instskip(NEXT) | instid1(VALU_DEP_2)
	v_dual_mov_b32 v1, v55 :: v_dual_mov_b32 v2, v0
	v_dual_mov_b32 v0, v54 :: v_dual_mov_b32 v3, 0
	s_mov_b32 s1, 0
	s_mov_b32 s0, exec_lo
	s_delay_alu instid0(VALU_DEP_2)
	v_cmpx_neq_f32_e32 0, v2
	s_cbranch_execz .LBB16_18
; %bb.15:
	v_dual_mov_b32 v5, 1.0 :: v_dual_mov_b32 v4, v0
	v_mov_b32_e32 v3, 1.0
	s_movk_i32 s2, 0x7cf
.LBB16_16:                              ; =>This Inner Loop Header: Depth=1
	s_delay_alu instid0(VALU_DEP_2) | instskip(SKIP_3) | instid1(VALU_DEP_1)
	v_add_f32_e32 v4, 1.0, v4
	s_cmp_eq_u32 s2, 0
	s_cselect_b32 s3, -1, 0
	s_add_i32 s2, s2, -1
	v_div_scale_f32 v6, null, v4, v4, v1
	s_delay_alu instid0(VALU_DEP_1) | instskip(SKIP_2) | instid1(VALU_DEP_1)
	v_rcp_f32_e32 v7, v6
	s_waitcnt_depctr 0xfff
	v_fma_f32 v8, -v6, v7, 1.0
	v_fmac_f32_e32 v7, v8, v7
	v_div_scale_f32 v9, vcc_lo, v1, v4, v1
	s_delay_alu instid0(VALU_DEP_1) | instskip(NEXT) | instid1(VALU_DEP_1)
	v_mul_f32_e32 v8, v9, v7
	v_fma_f32 v10, -v6, v8, v9
	s_delay_alu instid0(VALU_DEP_1) | instskip(NEXT) | instid1(VALU_DEP_1)
	v_fmac_f32_e32 v8, v10, v7
	v_fma_f32 v6, -v6, v8, v9
	s_delay_alu instid0(VALU_DEP_1) | instskip(NEXT) | instid1(VALU_DEP_1)
	v_div_fmas_f32 v6, v6, v7, v8
	v_div_fixup_f32 v6, v6, v4, v1
	s_delay_alu instid0(VALU_DEP_1) | instskip(NEXT) | instid1(VALU_DEP_1)
	v_fmac_f32_e32 v3, v5, v6
	v_dual_mul_f32 v5, v5, v6 :: v_dual_mul_f32 v6, 0x33800000, v3
	s_delay_alu instid0(VALU_DEP_1) | instskip(SKIP_1) | instid1(SALU_CYCLE_1)
	v_cmp_le_f32_e32 vcc_lo, v5, v6
	s_or_b32 s3, vcc_lo, s3
	s_and_b32 s3, exec_lo, s3
	s_delay_alu instid0(SALU_CYCLE_1) | instskip(NEXT) | instid1(SALU_CYCLE_1)
	s_or_b32 s1, s3, s1
	s_and_not1_b32 exec_lo, exec_lo, s1
	s_cbranch_execnz .LBB16_16
; %bb.17:
	s_or_b32 exec_lo, exec_lo, s1
	v_mul_f32_e32 v2, v2, v3
	s_delay_alu instid0(VALU_DEP_1) | instskip(NEXT) | instid1(VALU_DEP_1)
	v_div_scale_f32 v3, null, v0, v0, v2
	v_rcp_f32_e32 v4, v3
	s_waitcnt_depctr 0xfff
	v_fma_f32 v5, -v3, v4, 1.0
	s_delay_alu instid0(VALU_DEP_1) | instskip(SKIP_1) | instid1(VALU_DEP_1)
	v_fmac_f32_e32 v4, v5, v4
	v_div_scale_f32 v5, vcc_lo, v2, v0, v2
	v_mul_f32_e32 v6, v5, v4
	s_delay_alu instid0(VALU_DEP_1) | instskip(NEXT) | instid1(VALU_DEP_1)
	v_fma_f32 v7, -v3, v6, v5
	v_fmac_f32_e32 v6, v7, v4
	s_delay_alu instid0(VALU_DEP_1) | instskip(NEXT) | instid1(VALU_DEP_1)
	v_fma_f32 v3, -v3, v6, v5
	v_div_fmas_f32 v3, v3, v4, v6
	s_delay_alu instid0(VALU_DEP_1)
	v_div_fixup_f32 v3, v3, v0, v2
.LBB16_18:
	s_or_b32 exec_lo, exec_lo, s0
	s_delay_alu instid0(VALU_DEP_1)
	v_sub_f32_e32 v2, 1.0, v3
.LBB16_19:
	s_or_b32 exec_lo, exec_lo, s12
                                        ; implicit-def: $vgpr5_vgpr6
                                        ; implicit-def: $vgpr3_vgpr4
.LBB16_20:
	s_and_not1_saveexec_b32 s11, s11
	s_cbranch_execz .LBB16_30
; %bb.21:
	s_mov_b32 s0, 0x9999999a
	s_mov_b32 s1, 0x3ff19999
                                        ; implicit-def: $vgpr2
	s_delay_alu instid0(SALU_CYCLE_1) | instskip(SKIP_1) | instid1(VALU_DEP_1)
	v_mul_f64 v[5:6], v[5:6], s[0:1]
	s_mov_b32 s0, exec_lo
	v_cmpx_nlt_f64_e32 v[5:6], v[3:4]
	s_xor_b32 s6, exec_lo, s0
	s_cbranch_execz .LBB16_23
; %bb.22:
	s_getpc_b64 s[0:1]
	s_add_u32 s0, s0, _ZN12_GLOBAL__N_120_igamc_helper_seriesIfEET_S1_S1_@rel32@lo+4
	s_addc_u32 s1, s1, _ZN12_GLOBAL__N_120_igamc_helper_seriesIfEET_S1_S1_@rel32@hi+12
	v_dual_mov_b32 v13, v0 :: v_dual_mov_b32 v14, v1
	s_swappc_b64 s[30:31], s[0:1]
	s_delay_alu instid0(VALU_DEP_1) | instskip(NEXT) | instid1(VALU_DEP_2)
	v_dual_mov_b32 v1, v14 :: v_dual_mov_b32 v2, v0
	v_mov_b32_e32 v0, v13
.LBB16_23:
	s_and_not1_saveexec_b32 s12, s6
	s_cbranch_execz .LBB16_29
; %bb.24:
	s_getpc_b64 s[0:1]
	s_add_u32 s0, s0, _ZN12_GLOBAL__N_116_igam_helper_facIfEET_S1_S1_@rel32@lo+4
	s_addc_u32 s1, s1, _ZN12_GLOBAL__N_116_igam_helper_facIfEET_S1_S1_@rel32@hi+12
	v_dual_mov_b32 v54, v0 :: v_dual_mov_b32 v55, v1
	s_swappc_b64 s[30:31], s[0:1]
	s_delay_alu instid0(VALU_DEP_1) | instskip(NEXT) | instid1(VALU_DEP_2)
	v_dual_mov_b32 v1, v55 :: v_dual_mov_b32 v2, v0
	v_dual_mov_b32 v0, v54 :: v_dual_mov_b32 v3, 0
	s_mov_b32 s1, 0
	s_mov_b32 s0, exec_lo
	s_delay_alu instid0(VALU_DEP_2)
	v_cmpx_neq_f32_e32 0, v2
	s_cbranch_execz .LBB16_28
; %bb.25:
	v_dual_mov_b32 v5, 1.0 :: v_dual_mov_b32 v4, v0
	v_mov_b32_e32 v3, 1.0
	s_movk_i32 s2, 0x7cf
.LBB16_26:                              ; =>This Inner Loop Header: Depth=1
	s_delay_alu instid0(VALU_DEP_2) | instskip(SKIP_3) | instid1(VALU_DEP_1)
	v_add_f32_e32 v4, 1.0, v4
	s_cmp_eq_u32 s2, 0
	s_cselect_b32 s3, -1, 0
	s_add_i32 s2, s2, -1
	v_div_scale_f32 v6, null, v4, v4, v1
	s_delay_alu instid0(VALU_DEP_1) | instskip(SKIP_2) | instid1(VALU_DEP_1)
	v_rcp_f32_e32 v7, v6
	s_waitcnt_depctr 0xfff
	v_fma_f32 v8, -v6, v7, 1.0
	v_fmac_f32_e32 v7, v8, v7
	v_div_scale_f32 v9, vcc_lo, v1, v4, v1
	s_delay_alu instid0(VALU_DEP_1) | instskip(NEXT) | instid1(VALU_DEP_1)
	v_mul_f32_e32 v8, v9, v7
	v_fma_f32 v10, -v6, v8, v9
	s_delay_alu instid0(VALU_DEP_1) | instskip(NEXT) | instid1(VALU_DEP_1)
	v_fmac_f32_e32 v8, v10, v7
	v_fma_f32 v6, -v6, v8, v9
	s_delay_alu instid0(VALU_DEP_1) | instskip(NEXT) | instid1(VALU_DEP_1)
	v_div_fmas_f32 v6, v6, v7, v8
	v_div_fixup_f32 v6, v6, v4, v1
	s_delay_alu instid0(VALU_DEP_1) | instskip(NEXT) | instid1(VALU_DEP_1)
	v_fmac_f32_e32 v3, v5, v6
	v_dual_mul_f32 v5, v5, v6 :: v_dual_mul_f32 v6, 0x33800000, v3
	s_delay_alu instid0(VALU_DEP_1) | instskip(SKIP_1) | instid1(SALU_CYCLE_1)
	v_cmp_le_f32_e32 vcc_lo, v5, v6
	s_or_b32 s3, vcc_lo, s3
	s_and_b32 s3, exec_lo, s3
	s_delay_alu instid0(SALU_CYCLE_1) | instskip(NEXT) | instid1(SALU_CYCLE_1)
	s_or_b32 s1, s3, s1
	s_and_not1_b32 exec_lo, exec_lo, s1
	s_cbranch_execnz .LBB16_26
; %bb.27:
	s_or_b32 exec_lo, exec_lo, s1
	v_mul_f32_e32 v2, v2, v3
	s_delay_alu instid0(VALU_DEP_1) | instskip(NEXT) | instid1(VALU_DEP_1)
	v_div_scale_f32 v3, null, v0, v0, v2
	v_rcp_f32_e32 v4, v3
	s_waitcnt_depctr 0xfff
	v_fma_f32 v5, -v3, v4, 1.0
	s_delay_alu instid0(VALU_DEP_1) | instskip(SKIP_1) | instid1(VALU_DEP_1)
	v_fmac_f32_e32 v4, v5, v4
	v_div_scale_f32 v5, vcc_lo, v2, v0, v2
	v_mul_f32_e32 v6, v5, v4
	s_delay_alu instid0(VALU_DEP_1) | instskip(NEXT) | instid1(VALU_DEP_1)
	v_fma_f32 v7, -v3, v6, v5
	v_fmac_f32_e32 v6, v7, v4
	s_delay_alu instid0(VALU_DEP_1) | instskip(NEXT) | instid1(VALU_DEP_1)
	v_fma_f32 v3, -v3, v6, v5
	v_div_fmas_f32 v3, v3, v4, v6
	s_delay_alu instid0(VALU_DEP_1)
	v_div_fixup_f32 v3, v3, v0, v2
.LBB16_28:
	s_or_b32 exec_lo, exec_lo, s0
	s_delay_alu instid0(VALU_DEP_1)
	v_sub_f32_e32 v2, 1.0, v3
.LBB16_29:
	s_or_b32 exec_lo, exec_lo, s12
.LBB16_30:
	s_delay_alu instid0(SALU_CYCLE_1)
	s_or_b32 exec_lo, exec_lo, s11
.LBB16_31:
	s_and_not1_saveexec_b32 s11, s8
	s_cbranch_execz .LBB16_68
; %bb.32:
	v_cmp_nlt_f32_e64 s8, v1, v0
	s_getpc_b64 s[0:1]
	s_add_u32 s0, s0, _ZN12_GLOBAL__N_116_igam_helper_facIfEET_S1_S1_@rel32@lo+4
	s_addc_u32 s1, s1, _ZN12_GLOBAL__N_116_igam_helper_facIfEET_S1_S1_@rel32@hi+12
	v_dual_mov_b32 v54, v0 :: v_dual_mov_b32 v55, v1
	s_swappc_b64 s[30:31], s[0:1]
	v_mov_b32_e32 v3, v0
                                        ; implicit-def: $vgpr2
	s_delay_alu instid0(VALU_DEP_1) | instskip(SKIP_1) | instid1(SALU_CYCLE_1)
	v_cmp_neq_f32_e64 s0, 0, v3
	s_and_saveexec_b32 s1, s8
	s_xor_b32 s1, exec_lo, s1
	s_cbranch_execz .LBB16_61
; %bb.33:
	v_mov_b32_e32 v2, 0
	s_and_saveexec_b32 s2, s0
	s_cbranch_execz .LBB16_60
; %bb.34:
	v_dual_mov_b32 v0, v54 :: v_dual_mov_b32 v9, v55
	s_movk_i32 s4, 0x7cf
	s_mov_b32 s3, 0
	s_delay_alu instid0(VALU_DEP_1) | instskip(NEXT) | instid1(VALU_DEP_2)
	v_sub_f32_e32 v0, 1.0, v0
	v_add_f32_e32 v2, 1.0, v9
	s_delay_alu instid0(VALU_DEP_2) | instskip(NEXT) | instid1(VALU_DEP_1)
	v_add_f32_e32 v1, v0, v9
	v_add_f32_e32 v1, 1.0, v1
	s_delay_alu instid0(VALU_DEP_1) | instskip(NEXT) | instid1(VALU_DEP_1)
	v_mul_f32_e32 v4, v1, v9
	v_div_scale_f32 v5, null, v4, v4, v2
	v_div_scale_f32 v8, vcc_lo, v2, v4, v2
	s_delay_alu instid0(VALU_DEP_2) | instskip(SKIP_2) | instid1(VALU_DEP_1)
	v_rcp_f32_e32 v6, v5
	s_waitcnt_depctr 0xfff
	v_fma_f32 v7, -v5, v6, 1.0
	v_fmac_f32_e32 v6, v7, v6
	s_delay_alu instid0(VALU_DEP_1) | instskip(NEXT) | instid1(VALU_DEP_1)
	v_mul_f32_e32 v7, v8, v6
	v_fma_f32 v10, -v5, v7, v8
	s_delay_alu instid0(VALU_DEP_1) | instskip(NEXT) | instid1(VALU_DEP_1)
	v_fmac_f32_e32 v7, v10, v6
	v_fma_f32 v5, -v5, v7, v8
	v_mov_b32_e32 v8, 1.0
	s_delay_alu instid0(VALU_DEP_2) | instskip(SKIP_1) | instid1(VALU_DEP_2)
	v_div_fmas_f32 v6, v5, v6, v7
	v_mov_b32_e32 v5, 0
	v_div_fixup_f32 v6, v6, v4, v2
	s_branch .LBB16_36
.LBB16_35:                              ;   in Loop: Header=BB16_36 Depth=1
	s_or_b32 exec_lo, exec_lo, s5
	v_cmp_ge_f32_e32 vcc_lo, 0x33800000, v9
	s_cmp_eq_u32 s4, 0
	v_mov_b32_e32 v9, v4
	s_cselect_b32 s5, -1, 0
	v_mov_b32_e32 v4, v8
	v_mov_b32_e32 v8, v2
	s_or_b32 s5, vcc_lo, s5
	s_add_i32 s4, s4, -1
	v_mov_b32_e32 v2, v7
	s_and_b32 s5, exec_lo, s5
	s_delay_alu instid0(SALU_CYCLE_1) | instskip(NEXT) | instid1(SALU_CYCLE_1)
	s_or_b32 s3, s5, s3
	s_and_not1_b32 exec_lo, exec_lo, s3
	s_cbranch_execz .LBB16_59
.LBB16_36:                              ; =>This Inner Loop Header: Depth=1
	s_delay_alu instid0(VALU_DEP_2) | instskip(SKIP_2) | instid1(VALU_DEP_2)
	v_dual_add_f32 v5, 1.0, v5 :: v_dual_add_f32 v0, 1.0, v0
	v_add_f32_e32 v1, 2.0, v1
	s_mov_b32 s5, exec_lo
	v_mul_f32_e32 v7, v5, v0
	s_delay_alu instid0(VALU_DEP_1) | instskip(SKIP_1) | instid1(VALU_DEP_2)
	v_mul_f32_e32 v9, v9, v7
	v_mul_f32_e32 v7, v8, v7
	v_fma_f32 v8, v4, v1, -v9
	s_delay_alu instid0(VALU_DEP_2) | instskip(SKIP_1) | instid1(VALU_DEP_3)
	v_fma_f32 v7, v2, v1, -v7
	v_mov_b32_e32 v9, 1.0
	v_cmpx_neq_f32_e32 0, v8
	s_cbranch_execz .LBB16_38
; %bb.37:                               ;   in Loop: Header=BB16_36 Depth=1
	s_delay_alu instid0(VALU_DEP_3) | instskip(SKIP_1) | instid1(VALU_DEP_2)
	v_div_scale_f32 v9, null, v8, v8, v7
	v_div_scale_f32 v12, vcc_lo, v7, v8, v7
	v_rcp_f32_e32 v10, v9
	s_waitcnt_depctr 0xfff
	v_fma_f32 v11, -v9, v10, 1.0
	s_delay_alu instid0(VALU_DEP_1) | instskip(NEXT) | instid1(VALU_DEP_1)
	v_fmac_f32_e32 v10, v11, v10
	v_mul_f32_e32 v11, v12, v10
	s_delay_alu instid0(VALU_DEP_1) | instskip(NEXT) | instid1(VALU_DEP_1)
	v_fma_f32 v13, -v9, v11, v12
	v_fmac_f32_e32 v11, v13, v10
	s_delay_alu instid0(VALU_DEP_1) | instskip(NEXT) | instid1(VALU_DEP_1)
	v_fma_f32 v9, -v9, v11, v12
	v_div_fmas_f32 v9, v9, v10, v11
	s_delay_alu instid0(VALU_DEP_1) | instskip(NEXT) | instid1(VALU_DEP_1)
	v_div_fixup_f32 v10, v9, v8, v7
	v_sub_f32_e32 v6, v6, v10
	s_delay_alu instid0(VALU_DEP_1) | instskip(SKIP_1) | instid1(VALU_DEP_2)
	v_div_scale_f32 v9, null, v10, v10, v6
	v_div_scale_f32 v13, vcc_lo, v6, v10, v6
	v_rcp_f32_e32 v11, v9
	s_waitcnt_depctr 0xfff
	v_fma_f32 v12, -v9, v11, 1.0
	s_delay_alu instid0(VALU_DEP_1) | instskip(NEXT) | instid1(VALU_DEP_1)
	v_fmac_f32_e32 v11, v12, v11
	v_mul_f32_e32 v12, v13, v11
	s_delay_alu instid0(VALU_DEP_1) | instskip(NEXT) | instid1(VALU_DEP_1)
	v_fma_f32 v14, -v9, v12, v13
	v_fmac_f32_e32 v12, v14, v11
	s_delay_alu instid0(VALU_DEP_1) | instskip(NEXT) | instid1(VALU_DEP_1)
	v_fma_f32 v9, -v9, v12, v13
	v_div_fmas_f32 v9, v9, v11, v12
	s_delay_alu instid0(VALU_DEP_1) | instskip(NEXT) | instid1(VALU_DEP_1)
	v_div_fixup_f32 v6, v9, v10, v6
	v_dual_mov_b32 v6, v10 :: v_dual_and_b32 v9, 0x7fffffff, v6
.LBB16_38:                              ;   in Loop: Header=BB16_36 Depth=1
	s_or_b32 exec_lo, exec_lo, s5
	s_delay_alu instid0(SALU_CYCLE_1)
	s_mov_b32 s5, exec_lo
	v_cmpx_lt_f32_e64 0x4b800000, |v7|
	s_cbranch_execz .LBB16_35
; %bb.39:                               ;   in Loop: Header=BB16_36 Depth=1
	v_dual_mul_f32 v2, 0x33800000, v2 :: v_dual_mul_f32 v7, 0x33800000, v7
	v_mul_f32_e32 v4, 0x33800000, v4
	v_mul_f32_e32 v8, 0x33800000, v8
	s_branch .LBB16_35
.LBB16_40:
	s_or_b32 exec_lo, exec_lo, s10
	s_and_saveexec_b32 s21, s9
	s_cbranch_execz .LBB16_42
.LBB16_41:
	v_mov_b32_e32 v2, 0
	s_getpc_b64 s[0:1]
	s_add_u32 s0, s0, _ZN12_GLOBAL__N_130_igam_helper_asymptotic_seriesIfEET_S1_S1_b@rel32@lo+4
	s_addc_u32 s1, s1, _ZN12_GLOBAL__N_130_igam_helper_asymptotic_seriesIfEET_S1_S1_b@rel32@hi+12
	s_delay_alu instid0(SALU_CYCLE_1)
	s_swappc_b64 s[30:31], s[0:1]
	v_mov_b32_e32 v2, v0
.LBB16_42:
	s_or_b32 exec_lo, exec_lo, s21
                                        ; implicit-def: $vgpr0
                                        ; implicit-def: $vgpr1
.LBB16_43:
	s_and_not1_saveexec_b32 s20, s20
	s_cbranch_execz .LBB16_45
; %bb.44:
	v_mov_b32_e32 v2, 0
	s_getpc_b64 s[0:1]
	s_add_u32 s0, s0, _ZN12_GLOBAL__N_130_igam_helper_asymptotic_seriesIfEET_S1_S1_b@rel32@lo+4
	s_addc_u32 s1, s1, _ZN12_GLOBAL__N_130_igam_helper_asymptotic_seriesIfEET_S1_S1_b@rel32@hi+12
	s_delay_alu instid0(SALU_CYCLE_1)
	s_swappc_b64 s[30:31], s[0:1]
	v_mov_b32_e32 v2, v0
.LBB16_45:
	s_or_b32 exec_lo, exec_lo, s20
.LBB16_46:
	s_delay_alu instid0(SALU_CYCLE_1)
	s_or_b32 exec_lo, exec_lo, s19
                                        ; implicit-def: $vgpr1
.LBB16_47:
	s_and_not1_saveexec_b32 s0, s18
	s_cbranch_execz .LBB16_51
; %bb.48:
	v_cmp_class_f32_e64 s2, v1, 0x204
	v_mov_b32_e32 v2, 1.0
	s_delay_alu instid0(VALU_DEP_2)
	s_and_saveexec_b32 s1, s2
; %bb.49:
	v_mov_b32_e32 v2, 0x7fc00000
; %bb.50:
	s_or_b32 exec_lo, exec_lo, s1
.LBB16_51:
	s_delay_alu instid0(SALU_CYCLE_1)
	s_or_b32 exec_lo, exec_lo, s0
.LBB16_52:
	s_delay_alu instid0(SALU_CYCLE_1)
	s_or_b32 exec_lo, exec_lo, s17
                                        ; implicit-def: $vgpr1
.LBB16_53:
	s_and_not1_saveexec_b32 s0, s16
	s_cbranch_execz .LBB16_57
; %bb.54:
	v_mov_b32_e32 v2, 0
	s_mov_b32 s1, exec_lo
	v_cmpx_nlt_f32_e32 0, v1
; %bb.55:
	v_mov_b32_e32 v2, 0x7fc00000
; %bb.56:
	s_or_b32 exec_lo, exec_lo, s1
.LBB16_57:
	s_delay_alu instid0(SALU_CYCLE_1)
	s_or_b32 exec_lo, exec_lo, s0
.LBB16_58:
	s_delay_alu instid0(SALU_CYCLE_1)
	s_or_b32 exec_lo, exec_lo, s15
	v_readlane_b32 s30, v40, 0
	v_mov_b32_e32 v0, v2
	v_readlane_b32 s31, v40, 1
	s_or_saveexec_b32 s0, -1
	scratch_load_b32 v40, off, s33          ; 4-byte Folded Reload
	s_mov_b32 exec_lo, s0
	s_add_i32 s32, s32, -16
	s_mov_b32 s33, s22
	s_waitcnt vmcnt(0)
	s_setpc_b64 s[30:31]
.LBB16_59:
	s_or_b32 exec_lo, exec_lo, s3
	v_mul_f32_e32 v2, v3, v6
.LBB16_60:
	s_or_b32 exec_lo, exec_lo, s2
                                        ; implicit-def: $vgpr3
.LBB16_61:
	s_or_saveexec_b32 s1, s1
	v_dual_mov_b32 v1, v55 :: v_dual_mov_b32 v0, v54
	s_xor_b32 exec_lo, exec_lo, s1
	s_cbranch_execz .LBB16_67
; %bb.62:
	v_mov_b32_e32 v2, 0
	s_and_saveexec_b32 s2, s0
	s_cbranch_execz .LBB16_66
; %bb.63:
	v_dual_mov_b32 v5, 1.0 :: v_dual_mov_b32 v4, v0
	v_mov_b32_e32 v2, 1.0
	s_movk_i32 s3, 0x7cf
	s_mov_b32 s0, 0
.LBB16_64:                              ; =>This Inner Loop Header: Depth=1
	s_delay_alu instid0(VALU_DEP_2) | instskip(SKIP_3) | instid1(VALU_DEP_1)
	v_add_f32_e32 v4, 1.0, v4
	s_cmp_eq_u32 s3, 0
	s_cselect_b32 s4, -1, 0
	s_add_i32 s3, s3, -1
	v_div_scale_f32 v6, null, v4, v4, v1
	s_delay_alu instid0(VALU_DEP_1) | instskip(SKIP_2) | instid1(VALU_DEP_1)
	v_rcp_f32_e32 v7, v6
	s_waitcnt_depctr 0xfff
	v_fma_f32 v8, -v6, v7, 1.0
	v_fmac_f32_e32 v7, v8, v7
	v_div_scale_f32 v9, vcc_lo, v1, v4, v1
	s_delay_alu instid0(VALU_DEP_1) | instskip(NEXT) | instid1(VALU_DEP_1)
	v_mul_f32_e32 v8, v9, v7
	v_fma_f32 v10, -v6, v8, v9
	s_delay_alu instid0(VALU_DEP_1) | instskip(NEXT) | instid1(VALU_DEP_1)
	v_fmac_f32_e32 v8, v10, v7
	v_fma_f32 v6, -v6, v8, v9
	s_delay_alu instid0(VALU_DEP_1) | instskip(NEXT) | instid1(VALU_DEP_1)
	v_div_fmas_f32 v6, v6, v7, v8
	v_div_fixup_f32 v6, v6, v4, v1
	s_delay_alu instid0(VALU_DEP_1) | instskip(SKIP_1) | instid1(VALU_DEP_2)
	v_fmac_f32_e32 v2, v5, v6
	v_mul_f32_e32 v5, v5, v6
	v_mul_f32_e32 v6, 0x33800000, v2
	s_delay_alu instid0(VALU_DEP_1) | instskip(SKIP_1) | instid1(SALU_CYCLE_1)
	v_cmp_le_f32_e32 vcc_lo, v5, v6
	s_or_b32 s4, vcc_lo, s4
	s_and_b32 s4, exec_lo, s4
	s_delay_alu instid0(SALU_CYCLE_1) | instskip(NEXT) | instid1(SALU_CYCLE_1)
	s_or_b32 s0, s4, s0
	s_and_not1_b32 exec_lo, exec_lo, s0
	s_cbranch_execnz .LBB16_64
; %bb.65:
	s_or_b32 exec_lo, exec_lo, s0
	v_mul_f32_e32 v2, v3, v2
	s_delay_alu instid0(VALU_DEP_1) | instskip(NEXT) | instid1(VALU_DEP_1)
	v_div_scale_f32 v3, null, v0, v0, v2
	v_rcp_f32_e32 v4, v3
	s_waitcnt_depctr 0xfff
	v_fma_f32 v5, -v3, v4, 1.0
	s_delay_alu instid0(VALU_DEP_1) | instskip(SKIP_1) | instid1(VALU_DEP_1)
	v_fmac_f32_e32 v4, v5, v4
	v_div_scale_f32 v5, vcc_lo, v2, v0, v2
	v_mul_f32_e32 v6, v5, v4
	s_delay_alu instid0(VALU_DEP_1) | instskip(NEXT) | instid1(VALU_DEP_1)
	v_fma_f32 v7, -v3, v6, v5
	v_fmac_f32_e32 v6, v7, v4
	s_delay_alu instid0(VALU_DEP_1) | instskip(NEXT) | instid1(VALU_DEP_1)
	v_fma_f32 v3, -v3, v6, v5
	v_div_fmas_f32 v3, v3, v4, v6
	s_delay_alu instid0(VALU_DEP_1)
	v_div_fixup_f32 v2, v3, v0, v2
.LBB16_66:
	s_or_b32 exec_lo, exec_lo, s2
	s_delay_alu instid0(VALU_DEP_1)
	v_sub_f32_e32 v2, 1.0, v2
.LBB16_67:
	s_or_b32 exec_lo, exec_lo, s1
.LBB16_68:
	s_delay_alu instid0(SALU_CYCLE_1) | instskip(NEXT) | instid1(SALU_CYCLE_1)
	s_or_b32 exec_lo, exec_lo, s11
	s_and_not1_b32 s9, s9, exec_lo
	s_or_b32 exec_lo, exec_lo, s10
	s_and_saveexec_b32 s21, s9
	s_cbranch_execnz .LBB16_41
	s_branch .LBB16_42
.Lfunc_end16:
	.size	_ZN12_GLOBAL__N_112calc_igammacIfEET_S1_S1_, .Lfunc_end16-_ZN12_GLOBAL__N_112calc_igammacIfEET_S1_S1_
                                        ; -- End function
	.section	.AMDGPU.csdata,"",@progbits
; Function info:
; codeLenInByte = 3156
; NumSgprs: 36
; NumVgprs: 56
; ScratchSize: 128
; MemoryBound: 0
	.text
	.p2align	2                               ; -- Begin function _ZN12_GLOBAL__N_111calc_igammaIfEET_S1_S1_
	.type	_ZN12_GLOBAL__N_111calc_igammaIfEET_S1_S1_,@function
_ZN12_GLOBAL__N_111calc_igammaIfEET_S1_S1_: ; @_ZN12_GLOBAL__N_111calc_igammaIfEET_S1_S1_
; %bb.0:
	s_waitcnt vmcnt(0) expcnt(0) lgkmcnt(0)
	s_mov_b32 s0, s33
	s_mov_b32 s33, s32
	s_or_saveexec_b32 s1, -1
	scratch_store_b32 off, v41, s33 offset:4 ; 4-byte Folded Spill
	s_mov_b32 exec_lo, s1
	v_writelane_b32 v41, s0, 4
	s_add_i32 s32, s32, 16
	scratch_store_b32 off, v40, s33         ; 4-byte Folded Spill
	v_writelane_b32 v41, s34, 0
	v_writelane_b32 v41, s35, 1
	v_writelane_b32 v41, s30, 2
	v_writelane_b32 v41, s31, 3
	v_dual_max_f32 v2, v1, v1 :: v_dual_max_f32 v3, v0, v0
	s_delay_alu instid0(VALU_DEP_1) | instskip(NEXT) | instid1(VALU_DEP_1)
	v_min_f32_e32 v2, v3, v2
	v_cmp_ngt_f32_e32 vcc_lo, 0, v2
	v_mov_b32_e32 v2, 0x7fc00000
	s_and_saveexec_b32 s23, vcc_lo
	s_cbranch_execz .LBB17_36
; %bb.1:
                                        ; implicit-def: $vgpr2
	s_mov_b32 s0, exec_lo
	v_cmpx_neq_f32_e32 0, v0
	s_xor_b32 s24, exec_lo, s0
	s_cbranch_execz .LBB17_31
; %bb.2:
	v_mov_b32_e32 v2, 0
	s_mov_b32 s25, exec_lo
	v_cmpx_neq_f32_e32 0, v1
	s_cbranch_execz .LBB17_30
; %bb.3:
	v_cmp_neq_f32_e64 s0, 0x7f800000, |v1|
                                        ; implicit-def: $vgpr2
	s_mov_b32 s2, exec_lo
	v_cmpx_neq_f32_e64 0x7f800000, |v0|
	s_xor_b32 s26, exec_lo, s2
	s_cbranch_execz .LBB17_25
; %bb.4:
	v_mov_b32_e32 v2, 1.0
	s_and_saveexec_b32 s27, s0
	s_cbranch_execz .LBB17_24
; %bb.5:
	v_sub_f32_e32 v2, v1, v0
	v_cmp_nlt_f32_e64 s1, 0x41a00000, v0
	s_delay_alu instid0(VALU_DEP_2) | instskip(NEXT) | instid1(VALU_DEP_1)
	v_and_b32_e32 v3, 0x7fffffff, v2
	v_div_scale_f32 v4, null, v0, v0, v3
	v_div_scale_f32 v3, vcc_lo, v3, v0, v3
	s_delay_alu instid0(VALU_DEP_2) | instskip(SKIP_2) | instid1(VALU_DEP_1)
	v_rcp_f32_e32 v5, v4
	s_waitcnt_depctr 0xfff
	v_fma_f32 v6, -v4, v5, 1.0
	v_fmac_f32_e32 v5, v6, v5
	s_delay_alu instid0(VALU_DEP_1) | instskip(NEXT) | instid1(VALU_DEP_1)
	v_mul_f32_e32 v6, v3, v5
	v_fma_f32 v7, -v4, v6, v3
	s_delay_alu instid0(VALU_DEP_1) | instskip(NEXT) | instid1(VALU_DEP_1)
	v_fmac_f32_e32 v6, v7, v5
	v_fma_f32 v3, -v4, v6, v3
	s_delay_alu instid0(VALU_DEP_1) | instskip(SKIP_1) | instid1(VALU_DEP_2)
	v_div_fmas_f32 v3, v3, v5, v6
	v_cmp_ngt_f32_e32 vcc_lo, 0x43480000, v0
	v_div_fixup_f32 v3, v3, v0, |v2|
                                        ; implicit-def: $vgpr2
	s_delay_alu instid0(VALU_DEP_1) | instskip(NEXT) | instid1(VALU_DEP_1)
	v_cmp_ngt_f32_e64 s0, 0x3e99999a, v3
	s_or_b32 s0, vcc_lo, s0
	s_delay_alu instid0(SALU_CYCLE_1) | instskip(NEXT) | instid1(SALU_CYCLE_1)
	s_or_b32 s0, s0, s1
	s_and_saveexec_b32 s1, s0
	s_delay_alu instid0(SALU_CYCLE_1)
	s_xor_b32 s28, exec_lo, s1
	s_cbranch_execz .LBB17_21
; %bb.6:
	s_mov_b32 s0, -1
	s_mov_b32 s29, 0
	s_mov_b32 s1, exec_lo
	v_cmpx_lt_f32_e32 0x43480000, v0
	s_cbranch_execz .LBB17_8
; %bb.7:
	v_mul_f32_e32 v2, 0x4f800000, v0
	v_cmp_gt_f32_e32 vcc_lo, 0xf800000, v0
	s_mov_b32 s29, exec_lo
	s_delay_alu instid0(VALU_DEP_2) | instskip(NEXT) | instid1(VALU_DEP_1)
	v_cndmask_b32_e32 v2, v0, v2, vcc_lo
	v_sqrt_f32_e32 v4, v2
	s_waitcnt_depctr 0xfff
	v_add_nc_u32_e32 v5, -1, v4
	v_add_nc_u32_e32 v6, 1, v4
	s_delay_alu instid0(VALU_DEP_2) | instskip(NEXT) | instid1(VALU_DEP_2)
	v_fma_f32 v7, -v5, v4, v2
	v_fma_f32 v8, -v6, v4, v2
	s_delay_alu instid0(VALU_DEP_2) | instskip(NEXT) | instid1(VALU_DEP_1)
	v_cmp_ge_f32_e64 s0, 0, v7
	v_cndmask_b32_e64 v4, v4, v5, s0
	s_delay_alu instid0(VALU_DEP_3) | instskip(NEXT) | instid1(VALU_DEP_1)
	v_cmp_lt_f32_e64 s0, 0, v8
	v_cndmask_b32_e64 v4, v4, v6, s0
	s_delay_alu instid0(VALU_DEP_1) | instskip(NEXT) | instid1(VALU_DEP_1)
	v_mul_f32_e32 v5, 0x37800000, v4
	v_cndmask_b32_e32 v4, v4, v5, vcc_lo
	v_cmp_class_f32_e64 vcc_lo, v2, 0x260
	s_delay_alu instid0(VALU_DEP_2) | instskip(NEXT) | instid1(VALU_DEP_1)
	v_cndmask_b32_e32 v2, v4, v2, vcc_lo
	v_div_scale_f32 v4, null, v2, v2, 0x40900000
	s_delay_alu instid0(VALU_DEP_1) | instskip(SKIP_2) | instid1(VALU_DEP_1)
	v_rcp_f32_e32 v5, v4
	s_waitcnt_depctr 0xfff
	v_fma_f32 v6, -v4, v5, 1.0
	v_fmac_f32_e32 v5, v6, v5
	v_div_scale_f32 v6, vcc_lo, 0x40900000, v2, 0x40900000
	s_delay_alu instid0(VALU_DEP_1) | instskip(NEXT) | instid1(VALU_DEP_1)
	v_mul_f32_e32 v7, v6, v5
	v_fma_f32 v8, -v4, v7, v6
	s_delay_alu instid0(VALU_DEP_1) | instskip(NEXT) | instid1(VALU_DEP_1)
	v_fmac_f32_e32 v7, v8, v5
	v_fma_f32 v4, -v4, v7, v6
	s_delay_alu instid0(VALU_DEP_1) | instskip(NEXT) | instid1(VALU_DEP_1)
	v_div_fmas_f32 v4, v4, v5, v7
	v_div_fixup_f32 v2, v4, v2, 0x40900000
	s_delay_alu instid0(VALU_DEP_1)
	v_cmp_nlt_f32_e32 vcc_lo, v3, v2
	s_or_not1_b32 s0, vcc_lo, exec_lo
.LBB17_8:
	s_or_b32 exec_lo, exec_lo, s1
                                        ; implicit-def: $vgpr2
	s_and_saveexec_b32 s1, s0
	s_delay_alu instid0(SALU_CYCLE_1)
	s_xor_b32 s34, exec_lo, s1
	s_cbranch_execz .LBB17_18
; %bb.9:
	v_cmp_nlt_f32_e32 vcc_lo, 1.0, v1
	v_cmp_ngt_f32_e64 s0, v1, v0
                                        ; implicit-def: $vgpr2
	s_delay_alu instid0(VALU_DEP_1) | instskip(NEXT) | instid1(SALU_CYCLE_1)
	s_or_b32 s0, vcc_lo, s0
	s_and_saveexec_b32 s1, s0
	s_delay_alu instid0(SALU_CYCLE_1)
	s_xor_b32 s8, exec_lo, s1
	s_cbranch_execz .LBB17_15
; %bb.10:
	s_getpc_b64 s[0:1]
	s_add_u32 s0, s0, _ZN12_GLOBAL__N_116_igam_helper_facIfEET_S1_S1_@rel32@lo+4
	s_addc_u32 s1, s1, _ZN12_GLOBAL__N_116_igam_helper_facIfEET_S1_S1_@rel32@hi+12
	v_dual_mov_b32 v54, v0 :: v_dual_mov_b32 v55, v1
	s_swappc_b64 s[30:31], s[0:1]
	s_delay_alu instid0(VALU_DEP_1) | instskip(SKIP_1) | instid1(VALU_DEP_3)
	v_mov_b32_e32 v1, v55
	v_dual_mov_b32 v3, v0 :: v_dual_mov_b32 v2, 0
	v_mov_b32_e32 v0, v54
	s_mov_b32 s1, 0
	s_mov_b32 s0, exec_lo
	s_delay_alu instid0(VALU_DEP_2)
	v_cmpx_neq_f32_e32 0, v3
	s_cbranch_execz .LBB17_14
; %bb.11:
	v_dual_mov_b32 v5, 1.0 :: v_dual_mov_b32 v4, v0
	v_mov_b32_e32 v2, 1.0
	s_movk_i32 s2, 0x7cf
.LBB17_12:                              ; =>This Inner Loop Header: Depth=1
	s_delay_alu instid0(VALU_DEP_2) | instskip(SKIP_3) | instid1(VALU_DEP_1)
	v_add_f32_e32 v4, 1.0, v4
	s_cmp_eq_u32 s2, 0
	s_cselect_b32 s3, -1, 0
	s_add_i32 s2, s2, -1
	v_div_scale_f32 v6, null, v4, v4, v1
	s_delay_alu instid0(VALU_DEP_1) | instskip(SKIP_2) | instid1(VALU_DEP_1)
	v_rcp_f32_e32 v7, v6
	s_waitcnt_depctr 0xfff
	v_fma_f32 v8, -v6, v7, 1.0
	v_fmac_f32_e32 v7, v8, v7
	v_div_scale_f32 v9, vcc_lo, v1, v4, v1
	s_delay_alu instid0(VALU_DEP_1) | instskip(NEXT) | instid1(VALU_DEP_1)
	v_mul_f32_e32 v8, v9, v7
	v_fma_f32 v10, -v6, v8, v9
	s_delay_alu instid0(VALU_DEP_1) | instskip(NEXT) | instid1(VALU_DEP_1)
	v_fmac_f32_e32 v8, v10, v7
	v_fma_f32 v6, -v6, v8, v9
	s_delay_alu instid0(VALU_DEP_1) | instskip(NEXT) | instid1(VALU_DEP_1)
	v_div_fmas_f32 v6, v6, v7, v8
	v_div_fixup_f32 v6, v6, v4, v1
	s_delay_alu instid0(VALU_DEP_1) | instskip(SKIP_1) | instid1(VALU_DEP_2)
	v_fmac_f32_e32 v2, v5, v6
	v_mul_f32_e32 v5, v5, v6
	v_mul_f32_e32 v6, 0x33800000, v2
	s_delay_alu instid0(VALU_DEP_1) | instskip(SKIP_1) | instid1(SALU_CYCLE_1)
	v_cmp_le_f32_e32 vcc_lo, v5, v6
	s_or_b32 s3, vcc_lo, s3
	s_and_b32 s3, exec_lo, s3
	s_delay_alu instid0(SALU_CYCLE_1) | instskip(NEXT) | instid1(SALU_CYCLE_1)
	s_or_b32 s1, s3, s1
	s_and_not1_b32 exec_lo, exec_lo, s1
	s_cbranch_execnz .LBB17_12
; %bb.13:
	s_or_b32 exec_lo, exec_lo, s1
	v_mul_f32_e32 v2, v3, v2
	s_delay_alu instid0(VALU_DEP_1) | instskip(NEXT) | instid1(VALU_DEP_1)
	v_div_scale_f32 v3, null, v0, v0, v2
	v_rcp_f32_e32 v4, v3
	s_waitcnt_depctr 0xfff
	v_fma_f32 v5, -v3, v4, 1.0
	s_delay_alu instid0(VALU_DEP_1) | instskip(SKIP_1) | instid1(VALU_DEP_1)
	v_fmac_f32_e32 v4, v5, v4
	v_div_scale_f32 v5, vcc_lo, v2, v0, v2
	v_mul_f32_e32 v6, v5, v4
	s_delay_alu instid0(VALU_DEP_1) | instskip(NEXT) | instid1(VALU_DEP_1)
	v_fma_f32 v7, -v3, v6, v5
	v_fmac_f32_e32 v6, v7, v4
	s_delay_alu instid0(VALU_DEP_1) | instskip(NEXT) | instid1(VALU_DEP_1)
	v_fma_f32 v3, -v3, v6, v5
	v_div_fmas_f32 v3, v3, v4, v6
	s_delay_alu instid0(VALU_DEP_1)
	v_div_fixup_f32 v2, v3, v0, v2
.LBB17_14:
	s_or_b32 exec_lo, exec_lo, s0
.LBB17_15:
	s_and_not1_saveexec_b32 s35, s8
	s_cbranch_execz .LBB17_17
; %bb.16:
	s_getpc_b64 s[0:1]
	s_add_u32 s0, s0, _ZN12_GLOBAL__N_112calc_igammacIfEET_S1_S1_@rel32@lo+4
	s_addc_u32 s1, s1, _ZN12_GLOBAL__N_112calc_igammacIfEET_S1_S1_@rel32@hi+12
	v_dual_mov_b32 v64, v0 :: v_dual_mov_b32 v65, v1
	s_swappc_b64 s[30:31], s[0:1]
	s_delay_alu instid0(VALU_DEP_1) | instskip(NEXT) | instid1(VALU_DEP_2)
	v_dual_mov_b32 v1, v65 :: v_dual_mov_b32 v2, v0
	v_mov_b32_e32 v0, v64
	s_delay_alu instid0(VALU_DEP_2)
	v_sub_f32_e32 v2, 1.0, v2
.LBB17_17:
	s_or_b32 exec_lo, exec_lo, s35
	s_delay_alu instid0(SALU_CYCLE_1)
	s_and_not1_b32 s29, s29, exec_lo
	s_or_b32 exec_lo, exec_lo, s34
	s_and_saveexec_b32 s15, s29
	s_cbranch_execnz .LBB17_19
	s_branch .LBB17_20
.LBB17_18:
	s_or_b32 exec_lo, exec_lo, s34
	s_and_saveexec_b32 s15, s29
	s_cbranch_execz .LBB17_20
.LBB17_19:
	v_mov_b32_e32 v2, 1
	s_getpc_b64 s[0:1]
	s_add_u32 s0, s0, _ZN12_GLOBAL__N_130_igam_helper_asymptotic_seriesIfEET_S1_S1_b@rel32@lo+4
	s_addc_u32 s1, s1, _ZN12_GLOBAL__N_130_igam_helper_asymptotic_seriesIfEET_S1_S1_b@rel32@hi+12
	s_delay_alu instid0(SALU_CYCLE_1)
	s_swappc_b64 s[30:31], s[0:1]
	v_mov_b32_e32 v2, v0
.LBB17_20:
	s_or_b32 exec_lo, exec_lo, s15
                                        ; implicit-def: $vgpr0
                                        ; implicit-def: $vgpr1
.LBB17_21:
	s_and_not1_saveexec_b32 s15, s28
	s_cbranch_execz .LBB17_23
; %bb.22:
	v_mov_b32_e32 v2, 1
	s_getpc_b64 s[0:1]
	s_add_u32 s0, s0, _ZN12_GLOBAL__N_130_igam_helper_asymptotic_seriesIfEET_S1_S1_b@rel32@lo+4
	s_addc_u32 s1, s1, _ZN12_GLOBAL__N_130_igam_helper_asymptotic_seriesIfEET_S1_S1_b@rel32@hi+12
	s_delay_alu instid0(SALU_CYCLE_1)
	s_swappc_b64 s[30:31], s[0:1]
	v_mov_b32_e32 v2, v0
.LBB17_23:
	s_or_b32 exec_lo, exec_lo, s15
.LBB17_24:
	s_delay_alu instid0(SALU_CYCLE_1)
	s_or_b32 exec_lo, exec_lo, s27
                                        ; implicit-def: $vgpr1
.LBB17_25:
	s_and_not1_saveexec_b32 s0, s26
	s_cbranch_execz .LBB17_29
; %bb.26:
	v_cmp_class_f32_e64 s2, v1, 0x204
	v_mov_b32_e32 v2, 0
	s_delay_alu instid0(VALU_DEP_2)
	s_and_saveexec_b32 s1, s2
; %bb.27:
	v_mov_b32_e32 v2, 0x7fc00000
; %bb.28:
	s_or_b32 exec_lo, exec_lo, s1
.LBB17_29:
	s_delay_alu instid0(SALU_CYCLE_1)
	s_or_b32 exec_lo, exec_lo, s0
.LBB17_30:
	s_delay_alu instid0(SALU_CYCLE_1)
	s_or_b32 exec_lo, exec_lo, s25
                                        ; implicit-def: $vgpr1
.LBB17_31:
	s_and_not1_saveexec_b32 s0, s24
	s_cbranch_execz .LBB17_35
; %bb.32:
	v_mov_b32_e32 v2, 1.0
	s_mov_b32 s1, exec_lo
	v_cmpx_nlt_f32_e32 0, v1
; %bb.33:
	v_mov_b32_e32 v2, 0x7fc00000
; %bb.34:
	s_or_b32 exec_lo, exec_lo, s1
.LBB17_35:
	s_delay_alu instid0(SALU_CYCLE_1)
	s_or_b32 exec_lo, exec_lo, s0
.LBB17_36:
	s_delay_alu instid0(SALU_CYCLE_1)
	s_or_b32 exec_lo, exec_lo, s23
	scratch_load_b32 v40, off, s33          ; 4-byte Folded Reload
	v_readlane_b32 s30, v41, 2
	v_mov_b32_e32 v0, v2
	v_readlane_b32 s31, v41, 3
	v_readlane_b32 s35, v41, 1
	;; [unrolled: 1-line block ×4, first 2 shown]
	s_or_saveexec_b32 s1, -1
	scratch_load_b32 v41, off, s33 offset:4 ; 4-byte Folded Reload
	s_mov_b32 exec_lo, s1
	s_add_i32 s32, s32, -16
	s_mov_b32 s33, s0
	s_waitcnt vmcnt(0)
	s_setpc_b64 s[30:31]
.Lfunc_end17:
	.size	_ZN12_GLOBAL__N_111calc_igammaIfEET_S1_S1_, .Lfunc_end17-_ZN12_GLOBAL__N_111calc_igammaIfEET_S1_S1_
                                        ; -- End function
	.section	.AMDGPU.csdata,"",@progbits
; Function info:
; codeLenInByte = 1456
; NumSgprs: 38
; NumVgprs: 66
; ScratchSize: 144
; MemoryBound: 0
	.section	.text._ZN2at6native29vectorized_elementwise_kernelILi16EN12_GLOBAL__N_110CalcIgammaIfEESt5arrayIPcLm3EEEEviT0_T1_,"axG",@progbits,_ZN2at6native29vectorized_elementwise_kernelILi16EN12_GLOBAL__N_110CalcIgammaIfEESt5arrayIPcLm3EEEEviT0_T1_,comdat
	.globl	_ZN2at6native29vectorized_elementwise_kernelILi16EN12_GLOBAL__N_110CalcIgammaIfEESt5arrayIPcLm3EEEEviT0_T1_ ; -- Begin function _ZN2at6native29vectorized_elementwise_kernelILi16EN12_GLOBAL__N_110CalcIgammaIfEESt5arrayIPcLm3EEEEviT0_T1_
	.p2align	8
	.type	_ZN2at6native29vectorized_elementwise_kernelILi16EN12_GLOBAL__N_110CalcIgammaIfEESt5arrayIPcLm3EEEEviT0_T1_,@function
_ZN2at6native29vectorized_elementwise_kernelILi16EN12_GLOBAL__N_110CalcIgammaIfEESt5arrayIPcLm3EEEEviT0_T1_: ; @_ZN2at6native29vectorized_elementwise_kernelILi16EN12_GLOBAL__N_110CalcIgammaIfEESt5arrayIPcLm3EEEEviT0_T1_
; %bb.0:
	s_clause 0x2
	s_load_b64 s[2:3], s[0:1], 0x0
	s_load_b128 s[40:43], s[0:1], 0x8
	s_load_b64 s[44:45], s[0:1], 0x18
	v_mov_b32_e32 v46, v0
	s_mov_b32 s32, 0
	s_waitcnt lgkmcnt(0)
	s_bitcmp1_b32 s3, 0
	s_cselect_b32 s0, -1, 0
	s_lshl_b32 s38, s15, 10
	s_xor_b32 s47, s0, -1
	s_sub_i32 s46, s2, s38
	s_mov_b32 s0, -1
	s_cmpk_gt_i32 s46, 0x3ff
	s_cbranch_scc0 .LBB18_18
; %bb.1:
	s_ashr_i32 s39, s38, 31
	v_lshlrev_b32_e32 v47, 4, v46
	s_lshl_b64 s[36:37], s[38:39], 2
	s_delay_alu instid0(SALU_CYCLE_1)
	s_add_u32 s0, s42, s36
	s_addc_u32 s1, s43, s37
	s_add_u32 s2, s44, s36
	s_addc_u32 s3, s45, s37
	s_clause 0x1
	global_load_b128 v[42:45], v47, s[0:1]
	global_load_b128 v[56:59], v47, s[2:3]
	s_and_b32 vcc_lo, exec_lo, s47
	s_cbranch_vccz .LBB18_3
; %bb.2:
	s_waitcnt vmcnt(0)
	v_dual_mov_b32 v0, v42 :: v_dual_mov_b32 v1, v56
	s_getpc_b64 s[0:1]
	s_add_u32 s0, s0, _ZN12_GLOBAL__N_111calc_igammaIfEET_S1_S1_@rel32@lo+4
	s_addc_u32 s1, s1, _ZN12_GLOBAL__N_111calc_igammaIfEET_S1_S1_@rel32@hi+12
	s_delay_alu instid0(SALU_CYCLE_1)
	s_swappc_b64 s[30:31], s[0:1]
	v_mov_b32_e32 v60, v0
	s_cbranch_execz .LBB18_4
	s_branch .LBB18_5
.LBB18_3:
                                        ; implicit-def: $vgpr60
.LBB18_4:
	s_waitcnt vmcnt(0)
	v_dual_mov_b32 v0, v42 :: v_dual_mov_b32 v1, v56
	s_getpc_b64 s[0:1]
	s_add_u32 s0, s0, _ZN12_GLOBAL__N_112calc_igammacIfEET_S1_S1_@rel32@lo+4
	s_addc_u32 s1, s1, _ZN12_GLOBAL__N_112calc_igammacIfEET_S1_S1_@rel32@hi+12
	s_delay_alu instid0(SALU_CYCLE_1)
	s_swappc_b64 s[30:31], s[0:1]
	v_mov_b32_e32 v60, v0
.LBB18_5:
	s_and_not1_b32 vcc_lo, exec_lo, s47
	s_cbranch_vccnz .LBB18_7
; %bb.6:
	s_waitcnt vmcnt(0)
	v_dual_mov_b32 v0, v43 :: v_dual_mov_b32 v1, v57
	s_getpc_b64 s[0:1]
	s_add_u32 s0, s0, _ZN12_GLOBAL__N_111calc_igammaIfEET_S1_S1_@rel32@lo+4
	s_addc_u32 s1, s1, _ZN12_GLOBAL__N_111calc_igammaIfEET_S1_S1_@rel32@hi+12
	s_delay_alu instid0(SALU_CYCLE_1)
	s_swappc_b64 s[30:31], s[0:1]
	v_mov_b32_e32 v61, v0
	s_cbranch_execz .LBB18_8
	s_branch .LBB18_9
.LBB18_7:
.LBB18_8:
	s_waitcnt vmcnt(0)
	v_dual_mov_b32 v0, v43 :: v_dual_mov_b32 v1, v57
	s_getpc_b64 s[0:1]
	s_add_u32 s0, s0, _ZN12_GLOBAL__N_112calc_igammacIfEET_S1_S1_@rel32@lo+4
	s_addc_u32 s1, s1, _ZN12_GLOBAL__N_112calc_igammacIfEET_S1_S1_@rel32@hi+12
	s_delay_alu instid0(SALU_CYCLE_1)
	s_swappc_b64 s[30:31], s[0:1]
	v_mov_b32_e32 v61, v0
.LBB18_9:
	s_and_not1_b32 vcc_lo, exec_lo, s47
	s_cbranch_vccnz .LBB18_11
; %bb.10:
	s_waitcnt vmcnt(0)
	v_dual_mov_b32 v0, v44 :: v_dual_mov_b32 v1, v58
	s_getpc_b64 s[0:1]
	s_add_u32 s0, s0, _ZN12_GLOBAL__N_111calc_igammaIfEET_S1_S1_@rel32@lo+4
	s_addc_u32 s1, s1, _ZN12_GLOBAL__N_111calc_igammaIfEET_S1_S1_@rel32@hi+12
	s_delay_alu instid0(SALU_CYCLE_1)
	s_swappc_b64 s[30:31], s[0:1]
	v_mov_b32_e32 v62, v0
	s_cbranch_execz .LBB18_12
	s_branch .LBB18_13
.LBB18_11:
.LBB18_12:
	s_waitcnt vmcnt(0)
	v_dual_mov_b32 v0, v44 :: v_dual_mov_b32 v1, v58
	s_getpc_b64 s[0:1]
	s_add_u32 s0, s0, _ZN12_GLOBAL__N_112calc_igammacIfEET_S1_S1_@rel32@lo+4
	s_addc_u32 s1, s1, _ZN12_GLOBAL__N_112calc_igammacIfEET_S1_S1_@rel32@hi+12
	s_delay_alu instid0(SALU_CYCLE_1)
	s_swappc_b64 s[30:31], s[0:1]
	v_mov_b32_e32 v62, v0
.LBB18_13:
	;; [unrolled: 24-line block ×3, first 2 shown]
	s_add_u32 s2, s40, s36
	s_addc_u32 s3, s41, s37
	s_mov_b32 s0, 0
	global_store_b128 v47, v[60:63], s[2:3]
.LBB18_18:
	s_and_b32 vcc_lo, exec_lo, s0
	s_cbranch_vccz .LBB18_55
; %bb.19:
	v_cmp_gt_i32_e64 s36, s46, v46
	s_waitcnt vmcnt(0)
	v_dual_mov_b32 v57, 0 :: v_dual_mov_b32 v40, 0
	v_or_b32_e32 v62, s38, v46
	v_or_b32_e32 v66, 0x100, v46
	v_dual_mov_b32 v61, 0 :: v_dual_mov_b32 v0, v46
	s_and_saveexec_b32 s0, s36
	s_cbranch_execz .LBB18_21
; %bb.20:
	v_mov_b32_e32 v63, 0
	s_delay_alu instid0(VALU_DEP_1) | instskip(NEXT) | instid1(VALU_DEP_1)
	v_lshlrev_b64 v[0:1], 2, v[62:63]
	v_add_co_u32 v2, vcc_lo, s42, v0
	s_delay_alu instid0(VALU_DEP_2)
	v_add_co_ci_u32_e32 v3, vcc_lo, s43, v1, vcc_lo
	v_add_co_u32 v0, vcc_lo, s44, v0
	v_add_co_ci_u32_e32 v1, vcc_lo, s45, v1, vcc_lo
	global_load_b32 v40, v[2:3], off
	global_load_b32 v61, v[0:1], off
	v_or_b32_e32 v0, 0x100, v46
.LBB18_21:
	s_or_b32 exec_lo, exec_lo, s0
	v_mov_b32_e32 v60, 0
	s_mov_b32 s0, exec_lo
	s_delay_alu instid0(VALU_DEP_2)
	v_cmpx_gt_i32_e64 s46, v0
	s_cbranch_execz .LBB18_23
; %bb.22:
	v_dual_mov_b32 v2, 0 :: v_dual_add_nc_u32 v1, s38, v0
	v_add_nc_u32_e32 v0, 0x100, v0
	s_delay_alu instid0(VALU_DEP_2) | instskip(NEXT) | instid1(VALU_DEP_1)
	v_lshlrev_b64 v[1:2], 2, v[1:2]
	v_add_co_u32 v3, vcc_lo, s42, v1
	s_delay_alu instid0(VALU_DEP_2)
	v_add_co_ci_u32_e32 v4, vcc_lo, s43, v2, vcc_lo
	v_add_co_u32 v1, vcc_lo, s44, v1
	v_add_co_ci_u32_e32 v2, vcc_lo, s45, v2, vcc_lo
	global_load_b32 v57, v[3:4], off
	global_load_b32 v60, v[1:2], off
.LBB18_23:
	s_or_b32 exec_lo, exec_lo, s0
	v_dual_mov_b32 v47, 0 :: v_dual_mov_b32 v58, 0
	v_mov_b32_e32 v59, 0
	s_mov_b32 s0, exec_lo
	v_cmpx_gt_i32_e64 s46, v0
	s_cbranch_execz .LBB18_25
; %bb.24:
	v_dual_mov_b32 v2, 0 :: v_dual_add_nc_u32 v1, s38, v0
	v_add_nc_u32_e32 v0, 0x100, v0
	s_delay_alu instid0(VALU_DEP_2) | instskip(NEXT) | instid1(VALU_DEP_1)
	v_lshlrev_b64 v[1:2], 2, v[1:2]
	v_add_co_u32 v3, vcc_lo, s42, v1
	s_delay_alu instid0(VALU_DEP_2)
	v_add_co_ci_u32_e32 v4, vcc_lo, s43, v2, vcc_lo
	v_add_co_u32 v1, vcc_lo, s44, v1
	v_add_co_ci_u32_e32 v2, vcc_lo, s45, v2, vcc_lo
	global_load_b32 v58, v[3:4], off
	global_load_b32 v59, v[1:2], off
.LBB18_25:
	s_or_b32 exec_lo, exec_lo, s0
	v_mov_b32_e32 v56, 0
	s_mov_b32 s0, exec_lo
	v_cmpx_gt_i32_e64 s46, v0
	s_cbranch_execz .LBB18_27
; %bb.26:
	v_dual_mov_b32 v1, 0 :: v_dual_add_nc_u32 v0, s38, v0
	s_delay_alu instid0(VALU_DEP_1) | instskip(NEXT) | instid1(VALU_DEP_1)
	v_lshlrev_b64 v[0:1], 2, v[0:1]
	v_add_co_u32 v2, vcc_lo, s42, v0
	s_delay_alu instid0(VALU_DEP_2)
	v_add_co_ci_u32_e32 v3, vcc_lo, s43, v1, vcc_lo
	v_add_co_u32 v0, vcc_lo, s44, v0
	v_add_co_ci_u32_e32 v1, vcc_lo, s45, v1, vcc_lo
	global_load_b32 v47, v[2:3], off
	global_load_b32 v56, v[0:1], off
.LBB18_27:
	s_or_b32 exec_lo, exec_lo, s0
                                        ; implicit-def: $vgpr42_vgpr43_vgpr44_vgpr45
	s_and_saveexec_b32 s37, s36
	s_cbranch_execz .LBB18_32
; %bb.28:
	s_and_b32 vcc_lo, exec_lo, s47
	s_cbranch_vccz .LBB18_30
; %bb.29:
	s_waitcnt vmcnt(0)
	v_dual_mov_b32 v0, v40 :: v_dual_mov_b32 v1, v61
	s_getpc_b64 s[0:1]
	s_add_u32 s0, s0, _ZN12_GLOBAL__N_111calc_igammaIfEET_S1_S1_@rel32@lo+4
	s_addc_u32 s1, s1, _ZN12_GLOBAL__N_111calc_igammaIfEET_S1_S1_@rel32@hi+12
	s_delay_alu instid0(SALU_CYCLE_1)
	s_swappc_b64 s[30:31], s[0:1]
	v_mov_b32_e32 v42, v0
	s_cbranch_execz .LBB18_31
	s_branch .LBB18_32
.LBB18_30:
                                        ; implicit-def: $vgpr42
.LBB18_31:
	s_waitcnt vmcnt(0)
	v_dual_mov_b32 v0, v40 :: v_dual_mov_b32 v1, v61
	s_getpc_b64 s[0:1]
	s_add_u32 s0, s0, _ZN12_GLOBAL__N_112calc_igammacIfEET_S1_S1_@rel32@lo+4
	s_addc_u32 s1, s1, _ZN12_GLOBAL__N_112calc_igammacIfEET_S1_S1_@rel32@hi+12
	s_delay_alu instid0(SALU_CYCLE_1)
	s_swappc_b64 s[30:31], s[0:1]
	v_mov_b32_e32 v42, v0
.LBB18_32:
	s_or_b32 exec_lo, exec_lo, s37
	s_waitcnt vmcnt(0)
	v_cndmask_b32_e64 v61, 0, 1, s47
	s_mov_b32 s37, exec_lo
	v_cmpx_gt_i32_e64 s46, v66
	s_cbranch_execz .LBB18_37
; %bb.33:
	s_and_not1_b32 vcc_lo, exec_lo, s47
	s_cbranch_vccnz .LBB18_35
; %bb.34:
	v_dual_mov_b32 v0, v57 :: v_dual_mov_b32 v1, v60
	s_getpc_b64 s[0:1]
	s_add_u32 s0, s0, _ZN12_GLOBAL__N_111calc_igammaIfEET_S1_S1_@rel32@lo+4
	s_addc_u32 s1, s1, _ZN12_GLOBAL__N_111calc_igammaIfEET_S1_S1_@rel32@hi+12
	s_delay_alu instid0(SALU_CYCLE_1)
	s_swappc_b64 s[30:31], s[0:1]
	v_mov_b32_e32 v43, v0
	s_cbranch_execz .LBB18_36
	s_branch .LBB18_37
.LBB18_35:
.LBB18_36:
	v_dual_mov_b32 v0, v57 :: v_dual_mov_b32 v1, v60
	s_getpc_b64 s[0:1]
	s_add_u32 s0, s0, _ZN12_GLOBAL__N_112calc_igammacIfEET_S1_S1_@rel32@lo+4
	s_addc_u32 s1, s1, _ZN12_GLOBAL__N_112calc_igammacIfEET_S1_S1_@rel32@hi+12
	s_delay_alu instid0(SALU_CYCLE_1)
	s_swappc_b64 s[30:31], s[0:1]
	v_mov_b32_e32 v43, v0
.LBB18_37:
	s_or_b32 exec_lo, exec_lo, s37
	v_or_b32_e32 v0, 0x200, v46
	s_mov_b32 s37, exec_lo
	s_delay_alu instid0(VALU_DEP_1)
	v_cmpx_gt_i32_e64 s46, v0
	s_cbranch_execz .LBB18_42
; %bb.38:
	v_cmp_ne_u32_e32 vcc_lo, 1, v61
	s_cbranch_vccnz .LBB18_40
; %bb.39:
	v_dual_mov_b32 v0, v58 :: v_dual_mov_b32 v1, v59
	s_getpc_b64 s[0:1]
	s_add_u32 s0, s0, _ZN12_GLOBAL__N_111calc_igammaIfEET_S1_S1_@rel32@lo+4
	s_addc_u32 s1, s1, _ZN12_GLOBAL__N_111calc_igammaIfEET_S1_S1_@rel32@hi+12
	s_delay_alu instid0(SALU_CYCLE_1)
	s_swappc_b64 s[30:31], s[0:1]
	v_mov_b32_e32 v44, v0
	s_cbranch_execz .LBB18_41
	s_branch .LBB18_42
.LBB18_40:
.LBB18_41:
	v_dual_mov_b32 v0, v58 :: v_dual_mov_b32 v1, v59
	s_getpc_b64 s[0:1]
	s_add_u32 s0, s0, _ZN12_GLOBAL__N_112calc_igammacIfEET_S1_S1_@rel32@lo+4
	s_addc_u32 s1, s1, _ZN12_GLOBAL__N_112calc_igammacIfEET_S1_S1_@rel32@hi+12
	s_delay_alu instid0(SALU_CYCLE_1)
	s_swappc_b64 s[30:31], s[0:1]
	v_mov_b32_e32 v44, v0
.LBB18_42:
	s_or_b32 exec_lo, exec_lo, s37
	v_or_b32_e32 v0, 0x300, v46
	s_mov_b32 s37, exec_lo
	s_delay_alu instid0(VALU_DEP_1)
	v_cmpx_gt_i32_e64 s46, v0
	s_cbranch_execz .LBB18_47
; %bb.43:
	v_cmp_ne_u32_e32 vcc_lo, 1, v61
	s_cbranch_vccnz .LBB18_45
; %bb.44:
	v_dual_mov_b32 v0, v47 :: v_dual_mov_b32 v1, v56
	s_getpc_b64 s[0:1]
	s_add_u32 s0, s0, _ZN12_GLOBAL__N_111calc_igammaIfEET_S1_S1_@rel32@lo+4
	s_addc_u32 s1, s1, _ZN12_GLOBAL__N_111calc_igammaIfEET_S1_S1_@rel32@hi+12
	s_delay_alu instid0(SALU_CYCLE_1)
	s_swappc_b64 s[30:31], s[0:1]
	v_mov_b32_e32 v45, v0
	s_cbranch_execz .LBB18_46
	s_branch .LBB18_47
.LBB18_45:
.LBB18_46:
	v_dual_mov_b32 v0, v47 :: v_dual_mov_b32 v1, v56
	s_getpc_b64 s[0:1]
	s_add_u32 s0, s0, _ZN12_GLOBAL__N_112calc_igammacIfEET_S1_S1_@rel32@lo+4
	s_addc_u32 s1, s1, _ZN12_GLOBAL__N_112calc_igammacIfEET_S1_S1_@rel32@hi+12
	s_delay_alu instid0(SALU_CYCLE_1)
	s_swappc_b64 s[30:31], s[0:1]
	v_mov_b32_e32 v45, v0
.LBB18_47:
	s_or_b32 exec_lo, exec_lo, s37
	s_and_saveexec_b32 s0, s36
	s_delay_alu instid0(SALU_CYCLE_1)
	s_xor_b32 s0, exec_lo, s0
	s_cbranch_execz .LBB18_49
; %bb.48:
	v_dual_mov_b32 v63, 0 :: v_dual_mov_b32 v46, v66
	s_delay_alu instid0(VALU_DEP_1) | instskip(NEXT) | instid1(VALU_DEP_1)
	v_lshlrev_b64 v[0:1], 2, v[62:63]
	v_add_co_u32 v0, vcc_lo, s40, v0
	s_delay_alu instid0(VALU_DEP_2)
	v_add_co_ci_u32_e32 v1, vcc_lo, s41, v1, vcc_lo
	global_store_b32 v[0:1], v42, off
.LBB18_49:
	s_or_b32 exec_lo, exec_lo, s0
	s_delay_alu instid0(SALU_CYCLE_1)
	s_mov_b32 s0, exec_lo
	v_cmpx_gt_i32_e64 s46, v46
	s_cbranch_execnz .LBB18_53
; %bb.50:
	s_or_b32 exec_lo, exec_lo, s0
	s_delay_alu instid0(SALU_CYCLE_1)
	s_mov_b32 s0, exec_lo
	v_cmpx_gt_i32_e64 s46, v46
	s_cbranch_execnz .LBB18_54
.LBB18_51:
	s_or_b32 exec_lo, exec_lo, s0
	s_delay_alu instid0(SALU_CYCLE_1)
	s_mov_b32 s0, exec_lo
	v_cmpx_gt_i32_e64 s46, v46
	s_cbranch_execz .LBB18_55
.LBB18_52:
	v_dual_mov_b32 v1, 0 :: v_dual_add_nc_u32 v0, s38, v46
	s_delay_alu instid0(VALU_DEP_1) | instskip(NEXT) | instid1(VALU_DEP_1)
	v_lshlrev_b64 v[0:1], 2, v[0:1]
	v_add_co_u32 v0, vcc_lo, s40, v0
	s_delay_alu instid0(VALU_DEP_2)
	v_add_co_ci_u32_e32 v1, vcc_lo, s41, v1, vcc_lo
	global_store_b32 v[0:1], v45, off
	s_endpgm
.LBB18_53:
	v_dual_mov_b32 v1, 0 :: v_dual_add_nc_u32 v0, s38, v46
	v_add_nc_u32_e32 v46, 0x100, v46
	s_delay_alu instid0(VALU_DEP_2) | instskip(NEXT) | instid1(VALU_DEP_1)
	v_lshlrev_b64 v[0:1], 2, v[0:1]
	v_add_co_u32 v0, vcc_lo, s40, v0
	s_delay_alu instid0(VALU_DEP_2) | instskip(SKIP_2) | instid1(SALU_CYCLE_1)
	v_add_co_ci_u32_e32 v1, vcc_lo, s41, v1, vcc_lo
	global_store_b32 v[0:1], v43, off
	s_or_b32 exec_lo, exec_lo, s0
	s_mov_b32 s0, exec_lo
	v_cmpx_gt_i32_e64 s46, v46
	s_cbranch_execz .LBB18_51
.LBB18_54:
	v_dual_mov_b32 v1, 0 :: v_dual_add_nc_u32 v0, s38, v46
	v_add_nc_u32_e32 v46, 0x100, v46
	s_delay_alu instid0(VALU_DEP_2) | instskip(NEXT) | instid1(VALU_DEP_1)
	v_lshlrev_b64 v[0:1], 2, v[0:1]
	v_add_co_u32 v0, vcc_lo, s40, v0
	s_delay_alu instid0(VALU_DEP_2) | instskip(SKIP_2) | instid1(SALU_CYCLE_1)
	v_add_co_ci_u32_e32 v1, vcc_lo, s41, v1, vcc_lo
	global_store_b32 v[0:1], v44, off
	s_or_b32 exec_lo, exec_lo, s0
	s_mov_b32 s0, exec_lo
	v_cmpx_gt_i32_e64 s46, v46
	s_cbranch_execnz .LBB18_52
.LBB18_55:
	s_endpgm
	.section	.rodata,"a",@progbits
	.p2align	6, 0x0
	.amdhsa_kernel _ZN2at6native29vectorized_elementwise_kernelILi16EN12_GLOBAL__N_110CalcIgammaIfEESt5arrayIPcLm3EEEEviT0_T1_
		.amdhsa_group_segment_fixed_size 0
		.amdhsa_private_segment_fixed_size 144
		.amdhsa_kernarg_size 32
		.amdhsa_user_sgpr_count 15
		.amdhsa_user_sgpr_dispatch_ptr 0
		.amdhsa_user_sgpr_queue_ptr 0
		.amdhsa_user_sgpr_kernarg_segment_ptr 1
		.amdhsa_user_sgpr_dispatch_id 0
		.amdhsa_user_sgpr_private_segment_size 0
		.amdhsa_wavefront_size32 1
		.amdhsa_uses_dynamic_stack 0
		.amdhsa_enable_private_segment 1
		.amdhsa_system_sgpr_workgroup_id_x 1
		.amdhsa_system_sgpr_workgroup_id_y 0
		.amdhsa_system_sgpr_workgroup_id_z 0
		.amdhsa_system_sgpr_workgroup_info 0
		.amdhsa_system_vgpr_workitem_id 0
		.amdhsa_next_free_vgpr 67
		.amdhsa_next_free_sgpr 48
		.amdhsa_reserve_vcc 1
		.amdhsa_float_round_mode_32 0
		.amdhsa_float_round_mode_16_64 0
		.amdhsa_float_denorm_mode_32 3
		.amdhsa_float_denorm_mode_16_64 3
		.amdhsa_dx10_clamp 1
		.amdhsa_ieee_mode 1
		.amdhsa_fp16_overflow 0
		.amdhsa_workgroup_processor_mode 1
		.amdhsa_memory_ordered 1
		.amdhsa_forward_progress 0
		.amdhsa_shared_vgpr_count 0
		.amdhsa_exception_fp_ieee_invalid_op 0
		.amdhsa_exception_fp_denorm_src 0
		.amdhsa_exception_fp_ieee_div_zero 0
		.amdhsa_exception_fp_ieee_overflow 0
		.amdhsa_exception_fp_ieee_underflow 0
		.amdhsa_exception_fp_ieee_inexact 0
		.amdhsa_exception_int_div_zero 0
	.end_amdhsa_kernel
	.section	.text._ZN2at6native29vectorized_elementwise_kernelILi16EN12_GLOBAL__N_110CalcIgammaIfEESt5arrayIPcLm3EEEEviT0_T1_,"axG",@progbits,_ZN2at6native29vectorized_elementwise_kernelILi16EN12_GLOBAL__N_110CalcIgammaIfEESt5arrayIPcLm3EEEEviT0_T1_,comdat
.Lfunc_end18:
	.size	_ZN2at6native29vectorized_elementwise_kernelILi16EN12_GLOBAL__N_110CalcIgammaIfEESt5arrayIPcLm3EEEEviT0_T1_, .Lfunc_end18-_ZN2at6native29vectorized_elementwise_kernelILi16EN12_GLOBAL__N_110CalcIgammaIfEESt5arrayIPcLm3EEEEviT0_T1_
                                        ; -- End function
	.section	.AMDGPU.csdata,"",@progbits
; Kernel info:
; codeLenInByte = 1808
; NumSgprs: 50
; NumVgprs: 67
; ScratchSize: 144
; MemoryBound: 1
; FloatMode: 240
; IeeeMode: 1
; LDSByteSize: 0 bytes/workgroup (compile time only)
; SGPRBlocks: 6
; VGPRBlocks: 8
; NumSGPRsForWavesPerEU: 50
; NumVGPRsForWavesPerEU: 67
; Occupancy: 16
; WaveLimiterHint : 0
; COMPUTE_PGM_RSRC2:SCRATCH_EN: 1
; COMPUTE_PGM_RSRC2:USER_SGPR: 15
; COMPUTE_PGM_RSRC2:TRAP_HANDLER: 0
; COMPUTE_PGM_RSRC2:TGID_X_EN: 1
; COMPUTE_PGM_RSRC2:TGID_Y_EN: 0
; COMPUTE_PGM_RSRC2:TGID_Z_EN: 0
; COMPUTE_PGM_RSRC2:TIDIG_COMP_CNT: 0
	.section	.text._ZN2at6native29vectorized_elementwise_kernelILi8EN12_GLOBAL__N_110CalcIgammaIfEESt5arrayIPcLm3EEEEviT0_T1_,"axG",@progbits,_ZN2at6native29vectorized_elementwise_kernelILi8EN12_GLOBAL__N_110CalcIgammaIfEESt5arrayIPcLm3EEEEviT0_T1_,comdat
	.globl	_ZN2at6native29vectorized_elementwise_kernelILi8EN12_GLOBAL__N_110CalcIgammaIfEESt5arrayIPcLm3EEEEviT0_T1_ ; -- Begin function _ZN2at6native29vectorized_elementwise_kernelILi8EN12_GLOBAL__N_110CalcIgammaIfEESt5arrayIPcLm3EEEEviT0_T1_
	.p2align	8
	.type	_ZN2at6native29vectorized_elementwise_kernelILi8EN12_GLOBAL__N_110CalcIgammaIfEESt5arrayIPcLm3EEEEviT0_T1_,@function
_ZN2at6native29vectorized_elementwise_kernelILi8EN12_GLOBAL__N_110CalcIgammaIfEESt5arrayIPcLm3EEEEviT0_T1_: ; @_ZN2at6native29vectorized_elementwise_kernelILi8EN12_GLOBAL__N_110CalcIgammaIfEESt5arrayIPcLm3EEEEviT0_T1_
; %bb.0:
	s_clause 0x2
	s_load_b64 s[2:3], s[0:1], 0x0
	s_load_b128 s[40:43], s[0:1], 0x8
	s_load_b64 s[44:45], s[0:1], 0x18
	v_mov_b32_e32 v46, v0
	s_mov_b32 s32, 0
	s_waitcnt lgkmcnt(0)
	s_bitcmp1_b32 s3, 0
	s_cselect_b32 s0, -1, 0
	s_lshl_b32 s38, s15, 10
	s_xor_b32 s47, s0, -1
	s_sub_i32 s46, s2, s38
	s_mov_b32 s0, -1
	s_cmpk_gt_i32 s46, 0x3ff
	s_cbranch_scc0 .LBB19_18
; %bb.1:
	s_ashr_i32 s39, s38, 31
	v_lshlrev_b32_e32 v47, 4, v46
	s_lshl_b64 s[36:37], s[38:39], 2
	s_delay_alu instid0(SALU_CYCLE_1)
	s_add_u32 s0, s42, s36
	s_addc_u32 s1, s43, s37
	s_add_u32 s2, s44, s36
	s_addc_u32 s3, s45, s37
	s_clause 0x1
	global_load_b128 v[42:45], v47, s[0:1]
	global_load_b128 v[56:59], v47, s[2:3]
	s_and_b32 vcc_lo, exec_lo, s47
	s_cbranch_vccz .LBB19_3
; %bb.2:
	s_waitcnt vmcnt(0)
	v_dual_mov_b32 v0, v42 :: v_dual_mov_b32 v1, v56
	s_getpc_b64 s[0:1]
	s_add_u32 s0, s0, _ZN12_GLOBAL__N_111calc_igammaIfEET_S1_S1_@rel32@lo+4
	s_addc_u32 s1, s1, _ZN12_GLOBAL__N_111calc_igammaIfEET_S1_S1_@rel32@hi+12
	s_delay_alu instid0(SALU_CYCLE_1)
	s_swappc_b64 s[30:31], s[0:1]
	v_mov_b32_e32 v60, v0
	s_cbranch_execz .LBB19_4
	s_branch .LBB19_5
.LBB19_3:
                                        ; implicit-def: $vgpr60
.LBB19_4:
	s_waitcnt vmcnt(0)
	v_dual_mov_b32 v0, v42 :: v_dual_mov_b32 v1, v56
	s_getpc_b64 s[0:1]
	s_add_u32 s0, s0, _ZN12_GLOBAL__N_112calc_igammacIfEET_S1_S1_@rel32@lo+4
	s_addc_u32 s1, s1, _ZN12_GLOBAL__N_112calc_igammacIfEET_S1_S1_@rel32@hi+12
	s_delay_alu instid0(SALU_CYCLE_1)
	s_swappc_b64 s[30:31], s[0:1]
	v_mov_b32_e32 v60, v0
.LBB19_5:
	s_and_not1_b32 vcc_lo, exec_lo, s47
	s_cbranch_vccnz .LBB19_7
; %bb.6:
	s_waitcnt vmcnt(0)
	v_dual_mov_b32 v0, v43 :: v_dual_mov_b32 v1, v57
	s_getpc_b64 s[0:1]
	s_add_u32 s0, s0, _ZN12_GLOBAL__N_111calc_igammaIfEET_S1_S1_@rel32@lo+4
	s_addc_u32 s1, s1, _ZN12_GLOBAL__N_111calc_igammaIfEET_S1_S1_@rel32@hi+12
	s_delay_alu instid0(SALU_CYCLE_1)
	s_swappc_b64 s[30:31], s[0:1]
	v_mov_b32_e32 v61, v0
	s_cbranch_execz .LBB19_8
	s_branch .LBB19_9
.LBB19_7:
.LBB19_8:
	s_waitcnt vmcnt(0)
	v_dual_mov_b32 v0, v43 :: v_dual_mov_b32 v1, v57
	s_getpc_b64 s[0:1]
	s_add_u32 s0, s0, _ZN12_GLOBAL__N_112calc_igammacIfEET_S1_S1_@rel32@lo+4
	s_addc_u32 s1, s1, _ZN12_GLOBAL__N_112calc_igammacIfEET_S1_S1_@rel32@hi+12
	s_delay_alu instid0(SALU_CYCLE_1)
	s_swappc_b64 s[30:31], s[0:1]
	v_mov_b32_e32 v61, v0
.LBB19_9:
	s_and_not1_b32 vcc_lo, exec_lo, s47
	s_cbranch_vccnz .LBB19_11
; %bb.10:
	s_waitcnt vmcnt(0)
	v_dual_mov_b32 v0, v44 :: v_dual_mov_b32 v1, v58
	s_getpc_b64 s[0:1]
	s_add_u32 s0, s0, _ZN12_GLOBAL__N_111calc_igammaIfEET_S1_S1_@rel32@lo+4
	s_addc_u32 s1, s1, _ZN12_GLOBAL__N_111calc_igammaIfEET_S1_S1_@rel32@hi+12
	s_delay_alu instid0(SALU_CYCLE_1)
	s_swappc_b64 s[30:31], s[0:1]
	v_mov_b32_e32 v62, v0
	s_cbranch_execz .LBB19_12
	s_branch .LBB19_13
.LBB19_11:
.LBB19_12:
	s_waitcnt vmcnt(0)
	v_dual_mov_b32 v0, v44 :: v_dual_mov_b32 v1, v58
	s_getpc_b64 s[0:1]
	s_add_u32 s0, s0, _ZN12_GLOBAL__N_112calc_igammacIfEET_S1_S1_@rel32@lo+4
	s_addc_u32 s1, s1, _ZN12_GLOBAL__N_112calc_igammacIfEET_S1_S1_@rel32@hi+12
	s_delay_alu instid0(SALU_CYCLE_1)
	s_swappc_b64 s[30:31], s[0:1]
	v_mov_b32_e32 v62, v0
.LBB19_13:
	;; [unrolled: 24-line block ×3, first 2 shown]
	s_add_u32 s2, s40, s36
	s_addc_u32 s3, s41, s37
	s_mov_b32 s0, 0
	global_store_b128 v47, v[60:63], s[2:3]
.LBB19_18:
	s_and_b32 vcc_lo, exec_lo, s0
	s_cbranch_vccz .LBB19_55
; %bb.19:
	v_cmp_gt_i32_e64 s36, s46, v46
	s_waitcnt vmcnt(0)
	v_dual_mov_b32 v57, 0 :: v_dual_mov_b32 v40, 0
	v_or_b32_e32 v62, s38, v46
	v_or_b32_e32 v66, 0x100, v46
	v_dual_mov_b32 v61, 0 :: v_dual_mov_b32 v0, v46
	s_and_saveexec_b32 s0, s36
	s_cbranch_execz .LBB19_21
; %bb.20:
	v_mov_b32_e32 v63, 0
	s_delay_alu instid0(VALU_DEP_1) | instskip(NEXT) | instid1(VALU_DEP_1)
	v_lshlrev_b64 v[0:1], 2, v[62:63]
	v_add_co_u32 v2, vcc_lo, s42, v0
	s_delay_alu instid0(VALU_DEP_2)
	v_add_co_ci_u32_e32 v3, vcc_lo, s43, v1, vcc_lo
	v_add_co_u32 v0, vcc_lo, s44, v0
	v_add_co_ci_u32_e32 v1, vcc_lo, s45, v1, vcc_lo
	global_load_b32 v40, v[2:3], off
	global_load_b32 v61, v[0:1], off
	v_or_b32_e32 v0, 0x100, v46
.LBB19_21:
	s_or_b32 exec_lo, exec_lo, s0
	v_mov_b32_e32 v60, 0
	s_mov_b32 s0, exec_lo
	s_delay_alu instid0(VALU_DEP_2)
	v_cmpx_gt_i32_e64 s46, v0
	s_cbranch_execz .LBB19_23
; %bb.22:
	v_dual_mov_b32 v2, 0 :: v_dual_add_nc_u32 v1, s38, v0
	v_add_nc_u32_e32 v0, 0x100, v0
	s_delay_alu instid0(VALU_DEP_2) | instskip(NEXT) | instid1(VALU_DEP_1)
	v_lshlrev_b64 v[1:2], 2, v[1:2]
	v_add_co_u32 v3, vcc_lo, s42, v1
	s_delay_alu instid0(VALU_DEP_2)
	v_add_co_ci_u32_e32 v4, vcc_lo, s43, v2, vcc_lo
	v_add_co_u32 v1, vcc_lo, s44, v1
	v_add_co_ci_u32_e32 v2, vcc_lo, s45, v2, vcc_lo
	global_load_b32 v57, v[3:4], off
	global_load_b32 v60, v[1:2], off
.LBB19_23:
	s_or_b32 exec_lo, exec_lo, s0
	v_dual_mov_b32 v47, 0 :: v_dual_mov_b32 v58, 0
	v_mov_b32_e32 v59, 0
	s_mov_b32 s0, exec_lo
	v_cmpx_gt_i32_e64 s46, v0
	s_cbranch_execz .LBB19_25
; %bb.24:
	v_dual_mov_b32 v2, 0 :: v_dual_add_nc_u32 v1, s38, v0
	v_add_nc_u32_e32 v0, 0x100, v0
	s_delay_alu instid0(VALU_DEP_2) | instskip(NEXT) | instid1(VALU_DEP_1)
	v_lshlrev_b64 v[1:2], 2, v[1:2]
	v_add_co_u32 v3, vcc_lo, s42, v1
	s_delay_alu instid0(VALU_DEP_2)
	v_add_co_ci_u32_e32 v4, vcc_lo, s43, v2, vcc_lo
	v_add_co_u32 v1, vcc_lo, s44, v1
	v_add_co_ci_u32_e32 v2, vcc_lo, s45, v2, vcc_lo
	global_load_b32 v58, v[3:4], off
	global_load_b32 v59, v[1:2], off
.LBB19_25:
	s_or_b32 exec_lo, exec_lo, s0
	v_mov_b32_e32 v56, 0
	s_mov_b32 s0, exec_lo
	v_cmpx_gt_i32_e64 s46, v0
	s_cbranch_execz .LBB19_27
; %bb.26:
	v_dual_mov_b32 v1, 0 :: v_dual_add_nc_u32 v0, s38, v0
	s_delay_alu instid0(VALU_DEP_1) | instskip(NEXT) | instid1(VALU_DEP_1)
	v_lshlrev_b64 v[0:1], 2, v[0:1]
	v_add_co_u32 v2, vcc_lo, s42, v0
	s_delay_alu instid0(VALU_DEP_2)
	v_add_co_ci_u32_e32 v3, vcc_lo, s43, v1, vcc_lo
	v_add_co_u32 v0, vcc_lo, s44, v0
	v_add_co_ci_u32_e32 v1, vcc_lo, s45, v1, vcc_lo
	global_load_b32 v47, v[2:3], off
	global_load_b32 v56, v[0:1], off
.LBB19_27:
	s_or_b32 exec_lo, exec_lo, s0
                                        ; implicit-def: $vgpr42_vgpr43_vgpr44_vgpr45
	s_and_saveexec_b32 s37, s36
	s_cbranch_execz .LBB19_32
; %bb.28:
	s_and_b32 vcc_lo, exec_lo, s47
	s_cbranch_vccz .LBB19_30
; %bb.29:
	s_waitcnt vmcnt(0)
	v_dual_mov_b32 v0, v40 :: v_dual_mov_b32 v1, v61
	s_getpc_b64 s[0:1]
	s_add_u32 s0, s0, _ZN12_GLOBAL__N_111calc_igammaIfEET_S1_S1_@rel32@lo+4
	s_addc_u32 s1, s1, _ZN12_GLOBAL__N_111calc_igammaIfEET_S1_S1_@rel32@hi+12
	s_delay_alu instid0(SALU_CYCLE_1)
	s_swappc_b64 s[30:31], s[0:1]
	v_mov_b32_e32 v42, v0
	s_cbranch_execz .LBB19_31
	s_branch .LBB19_32
.LBB19_30:
                                        ; implicit-def: $vgpr42
.LBB19_31:
	s_waitcnt vmcnt(0)
	v_dual_mov_b32 v0, v40 :: v_dual_mov_b32 v1, v61
	s_getpc_b64 s[0:1]
	s_add_u32 s0, s0, _ZN12_GLOBAL__N_112calc_igammacIfEET_S1_S1_@rel32@lo+4
	s_addc_u32 s1, s1, _ZN12_GLOBAL__N_112calc_igammacIfEET_S1_S1_@rel32@hi+12
	s_delay_alu instid0(SALU_CYCLE_1)
	s_swappc_b64 s[30:31], s[0:1]
	v_mov_b32_e32 v42, v0
.LBB19_32:
	s_or_b32 exec_lo, exec_lo, s37
	s_waitcnt vmcnt(0)
	v_cndmask_b32_e64 v61, 0, 1, s47
	s_mov_b32 s37, exec_lo
	v_cmpx_gt_i32_e64 s46, v66
	s_cbranch_execz .LBB19_37
; %bb.33:
	s_and_not1_b32 vcc_lo, exec_lo, s47
	s_cbranch_vccnz .LBB19_35
; %bb.34:
	v_dual_mov_b32 v0, v57 :: v_dual_mov_b32 v1, v60
	s_getpc_b64 s[0:1]
	s_add_u32 s0, s0, _ZN12_GLOBAL__N_111calc_igammaIfEET_S1_S1_@rel32@lo+4
	s_addc_u32 s1, s1, _ZN12_GLOBAL__N_111calc_igammaIfEET_S1_S1_@rel32@hi+12
	s_delay_alu instid0(SALU_CYCLE_1)
	s_swappc_b64 s[30:31], s[0:1]
	v_mov_b32_e32 v43, v0
	s_cbranch_execz .LBB19_36
	s_branch .LBB19_37
.LBB19_35:
.LBB19_36:
	v_dual_mov_b32 v0, v57 :: v_dual_mov_b32 v1, v60
	s_getpc_b64 s[0:1]
	s_add_u32 s0, s0, _ZN12_GLOBAL__N_112calc_igammacIfEET_S1_S1_@rel32@lo+4
	s_addc_u32 s1, s1, _ZN12_GLOBAL__N_112calc_igammacIfEET_S1_S1_@rel32@hi+12
	s_delay_alu instid0(SALU_CYCLE_1)
	s_swappc_b64 s[30:31], s[0:1]
	v_mov_b32_e32 v43, v0
.LBB19_37:
	s_or_b32 exec_lo, exec_lo, s37
	v_or_b32_e32 v0, 0x200, v46
	s_mov_b32 s37, exec_lo
	s_delay_alu instid0(VALU_DEP_1)
	v_cmpx_gt_i32_e64 s46, v0
	s_cbranch_execz .LBB19_42
; %bb.38:
	v_cmp_ne_u32_e32 vcc_lo, 1, v61
	s_cbranch_vccnz .LBB19_40
; %bb.39:
	v_dual_mov_b32 v0, v58 :: v_dual_mov_b32 v1, v59
	s_getpc_b64 s[0:1]
	s_add_u32 s0, s0, _ZN12_GLOBAL__N_111calc_igammaIfEET_S1_S1_@rel32@lo+4
	s_addc_u32 s1, s1, _ZN12_GLOBAL__N_111calc_igammaIfEET_S1_S1_@rel32@hi+12
	s_delay_alu instid0(SALU_CYCLE_1)
	s_swappc_b64 s[30:31], s[0:1]
	v_mov_b32_e32 v44, v0
	s_cbranch_execz .LBB19_41
	s_branch .LBB19_42
.LBB19_40:
.LBB19_41:
	v_dual_mov_b32 v0, v58 :: v_dual_mov_b32 v1, v59
	s_getpc_b64 s[0:1]
	s_add_u32 s0, s0, _ZN12_GLOBAL__N_112calc_igammacIfEET_S1_S1_@rel32@lo+4
	s_addc_u32 s1, s1, _ZN12_GLOBAL__N_112calc_igammacIfEET_S1_S1_@rel32@hi+12
	s_delay_alu instid0(SALU_CYCLE_1)
	s_swappc_b64 s[30:31], s[0:1]
	v_mov_b32_e32 v44, v0
.LBB19_42:
	s_or_b32 exec_lo, exec_lo, s37
	v_or_b32_e32 v0, 0x300, v46
	s_mov_b32 s37, exec_lo
	s_delay_alu instid0(VALU_DEP_1)
	v_cmpx_gt_i32_e64 s46, v0
	s_cbranch_execz .LBB19_47
; %bb.43:
	v_cmp_ne_u32_e32 vcc_lo, 1, v61
	s_cbranch_vccnz .LBB19_45
; %bb.44:
	v_dual_mov_b32 v0, v47 :: v_dual_mov_b32 v1, v56
	s_getpc_b64 s[0:1]
	s_add_u32 s0, s0, _ZN12_GLOBAL__N_111calc_igammaIfEET_S1_S1_@rel32@lo+4
	s_addc_u32 s1, s1, _ZN12_GLOBAL__N_111calc_igammaIfEET_S1_S1_@rel32@hi+12
	s_delay_alu instid0(SALU_CYCLE_1)
	s_swappc_b64 s[30:31], s[0:1]
	v_mov_b32_e32 v45, v0
	s_cbranch_execz .LBB19_46
	s_branch .LBB19_47
.LBB19_45:
.LBB19_46:
	v_dual_mov_b32 v0, v47 :: v_dual_mov_b32 v1, v56
	s_getpc_b64 s[0:1]
	s_add_u32 s0, s0, _ZN12_GLOBAL__N_112calc_igammacIfEET_S1_S1_@rel32@lo+4
	s_addc_u32 s1, s1, _ZN12_GLOBAL__N_112calc_igammacIfEET_S1_S1_@rel32@hi+12
	s_delay_alu instid0(SALU_CYCLE_1)
	s_swappc_b64 s[30:31], s[0:1]
	v_mov_b32_e32 v45, v0
.LBB19_47:
	s_or_b32 exec_lo, exec_lo, s37
	s_and_saveexec_b32 s0, s36
	s_delay_alu instid0(SALU_CYCLE_1)
	s_xor_b32 s0, exec_lo, s0
	s_cbranch_execz .LBB19_49
; %bb.48:
	v_dual_mov_b32 v63, 0 :: v_dual_mov_b32 v46, v66
	s_delay_alu instid0(VALU_DEP_1) | instskip(NEXT) | instid1(VALU_DEP_1)
	v_lshlrev_b64 v[0:1], 2, v[62:63]
	v_add_co_u32 v0, vcc_lo, s40, v0
	s_delay_alu instid0(VALU_DEP_2)
	v_add_co_ci_u32_e32 v1, vcc_lo, s41, v1, vcc_lo
	global_store_b32 v[0:1], v42, off
.LBB19_49:
	s_or_b32 exec_lo, exec_lo, s0
	s_delay_alu instid0(SALU_CYCLE_1)
	s_mov_b32 s0, exec_lo
	v_cmpx_gt_i32_e64 s46, v46
	s_cbranch_execnz .LBB19_53
; %bb.50:
	s_or_b32 exec_lo, exec_lo, s0
	s_delay_alu instid0(SALU_CYCLE_1)
	s_mov_b32 s0, exec_lo
	v_cmpx_gt_i32_e64 s46, v46
	s_cbranch_execnz .LBB19_54
.LBB19_51:
	s_or_b32 exec_lo, exec_lo, s0
	s_delay_alu instid0(SALU_CYCLE_1)
	s_mov_b32 s0, exec_lo
	v_cmpx_gt_i32_e64 s46, v46
	s_cbranch_execz .LBB19_55
.LBB19_52:
	v_dual_mov_b32 v1, 0 :: v_dual_add_nc_u32 v0, s38, v46
	s_delay_alu instid0(VALU_DEP_1) | instskip(NEXT) | instid1(VALU_DEP_1)
	v_lshlrev_b64 v[0:1], 2, v[0:1]
	v_add_co_u32 v0, vcc_lo, s40, v0
	s_delay_alu instid0(VALU_DEP_2)
	v_add_co_ci_u32_e32 v1, vcc_lo, s41, v1, vcc_lo
	global_store_b32 v[0:1], v45, off
	s_endpgm
.LBB19_53:
	v_dual_mov_b32 v1, 0 :: v_dual_add_nc_u32 v0, s38, v46
	v_add_nc_u32_e32 v46, 0x100, v46
	s_delay_alu instid0(VALU_DEP_2) | instskip(NEXT) | instid1(VALU_DEP_1)
	v_lshlrev_b64 v[0:1], 2, v[0:1]
	v_add_co_u32 v0, vcc_lo, s40, v0
	s_delay_alu instid0(VALU_DEP_2) | instskip(SKIP_2) | instid1(SALU_CYCLE_1)
	v_add_co_ci_u32_e32 v1, vcc_lo, s41, v1, vcc_lo
	global_store_b32 v[0:1], v43, off
	s_or_b32 exec_lo, exec_lo, s0
	s_mov_b32 s0, exec_lo
	v_cmpx_gt_i32_e64 s46, v46
	s_cbranch_execz .LBB19_51
.LBB19_54:
	v_dual_mov_b32 v1, 0 :: v_dual_add_nc_u32 v0, s38, v46
	v_add_nc_u32_e32 v46, 0x100, v46
	s_delay_alu instid0(VALU_DEP_2) | instskip(NEXT) | instid1(VALU_DEP_1)
	v_lshlrev_b64 v[0:1], 2, v[0:1]
	v_add_co_u32 v0, vcc_lo, s40, v0
	s_delay_alu instid0(VALU_DEP_2) | instskip(SKIP_2) | instid1(SALU_CYCLE_1)
	v_add_co_ci_u32_e32 v1, vcc_lo, s41, v1, vcc_lo
	global_store_b32 v[0:1], v44, off
	s_or_b32 exec_lo, exec_lo, s0
	s_mov_b32 s0, exec_lo
	v_cmpx_gt_i32_e64 s46, v46
	s_cbranch_execnz .LBB19_52
.LBB19_55:
	s_endpgm
	.section	.rodata,"a",@progbits
	.p2align	6, 0x0
	.amdhsa_kernel _ZN2at6native29vectorized_elementwise_kernelILi8EN12_GLOBAL__N_110CalcIgammaIfEESt5arrayIPcLm3EEEEviT0_T1_
		.amdhsa_group_segment_fixed_size 0
		.amdhsa_private_segment_fixed_size 144
		.amdhsa_kernarg_size 32
		.amdhsa_user_sgpr_count 15
		.amdhsa_user_sgpr_dispatch_ptr 0
		.amdhsa_user_sgpr_queue_ptr 0
		.amdhsa_user_sgpr_kernarg_segment_ptr 1
		.amdhsa_user_sgpr_dispatch_id 0
		.amdhsa_user_sgpr_private_segment_size 0
		.amdhsa_wavefront_size32 1
		.amdhsa_uses_dynamic_stack 0
		.amdhsa_enable_private_segment 1
		.amdhsa_system_sgpr_workgroup_id_x 1
		.amdhsa_system_sgpr_workgroup_id_y 0
		.amdhsa_system_sgpr_workgroup_id_z 0
		.amdhsa_system_sgpr_workgroup_info 0
		.amdhsa_system_vgpr_workitem_id 0
		.amdhsa_next_free_vgpr 67
		.amdhsa_next_free_sgpr 48
		.amdhsa_reserve_vcc 1
		.amdhsa_float_round_mode_32 0
		.amdhsa_float_round_mode_16_64 0
		.amdhsa_float_denorm_mode_32 3
		.amdhsa_float_denorm_mode_16_64 3
		.amdhsa_dx10_clamp 1
		.amdhsa_ieee_mode 1
		.amdhsa_fp16_overflow 0
		.amdhsa_workgroup_processor_mode 1
		.amdhsa_memory_ordered 1
		.amdhsa_forward_progress 0
		.amdhsa_shared_vgpr_count 0
		.amdhsa_exception_fp_ieee_invalid_op 0
		.amdhsa_exception_fp_denorm_src 0
		.amdhsa_exception_fp_ieee_div_zero 0
		.amdhsa_exception_fp_ieee_overflow 0
		.amdhsa_exception_fp_ieee_underflow 0
		.amdhsa_exception_fp_ieee_inexact 0
		.amdhsa_exception_int_div_zero 0
	.end_amdhsa_kernel
	.section	.text._ZN2at6native29vectorized_elementwise_kernelILi8EN12_GLOBAL__N_110CalcIgammaIfEESt5arrayIPcLm3EEEEviT0_T1_,"axG",@progbits,_ZN2at6native29vectorized_elementwise_kernelILi8EN12_GLOBAL__N_110CalcIgammaIfEESt5arrayIPcLm3EEEEviT0_T1_,comdat
.Lfunc_end19:
	.size	_ZN2at6native29vectorized_elementwise_kernelILi8EN12_GLOBAL__N_110CalcIgammaIfEESt5arrayIPcLm3EEEEviT0_T1_, .Lfunc_end19-_ZN2at6native29vectorized_elementwise_kernelILi8EN12_GLOBAL__N_110CalcIgammaIfEESt5arrayIPcLm3EEEEviT0_T1_
                                        ; -- End function
	.section	.AMDGPU.csdata,"",@progbits
; Kernel info:
; codeLenInByte = 1808
; NumSgprs: 50
; NumVgprs: 67
; ScratchSize: 144
; MemoryBound: 1
; FloatMode: 240
; IeeeMode: 1
; LDSByteSize: 0 bytes/workgroup (compile time only)
; SGPRBlocks: 6
; VGPRBlocks: 8
; NumSGPRsForWavesPerEU: 50
; NumVGPRsForWavesPerEU: 67
; Occupancy: 16
; WaveLimiterHint : 0
; COMPUTE_PGM_RSRC2:SCRATCH_EN: 1
; COMPUTE_PGM_RSRC2:USER_SGPR: 15
; COMPUTE_PGM_RSRC2:TRAP_HANDLER: 0
; COMPUTE_PGM_RSRC2:TGID_X_EN: 1
; COMPUTE_PGM_RSRC2:TGID_Y_EN: 0
; COMPUTE_PGM_RSRC2:TGID_Z_EN: 0
; COMPUTE_PGM_RSRC2:TIDIG_COMP_CNT: 0
	.section	.text._ZN2at6native29vectorized_elementwise_kernelILi4EN12_GLOBAL__N_110CalcIgammaIfEESt5arrayIPcLm3EEEEviT0_T1_,"axG",@progbits,_ZN2at6native29vectorized_elementwise_kernelILi4EN12_GLOBAL__N_110CalcIgammaIfEESt5arrayIPcLm3EEEEviT0_T1_,comdat
	.globl	_ZN2at6native29vectorized_elementwise_kernelILi4EN12_GLOBAL__N_110CalcIgammaIfEESt5arrayIPcLm3EEEEviT0_T1_ ; -- Begin function _ZN2at6native29vectorized_elementwise_kernelILi4EN12_GLOBAL__N_110CalcIgammaIfEESt5arrayIPcLm3EEEEviT0_T1_
	.p2align	8
	.type	_ZN2at6native29vectorized_elementwise_kernelILi4EN12_GLOBAL__N_110CalcIgammaIfEESt5arrayIPcLm3EEEEviT0_T1_,@function
_ZN2at6native29vectorized_elementwise_kernelILi4EN12_GLOBAL__N_110CalcIgammaIfEESt5arrayIPcLm3EEEEviT0_T1_: ; @_ZN2at6native29vectorized_elementwise_kernelILi4EN12_GLOBAL__N_110CalcIgammaIfEESt5arrayIPcLm3EEEEviT0_T1_
; %bb.0:
	s_clause 0x2
	s_load_b64 s[2:3], s[0:1], 0x0
	s_load_b128 s[40:43], s[0:1], 0x8
	s_load_b64 s[44:45], s[0:1], 0x18
	v_mov_b32_e32 v46, v0
	s_mov_b32 s32, 0
	s_waitcnt lgkmcnt(0)
	s_bitcmp1_b32 s3, 0
	s_cselect_b32 s0, -1, 0
	s_lshl_b32 s38, s15, 10
	s_xor_b32 s47, s0, -1
	s_sub_i32 s46, s2, s38
	s_mov_b32 s0, -1
	s_cmpk_gt_i32 s46, 0x3ff
	s_cbranch_scc0 .LBB20_18
; %bb.1:
	s_ashr_i32 s39, s38, 31
	v_lshlrev_b32_e32 v47, 4, v46
	s_lshl_b64 s[36:37], s[38:39], 2
	s_delay_alu instid0(SALU_CYCLE_1)
	s_add_u32 s0, s42, s36
	s_addc_u32 s1, s43, s37
	s_add_u32 s2, s44, s36
	s_addc_u32 s3, s45, s37
	s_clause 0x1
	global_load_b128 v[42:45], v47, s[0:1]
	global_load_b128 v[56:59], v47, s[2:3]
	s_and_b32 vcc_lo, exec_lo, s47
	s_cbranch_vccz .LBB20_3
; %bb.2:
	s_waitcnt vmcnt(0)
	v_dual_mov_b32 v0, v42 :: v_dual_mov_b32 v1, v56
	s_getpc_b64 s[0:1]
	s_add_u32 s0, s0, _ZN12_GLOBAL__N_111calc_igammaIfEET_S1_S1_@rel32@lo+4
	s_addc_u32 s1, s1, _ZN12_GLOBAL__N_111calc_igammaIfEET_S1_S1_@rel32@hi+12
	s_delay_alu instid0(SALU_CYCLE_1)
	s_swappc_b64 s[30:31], s[0:1]
	v_mov_b32_e32 v60, v0
	s_cbranch_execz .LBB20_4
	s_branch .LBB20_5
.LBB20_3:
                                        ; implicit-def: $vgpr60
.LBB20_4:
	s_waitcnt vmcnt(0)
	v_dual_mov_b32 v0, v42 :: v_dual_mov_b32 v1, v56
	s_getpc_b64 s[0:1]
	s_add_u32 s0, s0, _ZN12_GLOBAL__N_112calc_igammacIfEET_S1_S1_@rel32@lo+4
	s_addc_u32 s1, s1, _ZN12_GLOBAL__N_112calc_igammacIfEET_S1_S1_@rel32@hi+12
	s_delay_alu instid0(SALU_CYCLE_1)
	s_swappc_b64 s[30:31], s[0:1]
	v_mov_b32_e32 v60, v0
.LBB20_5:
	s_and_not1_b32 vcc_lo, exec_lo, s47
	s_cbranch_vccnz .LBB20_7
; %bb.6:
	s_waitcnt vmcnt(0)
	v_dual_mov_b32 v0, v43 :: v_dual_mov_b32 v1, v57
	s_getpc_b64 s[0:1]
	s_add_u32 s0, s0, _ZN12_GLOBAL__N_111calc_igammaIfEET_S1_S1_@rel32@lo+4
	s_addc_u32 s1, s1, _ZN12_GLOBAL__N_111calc_igammaIfEET_S1_S1_@rel32@hi+12
	s_delay_alu instid0(SALU_CYCLE_1)
	s_swappc_b64 s[30:31], s[0:1]
	v_mov_b32_e32 v61, v0
	s_cbranch_execz .LBB20_8
	s_branch .LBB20_9
.LBB20_7:
.LBB20_8:
	s_waitcnt vmcnt(0)
	v_dual_mov_b32 v0, v43 :: v_dual_mov_b32 v1, v57
	s_getpc_b64 s[0:1]
	s_add_u32 s0, s0, _ZN12_GLOBAL__N_112calc_igammacIfEET_S1_S1_@rel32@lo+4
	s_addc_u32 s1, s1, _ZN12_GLOBAL__N_112calc_igammacIfEET_S1_S1_@rel32@hi+12
	s_delay_alu instid0(SALU_CYCLE_1)
	s_swappc_b64 s[30:31], s[0:1]
	v_mov_b32_e32 v61, v0
.LBB20_9:
	s_and_not1_b32 vcc_lo, exec_lo, s47
	s_cbranch_vccnz .LBB20_11
; %bb.10:
	s_waitcnt vmcnt(0)
	v_dual_mov_b32 v0, v44 :: v_dual_mov_b32 v1, v58
	s_getpc_b64 s[0:1]
	s_add_u32 s0, s0, _ZN12_GLOBAL__N_111calc_igammaIfEET_S1_S1_@rel32@lo+4
	s_addc_u32 s1, s1, _ZN12_GLOBAL__N_111calc_igammaIfEET_S1_S1_@rel32@hi+12
	s_delay_alu instid0(SALU_CYCLE_1)
	s_swappc_b64 s[30:31], s[0:1]
	v_mov_b32_e32 v62, v0
	s_cbranch_execz .LBB20_12
	s_branch .LBB20_13
.LBB20_11:
.LBB20_12:
	s_waitcnt vmcnt(0)
	v_dual_mov_b32 v0, v44 :: v_dual_mov_b32 v1, v58
	s_getpc_b64 s[0:1]
	s_add_u32 s0, s0, _ZN12_GLOBAL__N_112calc_igammacIfEET_S1_S1_@rel32@lo+4
	s_addc_u32 s1, s1, _ZN12_GLOBAL__N_112calc_igammacIfEET_S1_S1_@rel32@hi+12
	s_delay_alu instid0(SALU_CYCLE_1)
	s_swappc_b64 s[30:31], s[0:1]
	v_mov_b32_e32 v62, v0
.LBB20_13:
	;; [unrolled: 24-line block ×3, first 2 shown]
	s_add_u32 s2, s40, s36
	s_addc_u32 s3, s41, s37
	s_mov_b32 s0, 0
	global_store_b128 v47, v[60:63], s[2:3]
.LBB20_18:
	s_and_b32 vcc_lo, exec_lo, s0
	s_cbranch_vccz .LBB20_55
; %bb.19:
	v_cmp_gt_i32_e64 s36, s46, v46
	s_waitcnt vmcnt(0)
	v_dual_mov_b32 v57, 0 :: v_dual_mov_b32 v40, 0
	v_or_b32_e32 v62, s38, v46
	v_or_b32_e32 v66, 0x100, v46
	v_dual_mov_b32 v61, 0 :: v_dual_mov_b32 v0, v46
	s_and_saveexec_b32 s0, s36
	s_cbranch_execz .LBB20_21
; %bb.20:
	v_mov_b32_e32 v63, 0
	s_delay_alu instid0(VALU_DEP_1) | instskip(NEXT) | instid1(VALU_DEP_1)
	v_lshlrev_b64 v[0:1], 2, v[62:63]
	v_add_co_u32 v2, vcc_lo, s42, v0
	s_delay_alu instid0(VALU_DEP_2)
	v_add_co_ci_u32_e32 v3, vcc_lo, s43, v1, vcc_lo
	v_add_co_u32 v0, vcc_lo, s44, v0
	v_add_co_ci_u32_e32 v1, vcc_lo, s45, v1, vcc_lo
	global_load_b32 v40, v[2:3], off
	global_load_b32 v61, v[0:1], off
	v_or_b32_e32 v0, 0x100, v46
.LBB20_21:
	s_or_b32 exec_lo, exec_lo, s0
	v_mov_b32_e32 v60, 0
	s_mov_b32 s0, exec_lo
	s_delay_alu instid0(VALU_DEP_2)
	v_cmpx_gt_i32_e64 s46, v0
	s_cbranch_execz .LBB20_23
; %bb.22:
	v_dual_mov_b32 v2, 0 :: v_dual_add_nc_u32 v1, s38, v0
	v_add_nc_u32_e32 v0, 0x100, v0
	s_delay_alu instid0(VALU_DEP_2) | instskip(NEXT) | instid1(VALU_DEP_1)
	v_lshlrev_b64 v[1:2], 2, v[1:2]
	v_add_co_u32 v3, vcc_lo, s42, v1
	s_delay_alu instid0(VALU_DEP_2)
	v_add_co_ci_u32_e32 v4, vcc_lo, s43, v2, vcc_lo
	v_add_co_u32 v1, vcc_lo, s44, v1
	v_add_co_ci_u32_e32 v2, vcc_lo, s45, v2, vcc_lo
	global_load_b32 v57, v[3:4], off
	global_load_b32 v60, v[1:2], off
.LBB20_23:
	s_or_b32 exec_lo, exec_lo, s0
	v_dual_mov_b32 v47, 0 :: v_dual_mov_b32 v58, 0
	v_mov_b32_e32 v59, 0
	s_mov_b32 s0, exec_lo
	v_cmpx_gt_i32_e64 s46, v0
	s_cbranch_execz .LBB20_25
; %bb.24:
	v_dual_mov_b32 v2, 0 :: v_dual_add_nc_u32 v1, s38, v0
	v_add_nc_u32_e32 v0, 0x100, v0
	s_delay_alu instid0(VALU_DEP_2) | instskip(NEXT) | instid1(VALU_DEP_1)
	v_lshlrev_b64 v[1:2], 2, v[1:2]
	v_add_co_u32 v3, vcc_lo, s42, v1
	s_delay_alu instid0(VALU_DEP_2)
	v_add_co_ci_u32_e32 v4, vcc_lo, s43, v2, vcc_lo
	v_add_co_u32 v1, vcc_lo, s44, v1
	v_add_co_ci_u32_e32 v2, vcc_lo, s45, v2, vcc_lo
	global_load_b32 v58, v[3:4], off
	global_load_b32 v59, v[1:2], off
.LBB20_25:
	s_or_b32 exec_lo, exec_lo, s0
	v_mov_b32_e32 v56, 0
	s_mov_b32 s0, exec_lo
	v_cmpx_gt_i32_e64 s46, v0
	s_cbranch_execz .LBB20_27
; %bb.26:
	v_dual_mov_b32 v1, 0 :: v_dual_add_nc_u32 v0, s38, v0
	s_delay_alu instid0(VALU_DEP_1) | instskip(NEXT) | instid1(VALU_DEP_1)
	v_lshlrev_b64 v[0:1], 2, v[0:1]
	v_add_co_u32 v2, vcc_lo, s42, v0
	s_delay_alu instid0(VALU_DEP_2)
	v_add_co_ci_u32_e32 v3, vcc_lo, s43, v1, vcc_lo
	v_add_co_u32 v0, vcc_lo, s44, v0
	v_add_co_ci_u32_e32 v1, vcc_lo, s45, v1, vcc_lo
	global_load_b32 v47, v[2:3], off
	global_load_b32 v56, v[0:1], off
.LBB20_27:
	s_or_b32 exec_lo, exec_lo, s0
                                        ; implicit-def: $vgpr42_vgpr43_vgpr44_vgpr45
	s_and_saveexec_b32 s37, s36
	s_cbranch_execz .LBB20_32
; %bb.28:
	s_and_b32 vcc_lo, exec_lo, s47
	s_cbranch_vccz .LBB20_30
; %bb.29:
	s_waitcnt vmcnt(0)
	v_dual_mov_b32 v0, v40 :: v_dual_mov_b32 v1, v61
	s_getpc_b64 s[0:1]
	s_add_u32 s0, s0, _ZN12_GLOBAL__N_111calc_igammaIfEET_S1_S1_@rel32@lo+4
	s_addc_u32 s1, s1, _ZN12_GLOBAL__N_111calc_igammaIfEET_S1_S1_@rel32@hi+12
	s_delay_alu instid0(SALU_CYCLE_1)
	s_swappc_b64 s[30:31], s[0:1]
	v_mov_b32_e32 v42, v0
	s_cbranch_execz .LBB20_31
	s_branch .LBB20_32
.LBB20_30:
                                        ; implicit-def: $vgpr42
.LBB20_31:
	s_waitcnt vmcnt(0)
	v_dual_mov_b32 v0, v40 :: v_dual_mov_b32 v1, v61
	s_getpc_b64 s[0:1]
	s_add_u32 s0, s0, _ZN12_GLOBAL__N_112calc_igammacIfEET_S1_S1_@rel32@lo+4
	s_addc_u32 s1, s1, _ZN12_GLOBAL__N_112calc_igammacIfEET_S1_S1_@rel32@hi+12
	s_delay_alu instid0(SALU_CYCLE_1)
	s_swappc_b64 s[30:31], s[0:1]
	v_mov_b32_e32 v42, v0
.LBB20_32:
	s_or_b32 exec_lo, exec_lo, s37
	s_waitcnt vmcnt(0)
	v_cndmask_b32_e64 v61, 0, 1, s47
	s_mov_b32 s37, exec_lo
	v_cmpx_gt_i32_e64 s46, v66
	s_cbranch_execz .LBB20_37
; %bb.33:
	s_and_not1_b32 vcc_lo, exec_lo, s47
	s_cbranch_vccnz .LBB20_35
; %bb.34:
	v_dual_mov_b32 v0, v57 :: v_dual_mov_b32 v1, v60
	s_getpc_b64 s[0:1]
	s_add_u32 s0, s0, _ZN12_GLOBAL__N_111calc_igammaIfEET_S1_S1_@rel32@lo+4
	s_addc_u32 s1, s1, _ZN12_GLOBAL__N_111calc_igammaIfEET_S1_S1_@rel32@hi+12
	s_delay_alu instid0(SALU_CYCLE_1)
	s_swappc_b64 s[30:31], s[0:1]
	v_mov_b32_e32 v43, v0
	s_cbranch_execz .LBB20_36
	s_branch .LBB20_37
.LBB20_35:
.LBB20_36:
	v_dual_mov_b32 v0, v57 :: v_dual_mov_b32 v1, v60
	s_getpc_b64 s[0:1]
	s_add_u32 s0, s0, _ZN12_GLOBAL__N_112calc_igammacIfEET_S1_S1_@rel32@lo+4
	s_addc_u32 s1, s1, _ZN12_GLOBAL__N_112calc_igammacIfEET_S1_S1_@rel32@hi+12
	s_delay_alu instid0(SALU_CYCLE_1)
	s_swappc_b64 s[30:31], s[0:1]
	v_mov_b32_e32 v43, v0
.LBB20_37:
	s_or_b32 exec_lo, exec_lo, s37
	v_or_b32_e32 v0, 0x200, v46
	s_mov_b32 s37, exec_lo
	s_delay_alu instid0(VALU_DEP_1)
	v_cmpx_gt_i32_e64 s46, v0
	s_cbranch_execz .LBB20_42
; %bb.38:
	v_cmp_ne_u32_e32 vcc_lo, 1, v61
	s_cbranch_vccnz .LBB20_40
; %bb.39:
	v_dual_mov_b32 v0, v58 :: v_dual_mov_b32 v1, v59
	s_getpc_b64 s[0:1]
	s_add_u32 s0, s0, _ZN12_GLOBAL__N_111calc_igammaIfEET_S1_S1_@rel32@lo+4
	s_addc_u32 s1, s1, _ZN12_GLOBAL__N_111calc_igammaIfEET_S1_S1_@rel32@hi+12
	s_delay_alu instid0(SALU_CYCLE_1)
	s_swappc_b64 s[30:31], s[0:1]
	v_mov_b32_e32 v44, v0
	s_cbranch_execz .LBB20_41
	s_branch .LBB20_42
.LBB20_40:
.LBB20_41:
	v_dual_mov_b32 v0, v58 :: v_dual_mov_b32 v1, v59
	s_getpc_b64 s[0:1]
	s_add_u32 s0, s0, _ZN12_GLOBAL__N_112calc_igammacIfEET_S1_S1_@rel32@lo+4
	s_addc_u32 s1, s1, _ZN12_GLOBAL__N_112calc_igammacIfEET_S1_S1_@rel32@hi+12
	s_delay_alu instid0(SALU_CYCLE_1)
	s_swappc_b64 s[30:31], s[0:1]
	v_mov_b32_e32 v44, v0
.LBB20_42:
	s_or_b32 exec_lo, exec_lo, s37
	v_or_b32_e32 v0, 0x300, v46
	s_mov_b32 s37, exec_lo
	s_delay_alu instid0(VALU_DEP_1)
	v_cmpx_gt_i32_e64 s46, v0
	s_cbranch_execz .LBB20_47
; %bb.43:
	v_cmp_ne_u32_e32 vcc_lo, 1, v61
	s_cbranch_vccnz .LBB20_45
; %bb.44:
	v_dual_mov_b32 v0, v47 :: v_dual_mov_b32 v1, v56
	s_getpc_b64 s[0:1]
	s_add_u32 s0, s0, _ZN12_GLOBAL__N_111calc_igammaIfEET_S1_S1_@rel32@lo+4
	s_addc_u32 s1, s1, _ZN12_GLOBAL__N_111calc_igammaIfEET_S1_S1_@rel32@hi+12
	s_delay_alu instid0(SALU_CYCLE_1)
	s_swappc_b64 s[30:31], s[0:1]
	v_mov_b32_e32 v45, v0
	s_cbranch_execz .LBB20_46
	s_branch .LBB20_47
.LBB20_45:
.LBB20_46:
	v_dual_mov_b32 v0, v47 :: v_dual_mov_b32 v1, v56
	s_getpc_b64 s[0:1]
	s_add_u32 s0, s0, _ZN12_GLOBAL__N_112calc_igammacIfEET_S1_S1_@rel32@lo+4
	s_addc_u32 s1, s1, _ZN12_GLOBAL__N_112calc_igammacIfEET_S1_S1_@rel32@hi+12
	s_delay_alu instid0(SALU_CYCLE_1)
	s_swappc_b64 s[30:31], s[0:1]
	v_mov_b32_e32 v45, v0
.LBB20_47:
	s_or_b32 exec_lo, exec_lo, s37
	s_and_saveexec_b32 s0, s36
	s_delay_alu instid0(SALU_CYCLE_1)
	s_xor_b32 s0, exec_lo, s0
	s_cbranch_execz .LBB20_49
; %bb.48:
	v_dual_mov_b32 v63, 0 :: v_dual_mov_b32 v46, v66
	s_delay_alu instid0(VALU_DEP_1) | instskip(NEXT) | instid1(VALU_DEP_1)
	v_lshlrev_b64 v[0:1], 2, v[62:63]
	v_add_co_u32 v0, vcc_lo, s40, v0
	s_delay_alu instid0(VALU_DEP_2)
	v_add_co_ci_u32_e32 v1, vcc_lo, s41, v1, vcc_lo
	global_store_b32 v[0:1], v42, off
.LBB20_49:
	s_or_b32 exec_lo, exec_lo, s0
	s_delay_alu instid0(SALU_CYCLE_1)
	s_mov_b32 s0, exec_lo
	v_cmpx_gt_i32_e64 s46, v46
	s_cbranch_execnz .LBB20_53
; %bb.50:
	s_or_b32 exec_lo, exec_lo, s0
	s_delay_alu instid0(SALU_CYCLE_1)
	s_mov_b32 s0, exec_lo
	v_cmpx_gt_i32_e64 s46, v46
	s_cbranch_execnz .LBB20_54
.LBB20_51:
	s_or_b32 exec_lo, exec_lo, s0
	s_delay_alu instid0(SALU_CYCLE_1)
	s_mov_b32 s0, exec_lo
	v_cmpx_gt_i32_e64 s46, v46
	s_cbranch_execz .LBB20_55
.LBB20_52:
	v_dual_mov_b32 v1, 0 :: v_dual_add_nc_u32 v0, s38, v46
	s_delay_alu instid0(VALU_DEP_1) | instskip(NEXT) | instid1(VALU_DEP_1)
	v_lshlrev_b64 v[0:1], 2, v[0:1]
	v_add_co_u32 v0, vcc_lo, s40, v0
	s_delay_alu instid0(VALU_DEP_2)
	v_add_co_ci_u32_e32 v1, vcc_lo, s41, v1, vcc_lo
	global_store_b32 v[0:1], v45, off
	s_endpgm
.LBB20_53:
	v_dual_mov_b32 v1, 0 :: v_dual_add_nc_u32 v0, s38, v46
	v_add_nc_u32_e32 v46, 0x100, v46
	s_delay_alu instid0(VALU_DEP_2) | instskip(NEXT) | instid1(VALU_DEP_1)
	v_lshlrev_b64 v[0:1], 2, v[0:1]
	v_add_co_u32 v0, vcc_lo, s40, v0
	s_delay_alu instid0(VALU_DEP_2) | instskip(SKIP_2) | instid1(SALU_CYCLE_1)
	v_add_co_ci_u32_e32 v1, vcc_lo, s41, v1, vcc_lo
	global_store_b32 v[0:1], v43, off
	s_or_b32 exec_lo, exec_lo, s0
	s_mov_b32 s0, exec_lo
	v_cmpx_gt_i32_e64 s46, v46
	s_cbranch_execz .LBB20_51
.LBB20_54:
	v_dual_mov_b32 v1, 0 :: v_dual_add_nc_u32 v0, s38, v46
	v_add_nc_u32_e32 v46, 0x100, v46
	s_delay_alu instid0(VALU_DEP_2) | instskip(NEXT) | instid1(VALU_DEP_1)
	v_lshlrev_b64 v[0:1], 2, v[0:1]
	v_add_co_u32 v0, vcc_lo, s40, v0
	s_delay_alu instid0(VALU_DEP_2) | instskip(SKIP_2) | instid1(SALU_CYCLE_1)
	v_add_co_ci_u32_e32 v1, vcc_lo, s41, v1, vcc_lo
	global_store_b32 v[0:1], v44, off
	s_or_b32 exec_lo, exec_lo, s0
	s_mov_b32 s0, exec_lo
	v_cmpx_gt_i32_e64 s46, v46
	s_cbranch_execnz .LBB20_52
.LBB20_55:
	s_endpgm
	.section	.rodata,"a",@progbits
	.p2align	6, 0x0
	.amdhsa_kernel _ZN2at6native29vectorized_elementwise_kernelILi4EN12_GLOBAL__N_110CalcIgammaIfEESt5arrayIPcLm3EEEEviT0_T1_
		.amdhsa_group_segment_fixed_size 0
		.amdhsa_private_segment_fixed_size 144
		.amdhsa_kernarg_size 32
		.amdhsa_user_sgpr_count 15
		.amdhsa_user_sgpr_dispatch_ptr 0
		.amdhsa_user_sgpr_queue_ptr 0
		.amdhsa_user_sgpr_kernarg_segment_ptr 1
		.amdhsa_user_sgpr_dispatch_id 0
		.amdhsa_user_sgpr_private_segment_size 0
		.amdhsa_wavefront_size32 1
		.amdhsa_uses_dynamic_stack 0
		.amdhsa_enable_private_segment 1
		.amdhsa_system_sgpr_workgroup_id_x 1
		.amdhsa_system_sgpr_workgroup_id_y 0
		.amdhsa_system_sgpr_workgroup_id_z 0
		.amdhsa_system_sgpr_workgroup_info 0
		.amdhsa_system_vgpr_workitem_id 0
		.amdhsa_next_free_vgpr 67
		.amdhsa_next_free_sgpr 48
		.amdhsa_reserve_vcc 1
		.amdhsa_float_round_mode_32 0
		.amdhsa_float_round_mode_16_64 0
		.amdhsa_float_denorm_mode_32 3
		.amdhsa_float_denorm_mode_16_64 3
		.amdhsa_dx10_clamp 1
		.amdhsa_ieee_mode 1
		.amdhsa_fp16_overflow 0
		.amdhsa_workgroup_processor_mode 1
		.amdhsa_memory_ordered 1
		.amdhsa_forward_progress 0
		.amdhsa_shared_vgpr_count 0
		.amdhsa_exception_fp_ieee_invalid_op 0
		.amdhsa_exception_fp_denorm_src 0
		.amdhsa_exception_fp_ieee_div_zero 0
		.amdhsa_exception_fp_ieee_overflow 0
		.amdhsa_exception_fp_ieee_underflow 0
		.amdhsa_exception_fp_ieee_inexact 0
		.amdhsa_exception_int_div_zero 0
	.end_amdhsa_kernel
	.section	.text._ZN2at6native29vectorized_elementwise_kernelILi4EN12_GLOBAL__N_110CalcIgammaIfEESt5arrayIPcLm3EEEEviT0_T1_,"axG",@progbits,_ZN2at6native29vectorized_elementwise_kernelILi4EN12_GLOBAL__N_110CalcIgammaIfEESt5arrayIPcLm3EEEEviT0_T1_,comdat
.Lfunc_end20:
	.size	_ZN2at6native29vectorized_elementwise_kernelILi4EN12_GLOBAL__N_110CalcIgammaIfEESt5arrayIPcLm3EEEEviT0_T1_, .Lfunc_end20-_ZN2at6native29vectorized_elementwise_kernelILi4EN12_GLOBAL__N_110CalcIgammaIfEESt5arrayIPcLm3EEEEviT0_T1_
                                        ; -- End function
	.section	.AMDGPU.csdata,"",@progbits
; Kernel info:
; codeLenInByte = 1808
; NumSgprs: 50
; NumVgprs: 67
; ScratchSize: 144
; MemoryBound: 1
; FloatMode: 240
; IeeeMode: 1
; LDSByteSize: 0 bytes/workgroup (compile time only)
; SGPRBlocks: 6
; VGPRBlocks: 8
; NumSGPRsForWavesPerEU: 50
; NumVGPRsForWavesPerEU: 67
; Occupancy: 16
; WaveLimiterHint : 0
; COMPUTE_PGM_RSRC2:SCRATCH_EN: 1
; COMPUTE_PGM_RSRC2:USER_SGPR: 15
; COMPUTE_PGM_RSRC2:TRAP_HANDLER: 0
; COMPUTE_PGM_RSRC2:TGID_X_EN: 1
; COMPUTE_PGM_RSRC2:TGID_Y_EN: 0
; COMPUTE_PGM_RSRC2:TGID_Z_EN: 0
; COMPUTE_PGM_RSRC2:TIDIG_COMP_CNT: 0
	.section	.text._ZN2at6native29vectorized_elementwise_kernelILi2EN12_GLOBAL__N_110CalcIgammaIfEESt5arrayIPcLm3EEEEviT0_T1_,"axG",@progbits,_ZN2at6native29vectorized_elementwise_kernelILi2EN12_GLOBAL__N_110CalcIgammaIfEESt5arrayIPcLm3EEEEviT0_T1_,comdat
	.globl	_ZN2at6native29vectorized_elementwise_kernelILi2EN12_GLOBAL__N_110CalcIgammaIfEESt5arrayIPcLm3EEEEviT0_T1_ ; -- Begin function _ZN2at6native29vectorized_elementwise_kernelILi2EN12_GLOBAL__N_110CalcIgammaIfEESt5arrayIPcLm3EEEEviT0_T1_
	.p2align	8
	.type	_ZN2at6native29vectorized_elementwise_kernelILi2EN12_GLOBAL__N_110CalcIgammaIfEESt5arrayIPcLm3EEEEviT0_T1_,@function
_ZN2at6native29vectorized_elementwise_kernelILi2EN12_GLOBAL__N_110CalcIgammaIfEESt5arrayIPcLm3EEEEviT0_T1_: ; @_ZN2at6native29vectorized_elementwise_kernelILi2EN12_GLOBAL__N_110CalcIgammaIfEESt5arrayIPcLm3EEEEviT0_T1_
; %bb.0:
	s_clause 0x2
	s_load_b64 s[2:3], s[0:1], 0x0
	s_load_b128 s[40:43], s[0:1], 0x8
	s_load_b64 s[44:45], s[0:1], 0x18
	v_mov_b32_e32 v60, v0
	s_mov_b32 s32, 0
	s_waitcnt lgkmcnt(0)
	s_bitcmp1_b32 s3, 0
	s_cselect_b32 s0, -1, 0
	s_lshl_b32 s38, s15, 10
	s_xor_b32 s47, s0, -1
	s_sub_i32 s46, s2, s38
	s_mov_b32 s0, -1
	s_cmpk_gt_i32 s46, 0x3ff
	s_cbranch_scc0 .LBB21_18
; %bb.1:
	s_ashr_i32 s39, s38, 31
	v_lshlrev_b32_e32 v61, 3, v60
	s_lshl_b64 s[36:37], s[38:39], 2
	s_delay_alu instid0(SALU_CYCLE_1)
	s_add_u32 s0, s42, s36
	s_addc_u32 s1, s43, s37
	s_add_u32 s2, s44, s36
	s_addc_u32 s3, s45, s37
	s_clause 0x3
	global_load_b64 v[56:57], v61, s[0:1]
	global_load_b64 v[42:43], v61, s[0:1] offset:2048
	global_load_b64 v[58:59], v61, s[2:3]
	global_load_b64 v[46:47], v61, s[2:3] offset:2048
	s_and_b32 vcc_lo, exec_lo, s47
	s_cbranch_vccz .LBB21_3
; %bb.2:
	s_waitcnt vmcnt(1)
	v_dual_mov_b32 v0, v56 :: v_dual_mov_b32 v1, v58
	s_getpc_b64 s[0:1]
	s_add_u32 s0, s0, _ZN12_GLOBAL__N_111calc_igammaIfEET_S1_S1_@rel32@lo+4
	s_addc_u32 s1, s1, _ZN12_GLOBAL__N_111calc_igammaIfEET_S1_S1_@rel32@hi+12
	s_delay_alu instid0(SALU_CYCLE_1)
	s_swappc_b64 s[30:31], s[0:1]
	v_mov_b32_e32 v44, v0
	s_cbranch_execz .LBB21_4
	s_branch .LBB21_5
.LBB21_3:
                                        ; implicit-def: $vgpr44
.LBB21_4:
	s_waitcnt vmcnt(1)
	v_dual_mov_b32 v0, v56 :: v_dual_mov_b32 v1, v58
	s_getpc_b64 s[0:1]
	s_add_u32 s0, s0, _ZN12_GLOBAL__N_112calc_igammacIfEET_S1_S1_@rel32@lo+4
	s_addc_u32 s1, s1, _ZN12_GLOBAL__N_112calc_igammacIfEET_S1_S1_@rel32@hi+12
	s_delay_alu instid0(SALU_CYCLE_1)
	s_swappc_b64 s[30:31], s[0:1]
	v_mov_b32_e32 v44, v0
.LBB21_5:
	s_and_not1_b32 vcc_lo, exec_lo, s47
	s_cbranch_vccnz .LBB21_7
; %bb.6:
	s_waitcnt vmcnt(1)
	v_dual_mov_b32 v0, v57 :: v_dual_mov_b32 v1, v59
	s_getpc_b64 s[0:1]
	s_add_u32 s0, s0, _ZN12_GLOBAL__N_111calc_igammaIfEET_S1_S1_@rel32@lo+4
	s_addc_u32 s1, s1, _ZN12_GLOBAL__N_111calc_igammaIfEET_S1_S1_@rel32@hi+12
	s_delay_alu instid0(SALU_CYCLE_1)
	s_swappc_b64 s[30:31], s[0:1]
	v_mov_b32_e32 v45, v0
	s_cbranch_execz .LBB21_8
	s_branch .LBB21_9
.LBB21_7:
.LBB21_8:
	s_waitcnt vmcnt(1)
	v_dual_mov_b32 v0, v57 :: v_dual_mov_b32 v1, v59
	s_getpc_b64 s[0:1]
	s_add_u32 s0, s0, _ZN12_GLOBAL__N_112calc_igammacIfEET_S1_S1_@rel32@lo+4
	s_addc_u32 s1, s1, _ZN12_GLOBAL__N_112calc_igammacIfEET_S1_S1_@rel32@hi+12
	s_delay_alu instid0(SALU_CYCLE_1)
	s_swappc_b64 s[30:31], s[0:1]
	v_mov_b32_e32 v45, v0
.LBB21_9:
	s_and_not1_b32 vcc_lo, exec_lo, s47
	s_cbranch_vccnz .LBB21_11
; %bb.10:
	s_waitcnt vmcnt(2)
	v_mov_b32_e32 v0, v42
	s_waitcnt vmcnt(0)
	v_mov_b32_e32 v1, v46
	s_getpc_b64 s[0:1]
	s_add_u32 s0, s0, _ZN12_GLOBAL__N_111calc_igammaIfEET_S1_S1_@rel32@lo+4
	s_addc_u32 s1, s1, _ZN12_GLOBAL__N_111calc_igammaIfEET_S1_S1_@rel32@hi+12
	s_delay_alu instid0(SALU_CYCLE_1)
	s_swappc_b64 s[30:31], s[0:1]
	v_mov_b32_e32 v56, v0
	s_cbranch_execz .LBB21_12
	s_branch .LBB21_13
.LBB21_11:
                                        ; implicit-def: $vgpr56
.LBB21_12:
	s_waitcnt vmcnt(2)
	v_mov_b32_e32 v0, v42
	s_waitcnt vmcnt(0)
	v_mov_b32_e32 v1, v46
	s_getpc_b64 s[0:1]
	s_add_u32 s0, s0, _ZN12_GLOBAL__N_112calc_igammacIfEET_S1_S1_@rel32@lo+4
	s_addc_u32 s1, s1, _ZN12_GLOBAL__N_112calc_igammacIfEET_S1_S1_@rel32@hi+12
	s_delay_alu instid0(SALU_CYCLE_1)
	s_swappc_b64 s[30:31], s[0:1]
	v_mov_b32_e32 v56, v0
.LBB21_13:
	s_and_not1_b32 vcc_lo, exec_lo, s47
	s_cbranch_vccnz .LBB21_15
; %bb.14:
	s_waitcnt vmcnt(2)
	v_mov_b32_e32 v0, v43
	s_waitcnt vmcnt(0)
	v_mov_b32_e32 v1, v47
	s_getpc_b64 s[0:1]
	s_add_u32 s0, s0, _ZN12_GLOBAL__N_111calc_igammaIfEET_S1_S1_@rel32@lo+4
	s_addc_u32 s1, s1, _ZN12_GLOBAL__N_111calc_igammaIfEET_S1_S1_@rel32@hi+12
	s_delay_alu instid0(SALU_CYCLE_1)
	s_swappc_b64 s[30:31], s[0:1]
	v_mov_b32_e32 v57, v0
	s_cbranch_execz .LBB21_16
	s_branch .LBB21_17
.LBB21_15:
.LBB21_16:
	s_waitcnt vmcnt(2)
	v_mov_b32_e32 v0, v43
	s_waitcnt vmcnt(0)
	v_mov_b32_e32 v1, v47
	s_getpc_b64 s[0:1]
	s_add_u32 s0, s0, _ZN12_GLOBAL__N_112calc_igammacIfEET_S1_S1_@rel32@lo+4
	s_addc_u32 s1, s1, _ZN12_GLOBAL__N_112calc_igammacIfEET_S1_S1_@rel32@hi+12
	s_delay_alu instid0(SALU_CYCLE_1)
	s_swappc_b64 s[30:31], s[0:1]
	v_mov_b32_e32 v57, v0
.LBB21_17:
	s_add_u32 s2, s40, s36
	s_addc_u32 s3, s41, s37
	s_mov_b32 s0, 0
	global_store_b64 v61, v[44:45], s[2:3]
	s_waitcnt vmcnt(3)
	global_store_b64 v61, v[56:57], s[2:3] offset:2048
.LBB21_18:
	s_and_b32 vcc_lo, exec_lo, s0
	s_cbranch_vccz .LBB21_55
; %bb.19:
	v_cmp_gt_i32_e64 s36, s46, v60
	v_dual_mov_b32 v56, 0 :: v_dual_mov_b32 v61, 0
	v_or_b32_e32 v62, s38, v60
	v_or_b32_e32 v66, 0x100, v60
	v_mov_b32_e32 v40, 0
	v_mov_b32_e32 v0, v60
	s_and_saveexec_b32 s0, s36
	s_cbranch_execz .LBB21_21
; %bb.20:
	v_mov_b32_e32 v63, 0
	s_delay_alu instid0(VALU_DEP_1) | instskip(NEXT) | instid1(VALU_DEP_1)
	v_lshlrev_b64 v[0:1], 2, v[62:63]
	v_add_co_u32 v2, vcc_lo, s42, v0
	s_delay_alu instid0(VALU_DEP_2)
	v_add_co_ci_u32_e32 v3, vcc_lo, s43, v1, vcc_lo
	v_add_co_u32 v0, vcc_lo, s44, v0
	v_add_co_ci_u32_e32 v1, vcc_lo, s45, v1, vcc_lo
	global_load_b32 v40, v[2:3], off
	global_load_b32 v61, v[0:1], off
	v_or_b32_e32 v0, 0x100, v60
.LBB21_21:
	s_or_b32 exec_lo, exec_lo, s0
	s_waitcnt vmcnt(1)
	v_mov_b32_e32 v59, 0
	s_mov_b32 s0, exec_lo
	v_cmpx_gt_i32_e64 s46, v0
	s_cbranch_execz .LBB21_23
; %bb.22:
	v_dual_mov_b32 v2, 0 :: v_dual_add_nc_u32 v1, s38, v0
	v_add_nc_u32_e32 v0, 0x100, v0
	s_delay_alu instid0(VALU_DEP_2) | instskip(NEXT) | instid1(VALU_DEP_1)
	v_lshlrev_b64 v[1:2], 2, v[1:2]
	v_add_co_u32 v3, vcc_lo, s42, v1
	s_delay_alu instid0(VALU_DEP_2)
	v_add_co_ci_u32_e32 v4, vcc_lo, s43, v2, vcc_lo
	v_add_co_u32 v1, vcc_lo, s44, v1
	v_add_co_ci_u32_e32 v2, vcc_lo, s45, v2, vcc_lo
	global_load_b32 v56, v[3:4], off
	global_load_b32 v59, v[1:2], off
.LBB21_23:
	s_or_b32 exec_lo, exec_lo, s0
	s_waitcnt vmcnt(0)
	v_dual_mov_b32 v46, 0 :: v_dual_mov_b32 v57, 0
	v_mov_b32_e32 v58, 0
	s_mov_b32 s0, exec_lo
	v_cmpx_gt_i32_e64 s46, v0
	s_cbranch_execz .LBB21_25
; %bb.24:
	v_dual_mov_b32 v2, 0 :: v_dual_add_nc_u32 v1, s38, v0
	v_add_nc_u32_e32 v0, 0x100, v0
	s_delay_alu instid0(VALU_DEP_2) | instskip(NEXT) | instid1(VALU_DEP_1)
	v_lshlrev_b64 v[1:2], 2, v[1:2]
	v_add_co_u32 v3, vcc_lo, s42, v1
	s_delay_alu instid0(VALU_DEP_2)
	v_add_co_ci_u32_e32 v4, vcc_lo, s43, v2, vcc_lo
	v_add_co_u32 v1, vcc_lo, s44, v1
	v_add_co_ci_u32_e32 v2, vcc_lo, s45, v2, vcc_lo
	global_load_b32 v57, v[3:4], off
	global_load_b32 v58, v[1:2], off
.LBB21_25:
	s_or_b32 exec_lo, exec_lo, s0
	v_mov_b32_e32 v47, 0
	s_mov_b32 s0, exec_lo
	v_cmpx_gt_i32_e64 s46, v0
	s_cbranch_execz .LBB21_27
; %bb.26:
	v_dual_mov_b32 v1, 0 :: v_dual_add_nc_u32 v0, s38, v0
	s_delay_alu instid0(VALU_DEP_1) | instskip(NEXT) | instid1(VALU_DEP_1)
	v_lshlrev_b64 v[0:1], 2, v[0:1]
	v_add_co_u32 v2, vcc_lo, s42, v0
	s_delay_alu instid0(VALU_DEP_2)
	v_add_co_ci_u32_e32 v3, vcc_lo, s43, v1, vcc_lo
	v_add_co_u32 v0, vcc_lo, s44, v0
	v_add_co_ci_u32_e32 v1, vcc_lo, s45, v1, vcc_lo
	global_load_b32 v46, v[2:3], off
	global_load_b32 v47, v[0:1], off
.LBB21_27:
	s_or_b32 exec_lo, exec_lo, s0
                                        ; implicit-def: $vgpr42_vgpr43_vgpr44_vgpr45
	s_and_saveexec_b32 s37, s36
	s_cbranch_execz .LBB21_32
; %bb.28:
	s_and_b32 vcc_lo, exec_lo, s47
	s_cbranch_vccz .LBB21_30
; %bb.29:
	v_dual_mov_b32 v0, v40 :: v_dual_mov_b32 v1, v61
	s_getpc_b64 s[0:1]
	s_add_u32 s0, s0, _ZN12_GLOBAL__N_111calc_igammaIfEET_S1_S1_@rel32@lo+4
	s_addc_u32 s1, s1, _ZN12_GLOBAL__N_111calc_igammaIfEET_S1_S1_@rel32@hi+12
	s_delay_alu instid0(SALU_CYCLE_1)
	s_swappc_b64 s[30:31], s[0:1]
	v_mov_b32_e32 v42, v0
	s_cbranch_execz .LBB21_31
	s_branch .LBB21_32
.LBB21_30:
                                        ; implicit-def: $vgpr42
.LBB21_31:
	v_dual_mov_b32 v0, v40 :: v_dual_mov_b32 v1, v61
	s_getpc_b64 s[0:1]
	s_add_u32 s0, s0, _ZN12_GLOBAL__N_112calc_igammacIfEET_S1_S1_@rel32@lo+4
	s_addc_u32 s1, s1, _ZN12_GLOBAL__N_112calc_igammacIfEET_S1_S1_@rel32@hi+12
	s_delay_alu instid0(SALU_CYCLE_1)
	s_swappc_b64 s[30:31], s[0:1]
	v_mov_b32_e32 v42, v0
.LBB21_32:
	s_or_b32 exec_lo, exec_lo, s37
	v_cndmask_b32_e64 v61, 0, 1, s47
	s_mov_b32 s37, exec_lo
	v_cmpx_gt_i32_e64 s46, v66
	s_cbranch_execz .LBB21_37
; %bb.33:
	s_and_not1_b32 vcc_lo, exec_lo, s47
	s_cbranch_vccnz .LBB21_35
; %bb.34:
	v_dual_mov_b32 v0, v56 :: v_dual_mov_b32 v1, v59
	s_getpc_b64 s[0:1]
	s_add_u32 s0, s0, _ZN12_GLOBAL__N_111calc_igammaIfEET_S1_S1_@rel32@lo+4
	s_addc_u32 s1, s1, _ZN12_GLOBAL__N_111calc_igammaIfEET_S1_S1_@rel32@hi+12
	s_delay_alu instid0(SALU_CYCLE_1)
	s_swappc_b64 s[30:31], s[0:1]
	v_mov_b32_e32 v43, v0
	s_cbranch_execz .LBB21_36
	s_branch .LBB21_37
.LBB21_35:
.LBB21_36:
	v_dual_mov_b32 v0, v56 :: v_dual_mov_b32 v1, v59
	s_getpc_b64 s[0:1]
	s_add_u32 s0, s0, _ZN12_GLOBAL__N_112calc_igammacIfEET_S1_S1_@rel32@lo+4
	s_addc_u32 s1, s1, _ZN12_GLOBAL__N_112calc_igammacIfEET_S1_S1_@rel32@hi+12
	s_delay_alu instid0(SALU_CYCLE_1)
	s_swappc_b64 s[30:31], s[0:1]
	v_mov_b32_e32 v43, v0
.LBB21_37:
	s_or_b32 exec_lo, exec_lo, s37
	v_or_b32_e32 v0, 0x200, v60
	s_mov_b32 s37, exec_lo
	s_delay_alu instid0(VALU_DEP_1)
	v_cmpx_gt_i32_e64 s46, v0
	s_cbranch_execz .LBB21_42
; %bb.38:
	v_cmp_ne_u32_e32 vcc_lo, 1, v61
	s_cbranch_vccnz .LBB21_40
; %bb.39:
	s_waitcnt vmcnt(0)
	v_dual_mov_b32 v0, v57 :: v_dual_mov_b32 v1, v58
	s_getpc_b64 s[0:1]
	s_add_u32 s0, s0, _ZN12_GLOBAL__N_111calc_igammaIfEET_S1_S1_@rel32@lo+4
	s_addc_u32 s1, s1, _ZN12_GLOBAL__N_111calc_igammaIfEET_S1_S1_@rel32@hi+12
	s_delay_alu instid0(SALU_CYCLE_1)
	s_swappc_b64 s[30:31], s[0:1]
	v_mov_b32_e32 v44, v0
	s_cbranch_execz .LBB21_41
	s_branch .LBB21_42
.LBB21_40:
.LBB21_41:
	s_waitcnt vmcnt(0)
	v_dual_mov_b32 v0, v57 :: v_dual_mov_b32 v1, v58
	s_getpc_b64 s[0:1]
	s_add_u32 s0, s0, _ZN12_GLOBAL__N_112calc_igammacIfEET_S1_S1_@rel32@lo+4
	s_addc_u32 s1, s1, _ZN12_GLOBAL__N_112calc_igammacIfEET_S1_S1_@rel32@hi+12
	s_delay_alu instid0(SALU_CYCLE_1)
	s_swappc_b64 s[30:31], s[0:1]
	v_mov_b32_e32 v44, v0
.LBB21_42:
	s_or_b32 exec_lo, exec_lo, s37
	v_or_b32_e32 v0, 0x300, v60
	s_mov_b32 s37, exec_lo
	s_delay_alu instid0(VALU_DEP_1)
	v_cmpx_gt_i32_e64 s46, v0
	s_cbranch_execz .LBB21_47
; %bb.43:
	v_cmp_ne_u32_e32 vcc_lo, 1, v61
	s_cbranch_vccnz .LBB21_45
; %bb.44:
	s_waitcnt vmcnt(0)
	v_dual_mov_b32 v0, v46 :: v_dual_mov_b32 v1, v47
	s_getpc_b64 s[0:1]
	s_add_u32 s0, s0, _ZN12_GLOBAL__N_111calc_igammaIfEET_S1_S1_@rel32@lo+4
	s_addc_u32 s1, s1, _ZN12_GLOBAL__N_111calc_igammaIfEET_S1_S1_@rel32@hi+12
	s_delay_alu instid0(SALU_CYCLE_1)
	s_swappc_b64 s[30:31], s[0:1]
	v_mov_b32_e32 v45, v0
	s_cbranch_execz .LBB21_46
	s_branch .LBB21_47
.LBB21_45:
.LBB21_46:
	s_waitcnt vmcnt(0)
	v_dual_mov_b32 v0, v46 :: v_dual_mov_b32 v1, v47
	s_getpc_b64 s[0:1]
	s_add_u32 s0, s0, _ZN12_GLOBAL__N_112calc_igammacIfEET_S1_S1_@rel32@lo+4
	s_addc_u32 s1, s1, _ZN12_GLOBAL__N_112calc_igammacIfEET_S1_S1_@rel32@hi+12
	s_delay_alu instid0(SALU_CYCLE_1)
	s_swappc_b64 s[30:31], s[0:1]
	v_mov_b32_e32 v45, v0
.LBB21_47:
	s_or_b32 exec_lo, exec_lo, s37
	s_and_saveexec_b32 s0, s36
	s_delay_alu instid0(SALU_CYCLE_1)
	s_xor_b32 s0, exec_lo, s0
	s_cbranch_execz .LBB21_49
; %bb.48:
	v_dual_mov_b32 v63, 0 :: v_dual_mov_b32 v60, v66
	s_delay_alu instid0(VALU_DEP_1) | instskip(NEXT) | instid1(VALU_DEP_1)
	v_lshlrev_b64 v[0:1], 2, v[62:63]
	v_add_co_u32 v0, vcc_lo, s40, v0
	s_delay_alu instid0(VALU_DEP_2)
	v_add_co_ci_u32_e32 v1, vcc_lo, s41, v1, vcc_lo
	global_store_b32 v[0:1], v42, off
.LBB21_49:
	s_or_b32 exec_lo, exec_lo, s0
	s_delay_alu instid0(SALU_CYCLE_1)
	s_mov_b32 s0, exec_lo
	v_cmpx_gt_i32_e64 s46, v60
	s_cbranch_execnz .LBB21_53
; %bb.50:
	s_or_b32 exec_lo, exec_lo, s0
	s_delay_alu instid0(SALU_CYCLE_1)
	s_mov_b32 s0, exec_lo
	v_cmpx_gt_i32_e64 s46, v60
	s_cbranch_execnz .LBB21_54
.LBB21_51:
	s_or_b32 exec_lo, exec_lo, s0
	s_delay_alu instid0(SALU_CYCLE_1)
	s_mov_b32 s0, exec_lo
	v_cmpx_gt_i32_e64 s46, v60
	s_cbranch_execz .LBB21_55
.LBB21_52:
	v_dual_mov_b32 v1, 0 :: v_dual_add_nc_u32 v0, s38, v60
	s_delay_alu instid0(VALU_DEP_1) | instskip(NEXT) | instid1(VALU_DEP_1)
	v_lshlrev_b64 v[0:1], 2, v[0:1]
	v_add_co_u32 v0, vcc_lo, s40, v0
	s_delay_alu instid0(VALU_DEP_2)
	v_add_co_ci_u32_e32 v1, vcc_lo, s41, v1, vcc_lo
	global_store_b32 v[0:1], v45, off
	s_endpgm
.LBB21_53:
	v_dual_mov_b32 v1, 0 :: v_dual_add_nc_u32 v0, s38, v60
	v_add_nc_u32_e32 v60, 0x100, v60
	s_delay_alu instid0(VALU_DEP_2) | instskip(NEXT) | instid1(VALU_DEP_1)
	v_lshlrev_b64 v[0:1], 2, v[0:1]
	v_add_co_u32 v0, vcc_lo, s40, v0
	s_delay_alu instid0(VALU_DEP_2) | instskip(SKIP_2) | instid1(SALU_CYCLE_1)
	v_add_co_ci_u32_e32 v1, vcc_lo, s41, v1, vcc_lo
	global_store_b32 v[0:1], v43, off
	s_or_b32 exec_lo, exec_lo, s0
	s_mov_b32 s0, exec_lo
	v_cmpx_gt_i32_e64 s46, v60
	s_cbranch_execz .LBB21_51
.LBB21_54:
	v_dual_mov_b32 v1, 0 :: v_dual_add_nc_u32 v0, s38, v60
	v_add_nc_u32_e32 v60, 0x100, v60
	s_delay_alu instid0(VALU_DEP_2) | instskip(NEXT) | instid1(VALU_DEP_1)
	v_lshlrev_b64 v[0:1], 2, v[0:1]
	v_add_co_u32 v0, vcc_lo, s40, v0
	s_delay_alu instid0(VALU_DEP_2) | instskip(SKIP_2) | instid1(SALU_CYCLE_1)
	v_add_co_ci_u32_e32 v1, vcc_lo, s41, v1, vcc_lo
	global_store_b32 v[0:1], v44, off
	s_or_b32 exec_lo, exec_lo, s0
	s_mov_b32 s0, exec_lo
	v_cmpx_gt_i32_e64 s46, v60
	s_cbranch_execnz .LBB21_52
.LBB21_55:
	s_endpgm
	.section	.rodata,"a",@progbits
	.p2align	6, 0x0
	.amdhsa_kernel _ZN2at6native29vectorized_elementwise_kernelILi2EN12_GLOBAL__N_110CalcIgammaIfEESt5arrayIPcLm3EEEEviT0_T1_
		.amdhsa_group_segment_fixed_size 0
		.amdhsa_private_segment_fixed_size 144
		.amdhsa_kernarg_size 32
		.amdhsa_user_sgpr_count 15
		.amdhsa_user_sgpr_dispatch_ptr 0
		.amdhsa_user_sgpr_queue_ptr 0
		.amdhsa_user_sgpr_kernarg_segment_ptr 1
		.amdhsa_user_sgpr_dispatch_id 0
		.amdhsa_user_sgpr_private_segment_size 0
		.amdhsa_wavefront_size32 1
		.amdhsa_uses_dynamic_stack 0
		.amdhsa_enable_private_segment 1
		.amdhsa_system_sgpr_workgroup_id_x 1
		.amdhsa_system_sgpr_workgroup_id_y 0
		.amdhsa_system_sgpr_workgroup_id_z 0
		.amdhsa_system_sgpr_workgroup_info 0
		.amdhsa_system_vgpr_workitem_id 0
		.amdhsa_next_free_vgpr 67
		.amdhsa_next_free_sgpr 48
		.amdhsa_reserve_vcc 1
		.amdhsa_float_round_mode_32 0
		.amdhsa_float_round_mode_16_64 0
		.amdhsa_float_denorm_mode_32 3
		.amdhsa_float_denorm_mode_16_64 3
		.amdhsa_dx10_clamp 1
		.amdhsa_ieee_mode 1
		.amdhsa_fp16_overflow 0
		.amdhsa_workgroup_processor_mode 1
		.amdhsa_memory_ordered 1
		.amdhsa_forward_progress 0
		.amdhsa_shared_vgpr_count 0
		.amdhsa_exception_fp_ieee_invalid_op 0
		.amdhsa_exception_fp_denorm_src 0
		.amdhsa_exception_fp_ieee_div_zero 0
		.amdhsa_exception_fp_ieee_overflow 0
		.amdhsa_exception_fp_ieee_underflow 0
		.amdhsa_exception_fp_ieee_inexact 0
		.amdhsa_exception_int_div_zero 0
	.end_amdhsa_kernel
	.section	.text._ZN2at6native29vectorized_elementwise_kernelILi2EN12_GLOBAL__N_110CalcIgammaIfEESt5arrayIPcLm3EEEEviT0_T1_,"axG",@progbits,_ZN2at6native29vectorized_elementwise_kernelILi2EN12_GLOBAL__N_110CalcIgammaIfEESt5arrayIPcLm3EEEEviT0_T1_,comdat
.Lfunc_end21:
	.size	_ZN2at6native29vectorized_elementwise_kernelILi2EN12_GLOBAL__N_110CalcIgammaIfEESt5arrayIPcLm3EEEEviT0_T1_, .Lfunc_end21-_ZN2at6native29vectorized_elementwise_kernelILi2EN12_GLOBAL__N_110CalcIgammaIfEESt5arrayIPcLm3EEEEviT0_T1_
                                        ; -- End function
	.section	.AMDGPU.csdata,"",@progbits
; Kernel info:
; codeLenInByte = 1856
; NumSgprs: 50
; NumVgprs: 67
; ScratchSize: 144
; MemoryBound: 0
; FloatMode: 240
; IeeeMode: 1
; LDSByteSize: 0 bytes/workgroup (compile time only)
; SGPRBlocks: 6
; VGPRBlocks: 8
; NumSGPRsForWavesPerEU: 50
; NumVGPRsForWavesPerEU: 67
; Occupancy: 16
; WaveLimiterHint : 0
; COMPUTE_PGM_RSRC2:SCRATCH_EN: 1
; COMPUTE_PGM_RSRC2:USER_SGPR: 15
; COMPUTE_PGM_RSRC2:TRAP_HANDLER: 0
; COMPUTE_PGM_RSRC2:TGID_X_EN: 1
; COMPUTE_PGM_RSRC2:TGID_Y_EN: 0
; COMPUTE_PGM_RSRC2:TGID_Z_EN: 0
; COMPUTE_PGM_RSRC2:TIDIG_COMP_CNT: 0
	.section	.text._ZN2at6native27unrolled_elementwise_kernelIN12_GLOBAL__N_110CalcIgammaIfEESt5arrayIPcLm3EELi4E23TrivialOffsetCalculatorILi2EjES8_ILi1EjENS0_6memory15LoadWithoutCastENSB_16StoreWithoutCastEEEviT_T0_T2_T3_T4_T5_,"axG",@progbits,_ZN2at6native27unrolled_elementwise_kernelIN12_GLOBAL__N_110CalcIgammaIfEESt5arrayIPcLm3EELi4E23TrivialOffsetCalculatorILi2EjES8_ILi1EjENS0_6memory15LoadWithoutCastENSB_16StoreWithoutCastEEEviT_T0_T2_T3_T4_T5_,comdat
	.globl	_ZN2at6native27unrolled_elementwise_kernelIN12_GLOBAL__N_110CalcIgammaIfEESt5arrayIPcLm3EELi4E23TrivialOffsetCalculatorILi2EjES8_ILi1EjENS0_6memory15LoadWithoutCastENSB_16StoreWithoutCastEEEviT_T0_T2_T3_T4_T5_ ; -- Begin function _ZN2at6native27unrolled_elementwise_kernelIN12_GLOBAL__N_110CalcIgammaIfEESt5arrayIPcLm3EELi4E23TrivialOffsetCalculatorILi2EjES8_ILi1EjENS0_6memory15LoadWithoutCastENSB_16StoreWithoutCastEEEviT_T0_T2_T3_T4_T5_
	.p2align	8
	.type	_ZN2at6native27unrolled_elementwise_kernelIN12_GLOBAL__N_110CalcIgammaIfEESt5arrayIPcLm3EELi4E23TrivialOffsetCalculatorILi2EjES8_ILi1EjENS0_6memory15LoadWithoutCastENSB_16StoreWithoutCastEEEviT_T0_T2_T3_T4_T5_,@function
_ZN2at6native27unrolled_elementwise_kernelIN12_GLOBAL__N_110CalcIgammaIfEESt5arrayIPcLm3EELi4E23TrivialOffsetCalculatorILi2EjES8_ILi1EjENS0_6memory15LoadWithoutCastENSB_16StoreWithoutCastEEEviT_T0_T2_T3_T4_T5_: ; @_ZN2at6native27unrolled_elementwise_kernelIN12_GLOBAL__N_110CalcIgammaIfEESt5arrayIPcLm3EELi4E23TrivialOffsetCalculatorILi2EjES8_ILi1EjENS0_6memory15LoadWithoutCastENSB_16StoreWithoutCastEEEviT_T0_T2_T3_T4_T5_
; %bb.0:
	s_clause 0x2
	s_load_b64 s[2:3], s[0:1], 0x0
	s_load_b128 s[40:43], s[0:1], 0x8
	s_load_b64 s[0:1], s[0:1], 0x18
	v_dual_mov_b32 v46, v0 :: v_dual_mov_b32 v57, 0
	s_lshl_b32 s37, s15, 10
	v_dual_mov_b32 v40, 0 :: v_dual_mov_b32 v61, 0
	s_delay_alu instid0(VALU_DEP_2) | instskip(SKIP_4) | instid1(SALU_CYCLE_1)
	v_or_b32_e32 v62, s37, v46
	v_or_b32_e32 v66, 0x100, v46
	s_mov_b32 s32, 0
	s_waitcnt lgkmcnt(0)
	s_sub_i32 s38, s2, s37
	v_cmp_gt_i32_e64 s36, s38, v46
	s_delay_alu instid0(VALU_DEP_1)
	s_and_saveexec_b32 s2, s36
	s_cbranch_execz .LBB22_2
; %bb.1:
	v_mov_b32_e32 v63, 0
	s_delay_alu instid0(VALU_DEP_1) | instskip(NEXT) | instid1(VALU_DEP_1)
	v_lshlrev_b64 v[0:1], 2, v[62:63]
	v_add_co_u32 v2, vcc_lo, s42, v0
	s_delay_alu instid0(VALU_DEP_2)
	v_add_co_ci_u32_e32 v3, vcc_lo, s43, v1, vcc_lo
	v_add_co_u32 v0, vcc_lo, s0, v0
	v_add_co_ci_u32_e32 v1, vcc_lo, s1, v1, vcc_lo
	global_load_b32 v40, v[2:3], off
	global_load_b32 v61, v[0:1], off
	v_or_b32_e32 v0, 0x100, v46
.LBB22_2:
	s_or_b32 exec_lo, exec_lo, s2
	v_mov_b32_e32 v60, 0
	s_mov_b32 s2, exec_lo
	s_delay_alu instid0(VALU_DEP_2)
	v_cmpx_gt_i32_e64 s38, v0
	s_cbranch_execz .LBB22_4
; %bb.3:
	v_dual_mov_b32 v2, 0 :: v_dual_add_nc_u32 v1, s37, v0
	v_add_nc_u32_e32 v0, 0x100, v0
	s_delay_alu instid0(VALU_DEP_2) | instskip(NEXT) | instid1(VALU_DEP_1)
	v_lshlrev_b64 v[1:2], 2, v[1:2]
	v_add_co_u32 v3, vcc_lo, s42, v1
	s_delay_alu instid0(VALU_DEP_2)
	v_add_co_ci_u32_e32 v4, vcc_lo, s43, v2, vcc_lo
	v_add_co_u32 v1, vcc_lo, s0, v1
	v_add_co_ci_u32_e32 v2, vcc_lo, s1, v2, vcc_lo
	global_load_b32 v57, v[3:4], off
	global_load_b32 v60, v[1:2], off
.LBB22_4:
	s_or_b32 exec_lo, exec_lo, s2
	v_dual_mov_b32 v47, 0 :: v_dual_mov_b32 v58, 0
	v_mov_b32_e32 v59, 0
	s_mov_b32 s2, exec_lo
	v_cmpx_gt_i32_e64 s38, v0
	s_cbranch_execz .LBB22_6
; %bb.5:
	v_dual_mov_b32 v2, 0 :: v_dual_add_nc_u32 v1, s37, v0
	v_add_nc_u32_e32 v0, 0x100, v0
	s_delay_alu instid0(VALU_DEP_2) | instskip(NEXT) | instid1(VALU_DEP_1)
	v_lshlrev_b64 v[1:2], 2, v[1:2]
	v_add_co_u32 v3, vcc_lo, s42, v1
	s_delay_alu instid0(VALU_DEP_2)
	v_add_co_ci_u32_e32 v4, vcc_lo, s43, v2, vcc_lo
	v_add_co_u32 v1, vcc_lo, s0, v1
	v_add_co_ci_u32_e32 v2, vcc_lo, s1, v2, vcc_lo
	global_load_b32 v58, v[3:4], off
	global_load_b32 v59, v[1:2], off
.LBB22_6:
	s_or_b32 exec_lo, exec_lo, s2
	v_mov_b32_e32 v56, 0
	s_mov_b32 s2, exec_lo
	v_cmpx_gt_i32_e64 s38, v0
	s_cbranch_execz .LBB22_8
; %bb.7:
	v_dual_mov_b32 v1, 0 :: v_dual_add_nc_u32 v0, s37, v0
	s_delay_alu instid0(VALU_DEP_1) | instskip(NEXT) | instid1(VALU_DEP_1)
	v_lshlrev_b64 v[0:1], 2, v[0:1]
	v_add_co_u32 v2, vcc_lo, s42, v0
	s_delay_alu instid0(VALU_DEP_2)
	v_add_co_ci_u32_e32 v3, vcc_lo, s43, v1, vcc_lo
	v_add_co_u32 v0, vcc_lo, s0, v0
	v_add_co_ci_u32_e32 v1, vcc_lo, s1, v1, vcc_lo
	global_load_b32 v47, v[2:3], off
	global_load_b32 v56, v[0:1], off
.LBB22_8:
	s_or_b32 exec_lo, exec_lo, s2
	s_bitcmp1_b32 s3, 0
	s_mov_b32 s0, -1
	s_cselect_b32 s1, -1, 0
                                        ; implicit-def: $vgpr42_vgpr43_vgpr44_vgpr45
	s_delay_alu instid0(SALU_CYCLE_1)
	s_xor_b32 s39, s1, -1
	s_and_saveexec_b32 s42, s36
	s_cbranch_execz .LBB22_13
; %bb.9:
	s_and_b32 vcc_lo, exec_lo, s39
	s_cbranch_vccz .LBB22_11
; %bb.10:
	s_waitcnt vmcnt(0)
	v_dual_mov_b32 v0, v40 :: v_dual_mov_b32 v1, v61
	s_getpc_b64 s[0:1]
	s_add_u32 s0, s0, _ZN12_GLOBAL__N_111calc_igammaIfEET_S1_S1_@rel32@lo+4
	s_addc_u32 s1, s1, _ZN12_GLOBAL__N_111calc_igammaIfEET_S1_S1_@rel32@hi+12
	s_delay_alu instid0(SALU_CYCLE_1)
	s_swappc_b64 s[30:31], s[0:1]
	v_mov_b32_e32 v42, v0
	s_cbranch_execz .LBB22_12
	s_branch .LBB22_13
.LBB22_11:
                                        ; implicit-def: $vgpr42
	s_and_not1_b32 vcc_lo, exec_lo, s0
	s_cbranch_vccnz .LBB22_13
.LBB22_12:
	s_waitcnt vmcnt(0)
	v_dual_mov_b32 v0, v40 :: v_dual_mov_b32 v1, v61
	s_getpc_b64 s[0:1]
	s_add_u32 s0, s0, _ZN12_GLOBAL__N_112calc_igammacIfEET_S1_S1_@rel32@lo+4
	s_addc_u32 s1, s1, _ZN12_GLOBAL__N_112calc_igammacIfEET_S1_S1_@rel32@hi+12
	s_delay_alu instid0(SALU_CYCLE_1)
	s_swappc_b64 s[30:31], s[0:1]
	v_mov_b32_e32 v42, v0
.LBB22_13:
	s_or_b32 exec_lo, exec_lo, s42
	s_waitcnt vmcnt(0)
	v_cndmask_b32_e64 v61, 0, 1, s39
	s_mov_b32 s42, exec_lo
	v_cmpx_gt_i32_e64 s38, v66
	s_cbranch_execz .LBB22_18
; %bb.14:
	s_and_not1_b32 vcc_lo, exec_lo, s39
	s_cbranch_vccnz .LBB22_16
; %bb.15:
	v_dual_mov_b32 v0, v57 :: v_dual_mov_b32 v1, v60
	s_getpc_b64 s[0:1]
	s_add_u32 s0, s0, _ZN12_GLOBAL__N_111calc_igammaIfEET_S1_S1_@rel32@lo+4
	s_addc_u32 s1, s1, _ZN12_GLOBAL__N_111calc_igammaIfEET_S1_S1_@rel32@hi+12
	s_delay_alu instid0(SALU_CYCLE_1)
	s_swappc_b64 s[30:31], s[0:1]
	v_mov_b32_e32 v43, v0
	s_cbranch_execz .LBB22_17
	s_branch .LBB22_18
.LBB22_16:
.LBB22_17:
	v_dual_mov_b32 v0, v57 :: v_dual_mov_b32 v1, v60
	s_getpc_b64 s[0:1]
	s_add_u32 s0, s0, _ZN12_GLOBAL__N_112calc_igammacIfEET_S1_S1_@rel32@lo+4
	s_addc_u32 s1, s1, _ZN12_GLOBAL__N_112calc_igammacIfEET_S1_S1_@rel32@hi+12
	s_delay_alu instid0(SALU_CYCLE_1)
	s_swappc_b64 s[30:31], s[0:1]
	v_mov_b32_e32 v43, v0
.LBB22_18:
	s_or_b32 exec_lo, exec_lo, s42
	v_or_b32_e32 v0, 0x200, v46
	s_mov_b32 s39, exec_lo
	s_delay_alu instid0(VALU_DEP_1)
	v_cmpx_gt_i32_e64 s38, v0
	s_cbranch_execz .LBB22_23
; %bb.19:
	v_cmp_ne_u32_e32 vcc_lo, 1, v61
	s_cbranch_vccnz .LBB22_21
; %bb.20:
	v_dual_mov_b32 v0, v58 :: v_dual_mov_b32 v1, v59
	s_getpc_b64 s[0:1]
	s_add_u32 s0, s0, _ZN12_GLOBAL__N_111calc_igammaIfEET_S1_S1_@rel32@lo+4
	s_addc_u32 s1, s1, _ZN12_GLOBAL__N_111calc_igammaIfEET_S1_S1_@rel32@hi+12
	s_delay_alu instid0(SALU_CYCLE_1)
	s_swappc_b64 s[30:31], s[0:1]
	v_mov_b32_e32 v44, v0
	s_cbranch_execz .LBB22_22
	s_branch .LBB22_23
.LBB22_21:
.LBB22_22:
	v_dual_mov_b32 v0, v58 :: v_dual_mov_b32 v1, v59
	s_getpc_b64 s[0:1]
	s_add_u32 s0, s0, _ZN12_GLOBAL__N_112calc_igammacIfEET_S1_S1_@rel32@lo+4
	s_addc_u32 s1, s1, _ZN12_GLOBAL__N_112calc_igammacIfEET_S1_S1_@rel32@hi+12
	s_delay_alu instid0(SALU_CYCLE_1)
	s_swappc_b64 s[30:31], s[0:1]
	v_mov_b32_e32 v44, v0
.LBB22_23:
	s_or_b32 exec_lo, exec_lo, s39
	v_or_b32_e32 v0, 0x300, v46
	s_mov_b32 s39, exec_lo
	s_delay_alu instid0(VALU_DEP_1)
	v_cmpx_gt_i32_e64 s38, v0
	s_cbranch_execz .LBB22_28
; %bb.24:
	v_cmp_ne_u32_e32 vcc_lo, 1, v61
	s_cbranch_vccnz .LBB22_26
; %bb.25:
	v_dual_mov_b32 v0, v47 :: v_dual_mov_b32 v1, v56
	s_getpc_b64 s[0:1]
	s_add_u32 s0, s0, _ZN12_GLOBAL__N_111calc_igammaIfEET_S1_S1_@rel32@lo+4
	s_addc_u32 s1, s1, _ZN12_GLOBAL__N_111calc_igammaIfEET_S1_S1_@rel32@hi+12
	s_delay_alu instid0(SALU_CYCLE_1)
	s_swappc_b64 s[30:31], s[0:1]
	v_mov_b32_e32 v45, v0
	s_cbranch_execz .LBB22_27
	s_branch .LBB22_28
.LBB22_26:
.LBB22_27:
	v_dual_mov_b32 v0, v47 :: v_dual_mov_b32 v1, v56
	s_getpc_b64 s[0:1]
	s_add_u32 s0, s0, _ZN12_GLOBAL__N_112calc_igammacIfEET_S1_S1_@rel32@lo+4
	s_addc_u32 s1, s1, _ZN12_GLOBAL__N_112calc_igammacIfEET_S1_S1_@rel32@hi+12
	s_delay_alu instid0(SALU_CYCLE_1)
	s_swappc_b64 s[30:31], s[0:1]
	v_mov_b32_e32 v45, v0
.LBB22_28:
	s_or_b32 exec_lo, exec_lo, s39
	s_and_saveexec_b32 s0, s36
	s_delay_alu instid0(SALU_CYCLE_1)
	s_xor_b32 s0, exec_lo, s0
	s_cbranch_execz .LBB22_30
; %bb.29:
	v_dual_mov_b32 v63, 0 :: v_dual_mov_b32 v46, v66
	s_delay_alu instid0(VALU_DEP_1) | instskip(NEXT) | instid1(VALU_DEP_1)
	v_lshlrev_b64 v[0:1], 2, v[62:63]
	v_add_co_u32 v0, vcc_lo, s40, v0
	s_delay_alu instid0(VALU_DEP_2)
	v_add_co_ci_u32_e32 v1, vcc_lo, s41, v1, vcc_lo
	global_store_b32 v[0:1], v42, off
.LBB22_30:
	s_or_b32 exec_lo, exec_lo, s0
	s_delay_alu instid0(SALU_CYCLE_1)
	s_mov_b32 s0, exec_lo
	v_cmpx_gt_i32_e64 s38, v46
	s_cbranch_execnz .LBB22_34
; %bb.31:
	s_or_b32 exec_lo, exec_lo, s0
	s_delay_alu instid0(SALU_CYCLE_1)
	s_mov_b32 s0, exec_lo
	v_cmpx_gt_i32_e64 s38, v46
	s_cbranch_execnz .LBB22_35
.LBB22_32:
	s_or_b32 exec_lo, exec_lo, s0
	s_delay_alu instid0(SALU_CYCLE_1)
	s_mov_b32 s0, exec_lo
	v_cmpx_gt_i32_e64 s38, v46
	s_cbranch_execnz .LBB22_36
.LBB22_33:
	s_endpgm
.LBB22_34:
	v_dual_mov_b32 v1, 0 :: v_dual_add_nc_u32 v0, s37, v46
	v_add_nc_u32_e32 v46, 0x100, v46
	s_delay_alu instid0(VALU_DEP_2) | instskip(NEXT) | instid1(VALU_DEP_1)
	v_lshlrev_b64 v[0:1], 2, v[0:1]
	v_add_co_u32 v0, vcc_lo, s40, v0
	s_delay_alu instid0(VALU_DEP_2) | instskip(SKIP_2) | instid1(SALU_CYCLE_1)
	v_add_co_ci_u32_e32 v1, vcc_lo, s41, v1, vcc_lo
	global_store_b32 v[0:1], v43, off
	s_or_b32 exec_lo, exec_lo, s0
	s_mov_b32 s0, exec_lo
	v_cmpx_gt_i32_e64 s38, v46
	s_cbranch_execz .LBB22_32
.LBB22_35:
	v_dual_mov_b32 v1, 0 :: v_dual_add_nc_u32 v0, s37, v46
	v_add_nc_u32_e32 v46, 0x100, v46
	s_delay_alu instid0(VALU_DEP_2) | instskip(NEXT) | instid1(VALU_DEP_1)
	v_lshlrev_b64 v[0:1], 2, v[0:1]
	v_add_co_u32 v0, vcc_lo, s40, v0
	s_delay_alu instid0(VALU_DEP_2) | instskip(SKIP_2) | instid1(SALU_CYCLE_1)
	v_add_co_ci_u32_e32 v1, vcc_lo, s41, v1, vcc_lo
	global_store_b32 v[0:1], v44, off
	s_or_b32 exec_lo, exec_lo, s0
	s_mov_b32 s0, exec_lo
	v_cmpx_gt_i32_e64 s38, v46
	s_cbranch_execz .LBB22_33
.LBB22_36:
	v_dual_mov_b32 v1, 0 :: v_dual_add_nc_u32 v0, s37, v46
	s_delay_alu instid0(VALU_DEP_1) | instskip(NEXT) | instid1(VALU_DEP_1)
	v_lshlrev_b64 v[0:1], 2, v[0:1]
	v_add_co_u32 v0, vcc_lo, s40, v0
	s_delay_alu instid0(VALU_DEP_2)
	v_add_co_ci_u32_e32 v1, vcc_lo, s41, v1, vcc_lo
	global_store_b32 v[0:1], v45, off
	s_endpgm
	.section	.rodata,"a",@progbits
	.p2align	6, 0x0
	.amdhsa_kernel _ZN2at6native27unrolled_elementwise_kernelIN12_GLOBAL__N_110CalcIgammaIfEESt5arrayIPcLm3EELi4E23TrivialOffsetCalculatorILi2EjES8_ILi1EjENS0_6memory15LoadWithoutCastENSB_16StoreWithoutCastEEEviT_T0_T2_T3_T4_T5_
		.amdhsa_group_segment_fixed_size 0
		.amdhsa_private_segment_fixed_size 144
		.amdhsa_kernarg_size 36
		.amdhsa_user_sgpr_count 15
		.amdhsa_user_sgpr_dispatch_ptr 0
		.amdhsa_user_sgpr_queue_ptr 0
		.amdhsa_user_sgpr_kernarg_segment_ptr 1
		.amdhsa_user_sgpr_dispatch_id 0
		.amdhsa_user_sgpr_private_segment_size 0
		.amdhsa_wavefront_size32 1
		.amdhsa_uses_dynamic_stack 0
		.amdhsa_enable_private_segment 1
		.amdhsa_system_sgpr_workgroup_id_x 1
		.amdhsa_system_sgpr_workgroup_id_y 0
		.amdhsa_system_sgpr_workgroup_id_z 0
		.amdhsa_system_sgpr_workgroup_info 0
		.amdhsa_system_vgpr_workitem_id 0
		.amdhsa_next_free_vgpr 67
		.amdhsa_next_free_sgpr 44
		.amdhsa_reserve_vcc 1
		.amdhsa_float_round_mode_32 0
		.amdhsa_float_round_mode_16_64 0
		.amdhsa_float_denorm_mode_32 3
		.amdhsa_float_denorm_mode_16_64 3
		.amdhsa_dx10_clamp 1
		.amdhsa_ieee_mode 1
		.amdhsa_fp16_overflow 0
		.amdhsa_workgroup_processor_mode 1
		.amdhsa_memory_ordered 1
		.amdhsa_forward_progress 0
		.amdhsa_shared_vgpr_count 0
		.amdhsa_exception_fp_ieee_invalid_op 0
		.amdhsa_exception_fp_denorm_src 0
		.amdhsa_exception_fp_ieee_div_zero 0
		.amdhsa_exception_fp_ieee_overflow 0
		.amdhsa_exception_fp_ieee_underflow 0
		.amdhsa_exception_fp_ieee_inexact 0
		.amdhsa_exception_int_div_zero 0
	.end_amdhsa_kernel
	.section	.text._ZN2at6native27unrolled_elementwise_kernelIN12_GLOBAL__N_110CalcIgammaIfEESt5arrayIPcLm3EELi4E23TrivialOffsetCalculatorILi2EjES8_ILi1EjENS0_6memory15LoadWithoutCastENSB_16StoreWithoutCastEEEviT_T0_T2_T3_T4_T5_,"axG",@progbits,_ZN2at6native27unrolled_elementwise_kernelIN12_GLOBAL__N_110CalcIgammaIfEESt5arrayIPcLm3EELi4E23TrivialOffsetCalculatorILi2EjES8_ILi1EjENS0_6memory15LoadWithoutCastENSB_16StoreWithoutCastEEEviT_T0_T2_T3_T4_T5_,comdat
.Lfunc_end22:
	.size	_ZN2at6native27unrolled_elementwise_kernelIN12_GLOBAL__N_110CalcIgammaIfEESt5arrayIPcLm3EELi4E23TrivialOffsetCalculatorILi2EjES8_ILi1EjENS0_6memory15LoadWithoutCastENSB_16StoreWithoutCastEEEviT_T0_T2_T3_T4_T5_, .Lfunc_end22-_ZN2at6native27unrolled_elementwise_kernelIN12_GLOBAL__N_110CalcIgammaIfEESt5arrayIPcLm3EELi4E23TrivialOffsetCalculatorILi2EjES8_ILi1EjENS0_6memory15LoadWithoutCastENSB_16StoreWithoutCastEEEviT_T0_T2_T3_T4_T5_
                                        ; -- End function
	.section	.AMDGPU.csdata,"",@progbits
; Kernel info:
; codeLenInByte = 1316
; NumSgprs: 46
; NumVgprs: 67
; ScratchSize: 144
; MemoryBound: 0
; FloatMode: 240
; IeeeMode: 1
; LDSByteSize: 0 bytes/workgroup (compile time only)
; SGPRBlocks: 5
; VGPRBlocks: 8
; NumSGPRsForWavesPerEU: 46
; NumVGPRsForWavesPerEU: 67
; Occupancy: 16
; WaveLimiterHint : 0
; COMPUTE_PGM_RSRC2:SCRATCH_EN: 1
; COMPUTE_PGM_RSRC2:USER_SGPR: 15
; COMPUTE_PGM_RSRC2:TRAP_HANDLER: 0
; COMPUTE_PGM_RSRC2:TGID_X_EN: 1
; COMPUTE_PGM_RSRC2:TGID_Y_EN: 0
; COMPUTE_PGM_RSRC2:TGID_Z_EN: 0
; COMPUTE_PGM_RSRC2:TIDIG_COMP_CNT: 0
	.section	.text._ZN2at6native32elementwise_kernel_manual_unrollILi128ELi4EZNS0_22gpu_kernel_impl_nocastIN12_GLOBAL__N_110CalcIgammaIfEEEEvRNS_18TensorIteratorBaseERKT_EUlibE_EEviT1_,"axG",@progbits,_ZN2at6native32elementwise_kernel_manual_unrollILi128ELi4EZNS0_22gpu_kernel_impl_nocastIN12_GLOBAL__N_110CalcIgammaIfEEEEvRNS_18TensorIteratorBaseERKT_EUlibE_EEviT1_,comdat
	.globl	_ZN2at6native32elementwise_kernel_manual_unrollILi128ELi4EZNS0_22gpu_kernel_impl_nocastIN12_GLOBAL__N_110CalcIgammaIfEEEEvRNS_18TensorIteratorBaseERKT_EUlibE_EEviT1_ ; -- Begin function _ZN2at6native32elementwise_kernel_manual_unrollILi128ELi4EZNS0_22gpu_kernel_impl_nocastIN12_GLOBAL__N_110CalcIgammaIfEEEEvRNS_18TensorIteratorBaseERKT_EUlibE_EEviT1_
	.p2align	8
	.type	_ZN2at6native32elementwise_kernel_manual_unrollILi128ELi4EZNS0_22gpu_kernel_impl_nocastIN12_GLOBAL__N_110CalcIgammaIfEEEEvRNS_18TensorIteratorBaseERKT_EUlibE_EEviT1_,@function
_ZN2at6native32elementwise_kernel_manual_unrollILi128ELi4EZNS0_22gpu_kernel_impl_nocastIN12_GLOBAL__N_110CalcIgammaIfEEEEvRNS_18TensorIteratorBaseERKT_EUlibE_EEviT1_: ; @_ZN2at6native32elementwise_kernel_manual_unrollILi128ELi4EZNS0_22gpu_kernel_impl_nocastIN12_GLOBAL__N_110CalcIgammaIfEEEEvRNS_18TensorIteratorBaseERKT_EUlibE_EEviT1_
; %bb.0:
	s_clause 0x1
	s_load_b32 s56, s[0:1], 0x8
	s_load_b32 s63, s[0:1], 0x0
	v_lshl_or_b32 v47, s15, 9, v0
	s_mov_b64 s[36:37], s[0:1]
	s_mov_b32 s32, 0
	s_or_b32 s36, s36, 8
	s_mov_b32 s0, exec_lo
	v_or_b32_e32 v2, 0x180, v47
	s_waitcnt lgkmcnt(0)
	s_add_i32 s57, s56, -1
	s_delay_alu instid0(SALU_CYCLE_1)
	s_cmp_gt_u32 s57, 1
	s_cselect_b32 s58, -1, 0
	v_cmpx_le_i32_e64 s63, v2
	s_xor_b32 s59, exec_lo, s0
	s_cbranch_execz .LBB23_66
; %bb.1:
	s_clause 0x6
	s_load_b32 s0, s[36:37], 0x1a0
	s_load_b128 s[48:51], s[36:37], 0x4
	s_load_b64 s[54:55], s[36:37], 0x14
	s_load_b128 s[44:47], s[36:37], 0xc4
	s_load_b64 s[52:53], s[36:37], 0xd4
	s_load_b64 s[38:39], s[36:37], 0x198
	s_load_b128 s[40:43], s[36:37], 0x188
	s_cmp_lg_u32 s56, 0
	s_mov_b32 s65, exec_lo
	s_cselect_b32 s64, -1, 0
	s_min_u32 s62, s57, 15
	s_cmp_gt_u32 s56, 1
	s_cselect_b32 s61, -1, 0
	s_waitcnt lgkmcnt(0)
	s_bitcmp1_b32 s0, 0
	s_cselect_b32 s0, -1, 0
	s_delay_alu instid0(SALU_CYCLE_1)
	s_xor_b32 s60, s0, -1
	v_cmpx_gt_i32_e64 s63, v47
	s_cbranch_execnz .LBB23_5
; %bb.2:
	s_or_b32 exec_lo, exec_lo, s65
	s_delay_alu instid0(SALU_CYCLE_1)
	s_mov_b32 s65, exec_lo
	v_cmpx_gt_i32_e64 s63, v47
	s_cbranch_execnz .LBB23_20
.LBB23_3:
	s_or_b32 exec_lo, exec_lo, s65
	s_delay_alu instid0(SALU_CYCLE_1)
	s_mov_b32 s65, exec_lo
	v_cmpx_gt_i32_e64 s63, v47
	s_cbranch_execnz .LBB23_35
.LBB23_4:
	s_or_b32 exec_lo, exec_lo, s65
	v_cmp_gt_i32_e32 vcc_lo, s63, v47
	s_and_saveexec_b32 s63, vcc_lo
	s_cbranch_execnz .LBB23_50
	s_branch .LBB23_65
.LBB23_5:
	s_and_not1_b32 vcc_lo, exec_lo, s58
	s_cbranch_vccnz .LBB23_11
; %bb.6:
	v_dual_mov_b32 v43, 0 :: v_dual_mov_b32 v0, 0
	v_mov_b32_e32 v1, 0
	s_and_not1_b32 vcc_lo, exec_lo, s64
	s_mov_b32 s2, 0
	s_cbranch_vccnz .LBB23_12
; %bb.7:
	s_add_i32 s0, s62, 1
	v_dual_mov_b32 v0, 0 :: v_dual_mov_b32 v1, 0
	v_dual_mov_b32 v43, 0 :: v_dual_mov_b32 v2, v47
	s_and_b32 s3, s0, 30
	s_add_u32 s0, s36, 0xffffffec
	s_addc_u32 s1, s37, -1
	s_set_inst_prefetch_distance 0x1
	.p2align	6
.LBB23_8:                               ; =>This Inner Loop Header: Depth=1
	s_clause 0x2
	s_load_b128 s[4:7], s[0:1], 0x18
	s_load_b64 s[12:13], s[0:1], 0x28
	s_load_b128 s[8:11], s[0:1], 0xd8
	s_waitcnt lgkmcnt(0)
	v_mul_hi_u32 v3, s5, v2
	s_delay_alu instid0(VALU_DEP_1) | instskip(NEXT) | instid1(VALU_DEP_1)
	v_add_nc_u32_e32 v3, v2, v3
	v_lshrrev_b32_e32 v3, s6, v3
	s_delay_alu instid0(VALU_DEP_1)
	v_mul_hi_u32 v4, s12, v3
	v_mul_lo_u32 v5, v3, s4
	s_load_b64 s[4:5], s[0:1], 0xe8
	s_add_u32 s0, s0, 24
	s_addc_u32 s1, s1, 0
	s_add_i32 s3, s3, -2
	s_delay_alu instid0(SALU_CYCLE_1) | instskip(NEXT) | instid1(VALU_DEP_2)
	s_cmp_lg_u32 s3, 0
	v_add_nc_u32_e32 v4, v3, v4
	s_delay_alu instid0(VALU_DEP_2) | instskip(NEXT) | instid1(VALU_DEP_2)
	v_sub_nc_u32_e32 v5, v2, v5
	v_lshrrev_b32_e32 v2, s13, v4
	s_delay_alu instid0(VALU_DEP_2) | instskip(NEXT) | instid1(VALU_DEP_2)
	v_mul_lo_u32 v6, v5, s8
	v_mul_lo_u32 v4, v2, s7
	s_delay_alu instid0(VALU_DEP_1) | instskip(SKIP_2) | instid1(VALU_DEP_3)
	v_sub_nc_u32_e32 v3, v3, v4
	v_mul_lo_u32 v4, v5, s9
	v_mul_lo_u32 v5, v5, s10
	v_mul_lo_u32 v7, v3, s11
	s_waitcnt lgkmcnt(0)
	v_mul_lo_u32 v8, v3, s4
	v_mul_lo_u32 v3, v3, s5
	s_delay_alu instid0(VALU_DEP_3) | instskip(NEXT) | instid1(VALU_DEP_3)
	v_add3_u32 v43, v6, v43, v7
	v_add3_u32 v1, v4, v1, v8
	s_delay_alu instid0(VALU_DEP_3)
	v_add3_u32 v0, v5, v0, v3
	s_cbranch_scc1 .LBB23_8
; %bb.9:
	s_set_inst_prefetch_distance 0x2
	s_bitcmp1_b32 s62, 0
	s_cselect_b32 s3, -1, 0
	s_delay_alu instid0(SALU_CYCLE_1)
	s_and_b32 vcc_lo, exec_lo, s3
	s_cbranch_vccnz .LBB23_12
; %bb.10:
	s_clause 0x3
	s_load_b64 s[4:5], s[0:1], 0x18
	s_load_b32 s3, s[0:1], 0x20
	s_load_b64 s[6:7], s[0:1], 0xd8
	s_load_b32 s0, s[0:1], 0xe0
	s_waitcnt lgkmcnt(0)
	v_mul_hi_u32 v3, s5, v2
	s_delay_alu instid0(VALU_DEP_1) | instskip(NEXT) | instid1(VALU_DEP_1)
	v_add_nc_u32_e32 v3, v2, v3
	v_lshrrev_b32_e32 v3, s3, v3
	s_delay_alu instid0(VALU_DEP_1) | instskip(NEXT) | instid1(VALU_DEP_1)
	v_mul_lo_u32 v3, v3, s4
	v_sub_nc_u32_e32 v6, v2, v3
	s_delay_alu instid0(VALU_DEP_1) | instskip(NEXT) | instid1(VALU_DEP_1)
	v_mad_u64_u32 v[2:3], null, v6, s6, v[43:44]
	v_mad_u64_u32 v[3:4], null, v6, s7, v[1:2]
	;; [unrolled: 1-line block ×3, first 2 shown]
	v_mov_b32_e32 v43, v2
	s_delay_alu instid0(VALU_DEP_2)
	v_dual_mov_b32 v1, v3 :: v_dual_mov_b32 v0, v4
	s_branch .LBB23_12
.LBB23_11:
	s_mov_b32 s2, -1
                                        ; implicit-def: $vgpr43
                                        ; implicit-def: $vgpr1
                                        ; implicit-def: $vgpr0
.LBB23_12:
	s_delay_alu instid0(SALU_CYCLE_1)
	s_and_not1_b32 vcc_lo, exec_lo, s2
	s_cbranch_vccnz .LBB23_15
; %bb.13:
	v_mul_hi_u32 v0, s49, v47
	s_and_not1_b32 vcc_lo, exec_lo, s61
	s_delay_alu instid0(VALU_DEP_1) | instskip(NEXT) | instid1(VALU_DEP_1)
	v_add_nc_u32_e32 v0, v47, v0
	v_lshrrev_b32_e32 v2, s50, v0
	s_delay_alu instid0(VALU_DEP_1) | instskip(NEXT) | instid1(VALU_DEP_1)
	v_mul_lo_u32 v0, v2, s48
	v_sub_nc_u32_e32 v0, v47, v0
	s_delay_alu instid0(VALU_DEP_1)
	v_mul_lo_u32 v43, v0, s44
	v_mul_lo_u32 v1, v0, s45
	v_mul_lo_u32 v0, v0, s46
	s_cbranch_vccnz .LBB23_15
; %bb.14:
	v_mul_hi_u32 v3, s54, v2
	s_delay_alu instid0(VALU_DEP_1) | instskip(NEXT) | instid1(VALU_DEP_1)
	v_add_nc_u32_e32 v3, v2, v3
	v_lshrrev_b32_e32 v3, s55, v3
	s_delay_alu instid0(VALU_DEP_1) | instskip(NEXT) | instid1(VALU_DEP_1)
	v_mul_lo_u32 v3, v3, s51
	v_sub_nc_u32_e32 v6, v2, v3
	s_delay_alu instid0(VALU_DEP_1) | instskip(NEXT) | instid1(VALU_DEP_1)
	v_mad_u64_u32 v[2:3], null, v6, s47, v[43:44]
	v_mad_u64_u32 v[3:4], null, v6, s52, v[1:2]
	;; [unrolled: 1-line block ×3, first 2 shown]
	v_mov_b32_e32 v43, v2
	s_delay_alu instid0(VALU_DEP_2)
	v_dual_mov_b32 v1, v3 :: v_dual_mov_b32 v0, v4
.LBB23_15:
	global_load_b32 v40, v1, s[42:43]
	global_load_b32 v42, v0, s[38:39]
	s_and_b32 vcc_lo, exec_lo, s60
	s_cbranch_vccz .LBB23_17
; %bb.16:
	s_waitcnt vmcnt(0)
	v_dual_mov_b32 v0, v40 :: v_dual_mov_b32 v1, v42
	s_getpc_b64 s[0:1]
	s_add_u32 s0, s0, _ZN12_GLOBAL__N_111calc_igammaIfEET_S1_S1_@rel32@lo+4
	s_addc_u32 s1, s1, _ZN12_GLOBAL__N_111calc_igammaIfEET_S1_S1_@rel32@hi+12
	s_delay_alu instid0(SALU_CYCLE_1)
	s_swappc_b64 s[30:31], s[0:1]
	s_cbranch_execz .LBB23_18
	s_branch .LBB23_19
.LBB23_17:
                                        ; implicit-def: $vgpr0
.LBB23_18:
	s_waitcnt vmcnt(0)
	v_dual_mov_b32 v0, v40 :: v_dual_mov_b32 v1, v42
	s_getpc_b64 s[0:1]
	s_add_u32 s0, s0, _ZN12_GLOBAL__N_112calc_igammacIfEET_S1_S1_@rel32@lo+4
	s_addc_u32 s1, s1, _ZN12_GLOBAL__N_112calc_igammacIfEET_S1_S1_@rel32@hi+12
	s_delay_alu instid0(SALU_CYCLE_1)
	s_swappc_b64 s[30:31], s[0:1]
.LBB23_19:
	v_add_nc_u32_e32 v47, 0x80, v47
	global_store_b32 v43, v0, s[40:41]
	s_or_b32 exec_lo, exec_lo, s65
	s_delay_alu instid0(SALU_CYCLE_1)
	s_mov_b32 s65, exec_lo
	v_cmpx_gt_i32_e64 s63, v47
	s_cbranch_execz .LBB23_3
.LBB23_20:
	s_and_not1_b32 vcc_lo, exec_lo, s58
	s_cbranch_vccnz .LBB23_26
; %bb.21:
	v_dual_mov_b32 v43, 0 :: v_dual_mov_b32 v0, 0
	v_mov_b32_e32 v1, 0
	s_and_not1_b32 vcc_lo, exec_lo, s64
	s_mov_b32 s2, 0
	s_cbranch_vccnz .LBB23_27
; %bb.22:
	s_add_i32 s0, s62, 1
	v_dual_mov_b32 v0, 0 :: v_dual_mov_b32 v1, 0
	v_dual_mov_b32 v43, 0 :: v_dual_mov_b32 v2, v47
	s_and_b32 s3, s0, 30
	s_add_u32 s0, s36, 0xffffffec
	s_addc_u32 s1, s37, -1
	s_set_inst_prefetch_distance 0x1
	.p2align	6
.LBB23_23:                              ; =>This Inner Loop Header: Depth=1
	s_clause 0x2
	s_load_b128 s[4:7], s[0:1], 0x18
	s_load_b64 s[12:13], s[0:1], 0x28
	s_load_b128 s[8:11], s[0:1], 0xd8
	s_waitcnt lgkmcnt(0)
	v_mul_hi_u32 v3, s5, v2
	s_delay_alu instid0(VALU_DEP_1) | instskip(NEXT) | instid1(VALU_DEP_1)
	v_add_nc_u32_e32 v3, v2, v3
	v_lshrrev_b32_e32 v3, s6, v3
	s_delay_alu instid0(VALU_DEP_1)
	v_mul_hi_u32 v4, s12, v3
	v_mul_lo_u32 v5, v3, s4
	s_load_b64 s[4:5], s[0:1], 0xe8
	s_add_u32 s0, s0, 24
	s_addc_u32 s1, s1, 0
	s_add_i32 s3, s3, -2
	s_delay_alu instid0(SALU_CYCLE_1) | instskip(NEXT) | instid1(VALU_DEP_2)
	s_cmp_eq_u32 s3, 0
	v_add_nc_u32_e32 v4, v3, v4
	s_delay_alu instid0(VALU_DEP_2) | instskip(NEXT) | instid1(VALU_DEP_2)
	v_sub_nc_u32_e32 v5, v2, v5
	v_lshrrev_b32_e32 v2, s13, v4
	s_delay_alu instid0(VALU_DEP_2) | instskip(NEXT) | instid1(VALU_DEP_2)
	v_mul_lo_u32 v6, v5, s8
	v_mul_lo_u32 v4, v2, s7
	s_delay_alu instid0(VALU_DEP_1) | instskip(SKIP_2) | instid1(VALU_DEP_3)
	v_sub_nc_u32_e32 v3, v3, v4
	v_mul_lo_u32 v4, v5, s9
	v_mul_lo_u32 v5, v5, s10
	;; [unrolled: 1-line block ×3, first 2 shown]
	s_waitcnt lgkmcnt(0)
	v_mul_lo_u32 v8, v3, s4
	v_mul_lo_u32 v3, v3, s5
	s_delay_alu instid0(VALU_DEP_3) | instskip(NEXT) | instid1(VALU_DEP_3)
	v_add3_u32 v43, v6, v43, v7
	v_add3_u32 v1, v4, v1, v8
	s_delay_alu instid0(VALU_DEP_3)
	v_add3_u32 v0, v5, v0, v3
	s_cbranch_scc0 .LBB23_23
; %bb.24:
	s_set_inst_prefetch_distance 0x2
	s_bitcmp1_b32 s62, 0
	s_cselect_b32 s3, -1, 0
	s_delay_alu instid0(SALU_CYCLE_1)
	s_and_b32 vcc_lo, exec_lo, s3
	s_cbranch_vccnz .LBB23_27
; %bb.25:
	s_clause 0x3
	s_load_b64 s[4:5], s[0:1], 0x18
	s_load_b32 s3, s[0:1], 0x20
	s_load_b64 s[6:7], s[0:1], 0xd8
	s_load_b32 s0, s[0:1], 0xe0
	s_waitcnt lgkmcnt(0)
	v_mul_hi_u32 v3, s5, v2
	s_delay_alu instid0(VALU_DEP_1) | instskip(NEXT) | instid1(VALU_DEP_1)
	v_add_nc_u32_e32 v3, v2, v3
	v_lshrrev_b32_e32 v3, s3, v3
	s_delay_alu instid0(VALU_DEP_1) | instskip(NEXT) | instid1(VALU_DEP_1)
	v_mul_lo_u32 v3, v3, s4
	v_sub_nc_u32_e32 v6, v2, v3
	s_delay_alu instid0(VALU_DEP_1) | instskip(NEXT) | instid1(VALU_DEP_1)
	v_mad_u64_u32 v[2:3], null, v6, s6, v[43:44]
	v_mad_u64_u32 v[3:4], null, v6, s7, v[1:2]
	;; [unrolled: 1-line block ×3, first 2 shown]
	v_mov_b32_e32 v43, v2
	s_delay_alu instid0(VALU_DEP_2)
	v_dual_mov_b32 v1, v3 :: v_dual_mov_b32 v0, v4
	s_branch .LBB23_27
.LBB23_26:
	s_mov_b32 s2, -1
                                        ; implicit-def: $vgpr43
                                        ; implicit-def: $vgpr1
                                        ; implicit-def: $vgpr0
.LBB23_27:
	s_delay_alu instid0(SALU_CYCLE_1)
	s_and_not1_b32 vcc_lo, exec_lo, s2
	s_cbranch_vccnz .LBB23_30
; %bb.28:
	v_mul_hi_u32 v0, s49, v47
	s_and_not1_b32 vcc_lo, exec_lo, s61
	s_delay_alu instid0(VALU_DEP_1) | instskip(NEXT) | instid1(VALU_DEP_1)
	v_add_nc_u32_e32 v0, v47, v0
	v_lshrrev_b32_e32 v2, s50, v0
	s_delay_alu instid0(VALU_DEP_1) | instskip(NEXT) | instid1(VALU_DEP_1)
	v_mul_lo_u32 v0, v2, s48
	v_sub_nc_u32_e32 v0, v47, v0
	s_delay_alu instid0(VALU_DEP_1)
	v_mul_lo_u32 v43, v0, s44
	v_mul_lo_u32 v1, v0, s45
	;; [unrolled: 1-line block ×3, first 2 shown]
	s_cbranch_vccnz .LBB23_30
; %bb.29:
	v_mul_hi_u32 v3, s54, v2
	s_delay_alu instid0(VALU_DEP_1) | instskip(NEXT) | instid1(VALU_DEP_1)
	v_add_nc_u32_e32 v3, v2, v3
	v_lshrrev_b32_e32 v3, s55, v3
	s_delay_alu instid0(VALU_DEP_1) | instskip(NEXT) | instid1(VALU_DEP_1)
	v_mul_lo_u32 v3, v3, s51
	v_sub_nc_u32_e32 v6, v2, v3
	s_delay_alu instid0(VALU_DEP_1) | instskip(NEXT) | instid1(VALU_DEP_1)
	v_mad_u64_u32 v[2:3], null, v6, s47, v[43:44]
	v_mad_u64_u32 v[3:4], null, v6, s52, v[1:2]
	;; [unrolled: 1-line block ×3, first 2 shown]
	v_mov_b32_e32 v43, v2
	s_delay_alu instid0(VALU_DEP_2)
	v_dual_mov_b32 v1, v3 :: v_dual_mov_b32 v0, v4
.LBB23_30:
	global_load_b32 v40, v1, s[42:43]
	global_load_b32 v42, v0, s[38:39]
	s_and_not1_b32 vcc_lo, exec_lo, s60
	s_cbranch_vccnz .LBB23_32
; %bb.31:
	s_waitcnt vmcnt(0)
	v_dual_mov_b32 v0, v40 :: v_dual_mov_b32 v1, v42
	s_getpc_b64 s[0:1]
	s_add_u32 s0, s0, _ZN12_GLOBAL__N_111calc_igammaIfEET_S1_S1_@rel32@lo+4
	s_addc_u32 s1, s1, _ZN12_GLOBAL__N_111calc_igammaIfEET_S1_S1_@rel32@hi+12
	s_delay_alu instid0(SALU_CYCLE_1)
	s_swappc_b64 s[30:31], s[0:1]
	s_cbranch_execz .LBB23_33
	s_branch .LBB23_34
.LBB23_32:
                                        ; implicit-def: $vgpr0
.LBB23_33:
	s_waitcnt vmcnt(0)
	v_dual_mov_b32 v0, v40 :: v_dual_mov_b32 v1, v42
	s_getpc_b64 s[0:1]
	s_add_u32 s0, s0, _ZN12_GLOBAL__N_112calc_igammacIfEET_S1_S1_@rel32@lo+4
	s_addc_u32 s1, s1, _ZN12_GLOBAL__N_112calc_igammacIfEET_S1_S1_@rel32@hi+12
	s_delay_alu instid0(SALU_CYCLE_1)
	s_swappc_b64 s[30:31], s[0:1]
.LBB23_34:
	v_add_nc_u32_e32 v47, 0x80, v47
	global_store_b32 v43, v0, s[40:41]
	s_or_b32 exec_lo, exec_lo, s65
	s_delay_alu instid0(SALU_CYCLE_1)
	s_mov_b32 s65, exec_lo
	v_cmpx_gt_i32_e64 s63, v47
	s_cbranch_execz .LBB23_4
.LBB23_35:
	s_and_not1_b32 vcc_lo, exec_lo, s58
	s_cbranch_vccnz .LBB23_41
; %bb.36:
	v_dual_mov_b32 v43, 0 :: v_dual_mov_b32 v0, 0
	v_mov_b32_e32 v1, 0
	s_and_not1_b32 vcc_lo, exec_lo, s64
	s_mov_b32 s2, 0
	s_cbranch_vccnz .LBB23_42
; %bb.37:
	s_add_i32 s0, s62, 1
	v_dual_mov_b32 v0, 0 :: v_dual_mov_b32 v1, 0
	v_dual_mov_b32 v43, 0 :: v_dual_mov_b32 v2, v47
	s_and_b32 s3, s0, 30
	s_add_u32 s0, s36, 0xffffffec
	s_addc_u32 s1, s37, -1
	s_set_inst_prefetch_distance 0x1
	.p2align	6
.LBB23_38:                              ; =>This Inner Loop Header: Depth=1
	s_clause 0x2
	s_load_b128 s[4:7], s[0:1], 0x18
	s_load_b64 s[12:13], s[0:1], 0x28
	s_load_b128 s[8:11], s[0:1], 0xd8
	s_waitcnt lgkmcnt(0)
	v_mul_hi_u32 v3, s5, v2
	s_delay_alu instid0(VALU_DEP_1) | instskip(NEXT) | instid1(VALU_DEP_1)
	v_add_nc_u32_e32 v3, v2, v3
	v_lshrrev_b32_e32 v3, s6, v3
	s_delay_alu instid0(VALU_DEP_1)
	v_mul_hi_u32 v4, s12, v3
	v_mul_lo_u32 v5, v3, s4
	s_load_b64 s[4:5], s[0:1], 0xe8
	s_add_u32 s0, s0, 24
	s_addc_u32 s1, s1, 0
	s_add_i32 s3, s3, -2
	s_delay_alu instid0(SALU_CYCLE_1) | instskip(NEXT) | instid1(VALU_DEP_2)
	s_cmp_eq_u32 s3, 0
	v_add_nc_u32_e32 v4, v3, v4
	s_delay_alu instid0(VALU_DEP_2) | instskip(NEXT) | instid1(VALU_DEP_2)
	v_sub_nc_u32_e32 v5, v2, v5
	v_lshrrev_b32_e32 v2, s13, v4
	s_delay_alu instid0(VALU_DEP_2) | instskip(NEXT) | instid1(VALU_DEP_2)
	v_mul_lo_u32 v6, v5, s8
	v_mul_lo_u32 v4, v2, s7
	s_delay_alu instid0(VALU_DEP_1) | instskip(SKIP_2) | instid1(VALU_DEP_3)
	v_sub_nc_u32_e32 v3, v3, v4
	v_mul_lo_u32 v4, v5, s9
	v_mul_lo_u32 v5, v5, s10
	;; [unrolled: 1-line block ×3, first 2 shown]
	s_waitcnt lgkmcnt(0)
	v_mul_lo_u32 v8, v3, s4
	v_mul_lo_u32 v3, v3, s5
	s_delay_alu instid0(VALU_DEP_3) | instskip(NEXT) | instid1(VALU_DEP_3)
	v_add3_u32 v43, v6, v43, v7
	v_add3_u32 v1, v4, v1, v8
	s_delay_alu instid0(VALU_DEP_3)
	v_add3_u32 v0, v5, v0, v3
	s_cbranch_scc0 .LBB23_38
; %bb.39:
	s_set_inst_prefetch_distance 0x2
	s_bitcmp1_b32 s62, 0
	s_cselect_b32 s3, -1, 0
	s_delay_alu instid0(SALU_CYCLE_1)
	s_and_b32 vcc_lo, exec_lo, s3
	s_cbranch_vccnz .LBB23_42
; %bb.40:
	s_clause 0x3
	s_load_b64 s[4:5], s[0:1], 0x18
	s_load_b32 s3, s[0:1], 0x20
	s_load_b64 s[6:7], s[0:1], 0xd8
	s_load_b32 s0, s[0:1], 0xe0
	s_waitcnt lgkmcnt(0)
	v_mul_hi_u32 v3, s5, v2
	s_delay_alu instid0(VALU_DEP_1) | instskip(NEXT) | instid1(VALU_DEP_1)
	v_add_nc_u32_e32 v3, v2, v3
	v_lshrrev_b32_e32 v3, s3, v3
	s_delay_alu instid0(VALU_DEP_1) | instskip(NEXT) | instid1(VALU_DEP_1)
	v_mul_lo_u32 v3, v3, s4
	v_sub_nc_u32_e32 v6, v2, v3
	s_delay_alu instid0(VALU_DEP_1) | instskip(NEXT) | instid1(VALU_DEP_1)
	v_mad_u64_u32 v[2:3], null, v6, s6, v[43:44]
	v_mad_u64_u32 v[3:4], null, v6, s7, v[1:2]
	;; [unrolled: 1-line block ×3, first 2 shown]
	v_mov_b32_e32 v43, v2
	s_delay_alu instid0(VALU_DEP_2)
	v_dual_mov_b32 v1, v3 :: v_dual_mov_b32 v0, v4
	s_branch .LBB23_42
.LBB23_41:
	s_mov_b32 s2, -1
                                        ; implicit-def: $vgpr43
                                        ; implicit-def: $vgpr1
                                        ; implicit-def: $vgpr0
.LBB23_42:
	s_delay_alu instid0(SALU_CYCLE_1)
	s_and_not1_b32 vcc_lo, exec_lo, s2
	s_cbranch_vccnz .LBB23_45
; %bb.43:
	v_mul_hi_u32 v0, s49, v47
	s_and_not1_b32 vcc_lo, exec_lo, s61
	s_delay_alu instid0(VALU_DEP_1) | instskip(NEXT) | instid1(VALU_DEP_1)
	v_add_nc_u32_e32 v0, v47, v0
	v_lshrrev_b32_e32 v2, s50, v0
	s_delay_alu instid0(VALU_DEP_1) | instskip(NEXT) | instid1(VALU_DEP_1)
	v_mul_lo_u32 v0, v2, s48
	v_sub_nc_u32_e32 v0, v47, v0
	s_delay_alu instid0(VALU_DEP_1)
	v_mul_lo_u32 v43, v0, s44
	v_mul_lo_u32 v1, v0, s45
	;; [unrolled: 1-line block ×3, first 2 shown]
	s_cbranch_vccnz .LBB23_45
; %bb.44:
	v_mul_hi_u32 v3, s54, v2
	s_delay_alu instid0(VALU_DEP_1) | instskip(NEXT) | instid1(VALU_DEP_1)
	v_add_nc_u32_e32 v3, v2, v3
	v_lshrrev_b32_e32 v3, s55, v3
	s_delay_alu instid0(VALU_DEP_1) | instskip(NEXT) | instid1(VALU_DEP_1)
	v_mul_lo_u32 v3, v3, s51
	v_sub_nc_u32_e32 v6, v2, v3
	s_delay_alu instid0(VALU_DEP_1) | instskip(NEXT) | instid1(VALU_DEP_1)
	v_mad_u64_u32 v[2:3], null, v6, s47, v[43:44]
	v_mad_u64_u32 v[3:4], null, v6, s52, v[1:2]
	;; [unrolled: 1-line block ×3, first 2 shown]
	v_mov_b32_e32 v43, v2
	s_delay_alu instid0(VALU_DEP_2)
	v_dual_mov_b32 v1, v3 :: v_dual_mov_b32 v0, v4
.LBB23_45:
	global_load_b32 v40, v1, s[42:43]
	global_load_b32 v42, v0, s[38:39]
	s_and_not1_b32 vcc_lo, exec_lo, s60
	s_cbranch_vccnz .LBB23_47
; %bb.46:
	s_waitcnt vmcnt(0)
	v_dual_mov_b32 v0, v40 :: v_dual_mov_b32 v1, v42
	s_getpc_b64 s[0:1]
	s_add_u32 s0, s0, _ZN12_GLOBAL__N_111calc_igammaIfEET_S1_S1_@rel32@lo+4
	s_addc_u32 s1, s1, _ZN12_GLOBAL__N_111calc_igammaIfEET_S1_S1_@rel32@hi+12
	s_delay_alu instid0(SALU_CYCLE_1)
	s_swappc_b64 s[30:31], s[0:1]
	s_cbranch_execz .LBB23_48
	s_branch .LBB23_49
.LBB23_47:
                                        ; implicit-def: $vgpr0
.LBB23_48:
	s_waitcnt vmcnt(0)
	v_dual_mov_b32 v0, v40 :: v_dual_mov_b32 v1, v42
	s_getpc_b64 s[0:1]
	s_add_u32 s0, s0, _ZN12_GLOBAL__N_112calc_igammacIfEET_S1_S1_@rel32@lo+4
	s_addc_u32 s1, s1, _ZN12_GLOBAL__N_112calc_igammacIfEET_S1_S1_@rel32@hi+12
	s_delay_alu instid0(SALU_CYCLE_1)
	s_swappc_b64 s[30:31], s[0:1]
.LBB23_49:
	v_add_nc_u32_e32 v47, 0x80, v47
	global_store_b32 v43, v0, s[40:41]
	s_or_b32 exec_lo, exec_lo, s65
	v_cmp_gt_i32_e32 vcc_lo, s63, v47
	s_and_saveexec_b32 s63, vcc_lo
	s_cbranch_execz .LBB23_65
.LBB23_50:
	s_and_not1_b32 vcc_lo, exec_lo, s58
	s_cbranch_vccnz .LBB23_56
; %bb.51:
	v_dual_mov_b32 v43, 0 :: v_dual_mov_b32 v0, 0
	v_mov_b32_e32 v1, 0
	s_and_not1_b32 vcc_lo, exec_lo, s64
	s_mov_b32 s2, 0
	s_cbranch_vccnz .LBB23_57
; %bb.52:
	s_add_i32 s0, s62, 1
	v_dual_mov_b32 v0, 0 :: v_dual_mov_b32 v1, 0
	v_dual_mov_b32 v43, 0 :: v_dual_mov_b32 v2, v47
	s_and_b32 s3, s0, 30
	s_add_u32 s0, s36, 0xffffffec
	s_addc_u32 s1, s37, -1
	s_set_inst_prefetch_distance 0x1
	.p2align	6
.LBB23_53:                              ; =>This Inner Loop Header: Depth=1
	s_clause 0x2
	s_load_b128 s[4:7], s[0:1], 0x18
	s_load_b64 s[12:13], s[0:1], 0x28
	s_load_b128 s[8:11], s[0:1], 0xd8
	s_waitcnt lgkmcnt(0)
	v_mul_hi_u32 v3, s5, v2
	s_delay_alu instid0(VALU_DEP_1) | instskip(NEXT) | instid1(VALU_DEP_1)
	v_add_nc_u32_e32 v3, v2, v3
	v_lshrrev_b32_e32 v3, s6, v3
	s_delay_alu instid0(VALU_DEP_1)
	v_mul_hi_u32 v4, s12, v3
	v_mul_lo_u32 v5, v3, s4
	s_load_b64 s[4:5], s[0:1], 0xe8
	s_add_u32 s0, s0, 24
	s_addc_u32 s1, s1, 0
	s_add_i32 s3, s3, -2
	s_delay_alu instid0(SALU_CYCLE_1) | instskip(NEXT) | instid1(VALU_DEP_2)
	s_cmp_eq_u32 s3, 0
	v_add_nc_u32_e32 v4, v3, v4
	s_delay_alu instid0(VALU_DEP_2) | instskip(NEXT) | instid1(VALU_DEP_2)
	v_sub_nc_u32_e32 v5, v2, v5
	v_lshrrev_b32_e32 v2, s13, v4
	s_delay_alu instid0(VALU_DEP_2) | instskip(NEXT) | instid1(VALU_DEP_2)
	v_mul_lo_u32 v6, v5, s8
	v_mul_lo_u32 v4, v2, s7
	s_delay_alu instid0(VALU_DEP_1) | instskip(SKIP_2) | instid1(VALU_DEP_3)
	v_sub_nc_u32_e32 v3, v3, v4
	v_mul_lo_u32 v4, v5, s9
	v_mul_lo_u32 v5, v5, s10
	;; [unrolled: 1-line block ×3, first 2 shown]
	s_waitcnt lgkmcnt(0)
	v_mul_lo_u32 v8, v3, s4
	v_mul_lo_u32 v3, v3, s5
	s_delay_alu instid0(VALU_DEP_3) | instskip(NEXT) | instid1(VALU_DEP_3)
	v_add3_u32 v43, v6, v43, v7
	v_add3_u32 v1, v4, v1, v8
	s_delay_alu instid0(VALU_DEP_3)
	v_add3_u32 v0, v5, v0, v3
	s_cbranch_scc0 .LBB23_53
; %bb.54:
	s_set_inst_prefetch_distance 0x2
	s_bitcmp1_b32 s62, 0
	s_cselect_b32 s3, -1, 0
	s_delay_alu instid0(SALU_CYCLE_1)
	s_and_b32 vcc_lo, exec_lo, s3
	s_cbranch_vccnz .LBB23_57
; %bb.55:
	s_clause 0x3
	s_load_b64 s[4:5], s[0:1], 0x18
	s_load_b32 s3, s[0:1], 0x20
	s_load_b64 s[6:7], s[0:1], 0xd8
	s_load_b32 s0, s[0:1], 0xe0
	s_waitcnt lgkmcnt(0)
	v_mul_hi_u32 v3, s5, v2
	s_delay_alu instid0(VALU_DEP_1) | instskip(NEXT) | instid1(VALU_DEP_1)
	v_add_nc_u32_e32 v3, v2, v3
	v_lshrrev_b32_e32 v3, s3, v3
	s_delay_alu instid0(VALU_DEP_1) | instskip(NEXT) | instid1(VALU_DEP_1)
	v_mul_lo_u32 v3, v3, s4
	v_sub_nc_u32_e32 v6, v2, v3
	s_delay_alu instid0(VALU_DEP_1) | instskip(NEXT) | instid1(VALU_DEP_1)
	v_mad_u64_u32 v[2:3], null, v6, s6, v[43:44]
	v_mad_u64_u32 v[3:4], null, v6, s7, v[1:2]
	;; [unrolled: 1-line block ×3, first 2 shown]
	v_mov_b32_e32 v43, v2
	s_delay_alu instid0(VALU_DEP_2)
	v_dual_mov_b32 v1, v3 :: v_dual_mov_b32 v0, v4
	s_branch .LBB23_57
.LBB23_56:
	s_mov_b32 s2, -1
                                        ; implicit-def: $vgpr43
                                        ; implicit-def: $vgpr1
                                        ; implicit-def: $vgpr0
.LBB23_57:
	s_delay_alu instid0(SALU_CYCLE_1)
	s_and_not1_b32 vcc_lo, exec_lo, s2
	s_cbranch_vccnz .LBB23_60
; %bb.58:
	v_mul_hi_u32 v0, s49, v47
	s_and_not1_b32 vcc_lo, exec_lo, s61
	s_delay_alu instid0(VALU_DEP_1) | instskip(NEXT) | instid1(VALU_DEP_1)
	v_add_nc_u32_e32 v0, v47, v0
	v_lshrrev_b32_e32 v2, s50, v0
	s_delay_alu instid0(VALU_DEP_1) | instskip(NEXT) | instid1(VALU_DEP_1)
	v_mul_lo_u32 v0, v2, s48
	v_sub_nc_u32_e32 v0, v47, v0
	s_delay_alu instid0(VALU_DEP_1)
	v_mul_lo_u32 v43, v0, s44
	v_mul_lo_u32 v1, v0, s45
	;; [unrolled: 1-line block ×3, first 2 shown]
	s_cbranch_vccnz .LBB23_60
; %bb.59:
	v_mul_hi_u32 v3, s54, v2
	s_delay_alu instid0(VALU_DEP_1) | instskip(NEXT) | instid1(VALU_DEP_1)
	v_add_nc_u32_e32 v3, v2, v3
	v_lshrrev_b32_e32 v3, s55, v3
	s_delay_alu instid0(VALU_DEP_1) | instskip(NEXT) | instid1(VALU_DEP_1)
	v_mul_lo_u32 v3, v3, s51
	v_sub_nc_u32_e32 v6, v2, v3
	s_delay_alu instid0(VALU_DEP_1) | instskip(NEXT) | instid1(VALU_DEP_1)
	v_mad_u64_u32 v[2:3], null, v6, s47, v[43:44]
	v_mad_u64_u32 v[3:4], null, v6, s52, v[1:2]
	;; [unrolled: 1-line block ×3, first 2 shown]
	v_mov_b32_e32 v43, v2
	s_delay_alu instid0(VALU_DEP_2)
	v_dual_mov_b32 v1, v3 :: v_dual_mov_b32 v0, v4
.LBB23_60:
	global_load_b32 v40, v1, s[42:43]
	global_load_b32 v42, v0, s[38:39]
	s_and_not1_b32 vcc_lo, exec_lo, s60
	s_cbranch_vccnz .LBB23_62
; %bb.61:
	s_waitcnt vmcnt(0)
	v_dual_mov_b32 v0, v40 :: v_dual_mov_b32 v1, v42
	s_getpc_b64 s[0:1]
	s_add_u32 s0, s0, _ZN12_GLOBAL__N_111calc_igammaIfEET_S1_S1_@rel32@lo+4
	s_addc_u32 s1, s1, _ZN12_GLOBAL__N_111calc_igammaIfEET_S1_S1_@rel32@hi+12
	s_delay_alu instid0(SALU_CYCLE_1)
	s_swappc_b64 s[30:31], s[0:1]
	s_cbranch_execz .LBB23_63
	s_branch .LBB23_64
.LBB23_62:
                                        ; implicit-def: $vgpr0
.LBB23_63:
	s_waitcnt vmcnt(0)
	v_dual_mov_b32 v0, v40 :: v_dual_mov_b32 v1, v42
	s_getpc_b64 s[0:1]
	s_add_u32 s0, s0, _ZN12_GLOBAL__N_112calc_igammacIfEET_S1_S1_@rel32@lo+4
	s_addc_u32 s1, s1, _ZN12_GLOBAL__N_112calc_igammacIfEET_S1_S1_@rel32@hi+12
	s_delay_alu instid0(SALU_CYCLE_1)
	s_swappc_b64 s[30:31], s[0:1]
.LBB23_64:
	global_store_b32 v43, v0, s[40:41]
.LBB23_65:
	s_or_b32 exec_lo, exec_lo, s63
                                        ; implicit-def: $vgpr2
                                        ; implicit-def: $vgpr47
.LBB23_66:
	s_and_not1_saveexec_b32 s0, s59
	s_cbranch_execz .LBB23_73
; %bb.67:
	v_cndmask_b32_e64 v3, 0, 1, s58
	s_and_not1_b32 vcc_lo, exec_lo, s58
	s_cbranch_vccnz .LBB23_74
; %bb.68:
	v_dual_mov_b32 v46, 0 :: v_dual_mov_b32 v1, 0
	v_mov_b32_e32 v0, 0
	s_cmp_lg_u32 s56, 0
	s_mov_b32 s2, 0
	s_cbranch_scc0 .LBB23_75
; %bb.69:
	s_min_u32 s3, s57, 15
	v_dual_mov_b32 v0, 0 :: v_dual_mov_b32 v1, 0
	s_add_i32 s0, s3, 1
	v_mov_b32_e32 v46, 0
	v_mov_b32_e32 v4, v47
	s_and_b32 s4, s0, 30
	s_add_u32 s0, s36, 0xffffffec
	s_addc_u32 s1, s37, -1
	s_set_inst_prefetch_distance 0x1
	.p2align	6
.LBB23_70:                              ; =>This Inner Loop Header: Depth=1
	s_clause 0x2
	s_load_b128 s[8:11], s[0:1], 0x18
	s_load_b64 s[6:7], s[0:1], 0x28
	s_load_b128 s[12:15], s[0:1], 0xd8
	s_waitcnt lgkmcnt(0)
	v_mul_hi_u32 v5, s9, v4
	s_delay_alu instid0(VALU_DEP_1) | instskip(NEXT) | instid1(VALU_DEP_1)
	v_add_nc_u32_e32 v5, v4, v5
	v_lshrrev_b32_e32 v5, s10, v5
	s_delay_alu instid0(VALU_DEP_1)
	v_mul_hi_u32 v6, s6, v5
	v_mul_lo_u32 v7, v5, s8
	s_load_b64 s[8:9], s[0:1], 0xe8
	s_add_u32 s0, s0, 24
	s_addc_u32 s1, s1, 0
	s_add_i32 s4, s4, -2
	s_delay_alu instid0(SALU_CYCLE_1) | instskip(NEXT) | instid1(VALU_DEP_2)
	s_cmp_lg_u32 s4, 0
	v_add_nc_u32_e32 v6, v5, v6
	s_delay_alu instid0(VALU_DEP_2) | instskip(NEXT) | instid1(VALU_DEP_2)
	v_sub_nc_u32_e32 v7, v4, v7
	v_lshrrev_b32_e32 v4, s7, v6
	s_delay_alu instid0(VALU_DEP_2) | instskip(NEXT) | instid1(VALU_DEP_2)
	v_mul_lo_u32 v8, v7, s12
	v_mul_lo_u32 v6, v4, s11
	s_delay_alu instid0(VALU_DEP_1) | instskip(SKIP_2) | instid1(VALU_DEP_3)
	v_sub_nc_u32_e32 v5, v5, v6
	v_mul_lo_u32 v6, v7, s13
	v_mul_lo_u32 v7, v7, s14
	;; [unrolled: 1-line block ×3, first 2 shown]
	s_waitcnt lgkmcnt(0)
	v_mul_lo_u32 v10, v5, s8
	v_mul_lo_u32 v5, v5, s9
	s_delay_alu instid0(VALU_DEP_3) | instskip(NEXT) | instid1(VALU_DEP_3)
	v_add3_u32 v46, v8, v46, v9
	v_add3_u32 v1, v6, v1, v10
	s_delay_alu instid0(VALU_DEP_3)
	v_add3_u32 v0, v7, v0, v5
	s_cbranch_scc1 .LBB23_70
; %bb.71:
	s_set_inst_prefetch_distance 0x2
	s_bitcmp1_b32 s3, 0
	s_cselect_b32 s3, -1, 0
	s_delay_alu instid0(SALU_CYCLE_1)
	s_and_b32 vcc_lo, exec_lo, s3
	s_cbranch_vccnz .LBB23_75
; %bb.72:
	s_clause 0x3
	s_load_b64 s[4:5], s[0:1], 0x18
	s_load_b32 s3, s[0:1], 0x20
	s_load_b64 s[6:7], s[0:1], 0xd8
	s_load_b32 s0, s[0:1], 0xe0
	s_waitcnt lgkmcnt(0)
	v_mul_hi_u32 v5, s5, v4
	s_delay_alu instid0(VALU_DEP_1) | instskip(NEXT) | instid1(VALU_DEP_1)
	v_add_nc_u32_e32 v5, v4, v5
	v_lshrrev_b32_e32 v5, s3, v5
	s_delay_alu instid0(VALU_DEP_1) | instskip(NEXT) | instid1(VALU_DEP_1)
	v_mul_lo_u32 v5, v5, s4
	v_sub_nc_u32_e32 v8, v4, v5
	s_delay_alu instid0(VALU_DEP_1) | instskip(SKIP_2) | instid1(VALU_DEP_2)
	v_mad_u64_u32 v[4:5], null, v8, s6, v[46:47]
	v_mad_u64_u32 v[5:6], null, v8, s7, v[1:2]
	;; [unrolled: 1-line block ×3, first 2 shown]
	v_dual_mov_b32 v46, v4 :: v_dual_mov_b32 v1, v5
	s_delay_alu instid0(VALU_DEP_2)
	v_mov_b32_e32 v0, v6
	s_branch .LBB23_75
.LBB23_73:
	s_endpgm
.LBB23_74:
	s_mov_b32 s2, -1
                                        ; implicit-def: $vgpr46
                                        ; implicit-def: $vgpr1
                                        ; implicit-def: $vgpr0
.LBB23_75:
	s_delay_alu instid0(SALU_CYCLE_1)
	s_and_not1_b32 vcc_lo, exec_lo, s2
	s_cbranch_vccnz .LBB23_78
; %bb.76:
	s_clause 0x1
	s_load_b128 s[0:3], s[36:37], 0x4
	s_load_b128 s[4:7], s[36:37], 0xc4
	s_cmp_lt_u32 s56, 2
	s_waitcnt lgkmcnt(0)
	v_mul_hi_u32 v0, s1, v47
	s_delay_alu instid0(VALU_DEP_1) | instskip(NEXT) | instid1(VALU_DEP_1)
	v_add_nc_u32_e32 v0, v47, v0
	v_lshrrev_b32_e32 v4, s2, v0
	s_delay_alu instid0(VALU_DEP_1) | instskip(NEXT) | instid1(VALU_DEP_1)
	v_mul_lo_u32 v0, v4, s0
	v_sub_nc_u32_e32 v0, v47, v0
	s_delay_alu instid0(VALU_DEP_1)
	v_mul_lo_u32 v46, v0, s4
	v_mul_lo_u32 v1, v0, s5
	;; [unrolled: 1-line block ×3, first 2 shown]
	s_cbranch_scc1 .LBB23_78
; %bb.77:
	s_clause 0x1
	s_load_b128 s[0:3], s[36:37], 0x10
	s_load_b128 s[4:7], s[36:37], 0xd0
	s_waitcnt lgkmcnt(0)
	v_mul_hi_u32 v5, s1, v4
	s_delay_alu instid0(VALU_DEP_1) | instskip(NEXT) | instid1(VALU_DEP_1)
	v_add_nc_u32_e32 v5, v4, v5
	v_lshrrev_b32_e32 v5, s2, v5
	s_delay_alu instid0(VALU_DEP_1) | instskip(NEXT) | instid1(VALU_DEP_1)
	v_mul_lo_u32 v5, v5, s0
	v_sub_nc_u32_e32 v8, v4, v5
	s_delay_alu instid0(VALU_DEP_1) | instskip(SKIP_2) | instid1(VALU_DEP_2)
	v_mad_u64_u32 v[4:5], null, v8, s4, v[46:47]
	v_mad_u64_u32 v[5:6], null, v8, s5, v[1:2]
	;; [unrolled: 1-line block ×3, first 2 shown]
	v_dual_mov_b32 v46, v4 :: v_dual_mov_b32 v1, v5
	s_delay_alu instid0(VALU_DEP_2)
	v_mov_b32_e32 v0, v6
.LBB23_78:
	v_cmp_ne_u32_e32 vcc_lo, 1, v3
	v_add_nc_u32_e32 v4, 0x80, v47
	s_cbranch_vccnz .LBB23_84
; %bb.79:
	v_dual_mov_b32 v56, 0 :: v_dual_mov_b32 v45, 0
	v_mov_b32_e32 v44, 0
	s_cmp_lg_u32 s56, 0
	s_mov_b32 s2, 0
	s_cbranch_scc0 .LBB23_85
; %bb.80:
	s_min_u32 s3, s57, 15
	v_dual_mov_b32 v44, 0 :: v_dual_mov_b32 v45, 0
	s_add_i32 s0, s3, 1
	v_dual_mov_b32 v56, 0 :: v_dual_mov_b32 v5, v4
	s_and_b32 s4, s0, 30
	s_add_u32 s0, s36, 0xffffffec
	s_addc_u32 s1, s37, -1
	s_set_inst_prefetch_distance 0x1
	.p2align	6
.LBB23_81:                              ; =>This Inner Loop Header: Depth=1
	s_clause 0x2
	s_load_b128 s[8:11], s[0:1], 0x18
	s_load_b64 s[6:7], s[0:1], 0x28
	s_load_b128 s[12:15], s[0:1], 0xd8
	s_waitcnt lgkmcnt(0)
	v_mul_hi_u32 v6, s9, v5
	s_delay_alu instid0(VALU_DEP_1) | instskip(NEXT) | instid1(VALU_DEP_1)
	v_add_nc_u32_e32 v6, v5, v6
	v_lshrrev_b32_e32 v6, s10, v6
	s_delay_alu instid0(VALU_DEP_1)
	v_mul_hi_u32 v7, s6, v6
	v_mul_lo_u32 v8, v6, s8
	s_load_b64 s[8:9], s[0:1], 0xe8
	s_add_u32 s0, s0, 24
	s_addc_u32 s1, s1, 0
	s_add_i32 s4, s4, -2
	s_delay_alu instid0(SALU_CYCLE_1) | instskip(NEXT) | instid1(VALU_DEP_2)
	s_cmp_lg_u32 s4, 0
	v_add_nc_u32_e32 v7, v6, v7
	s_delay_alu instid0(VALU_DEP_2) | instskip(NEXT) | instid1(VALU_DEP_2)
	v_sub_nc_u32_e32 v8, v5, v8
	v_lshrrev_b32_e32 v5, s7, v7
	s_delay_alu instid0(VALU_DEP_2) | instskip(NEXT) | instid1(VALU_DEP_2)
	v_mul_lo_u32 v9, v8, s12
	v_mul_lo_u32 v7, v5, s11
	s_delay_alu instid0(VALU_DEP_1) | instskip(SKIP_2) | instid1(VALU_DEP_3)
	v_sub_nc_u32_e32 v6, v6, v7
	v_mul_lo_u32 v7, v8, s13
	v_mul_lo_u32 v8, v8, s14
	;; [unrolled: 1-line block ×3, first 2 shown]
	s_waitcnt lgkmcnt(0)
	v_mul_lo_u32 v11, v6, s8
	v_mul_lo_u32 v6, v6, s9
	s_delay_alu instid0(VALU_DEP_3) | instskip(NEXT) | instid1(VALU_DEP_3)
	v_add3_u32 v56, v9, v56, v10
	v_add3_u32 v45, v7, v45, v11
	s_delay_alu instid0(VALU_DEP_3)
	v_add3_u32 v44, v8, v44, v6
	s_cbranch_scc1 .LBB23_81
; %bb.82:
	s_set_inst_prefetch_distance 0x2
	s_bitcmp1_b32 s3, 0
	s_cselect_b32 s3, -1, 0
	s_delay_alu instid0(SALU_CYCLE_1)
	s_and_b32 vcc_lo, exec_lo, s3
	s_cbranch_vccnz .LBB23_85
; %bb.83:
	s_clause 0x3
	s_load_b64 s[4:5], s[0:1], 0x18
	s_load_b32 s3, s[0:1], 0x20
	s_load_b64 s[6:7], s[0:1], 0xd8
	s_load_b32 s0, s[0:1], 0xe0
	s_waitcnt lgkmcnt(0)
	v_mul_hi_u32 v6, s5, v5
	s_delay_alu instid0(VALU_DEP_1) | instskip(NEXT) | instid1(VALU_DEP_1)
	v_add_nc_u32_e32 v6, v5, v6
	v_lshrrev_b32_e32 v6, s3, v6
	s_delay_alu instid0(VALU_DEP_1) | instskip(NEXT) | instid1(VALU_DEP_1)
	v_mul_lo_u32 v6, v6, s4
	v_sub_nc_u32_e32 v9, v5, v6
	s_delay_alu instid0(VALU_DEP_1) | instskip(SKIP_2) | instid1(VALU_DEP_2)
	v_mad_u64_u32 v[5:6], null, v9, s6, v[56:57]
	v_mad_u64_u32 v[6:7], null, v9, s7, v[45:46]
	;; [unrolled: 1-line block ×3, first 2 shown]
	v_dual_mov_b32 v56, v5 :: v_dual_mov_b32 v45, v6
	s_delay_alu instid0(VALU_DEP_2)
	v_mov_b32_e32 v44, v7
	s_branch .LBB23_85
.LBB23_84:
	s_mov_b32 s2, -1
                                        ; implicit-def: $vgpr56
                                        ; implicit-def: $vgpr45
                                        ; implicit-def: $vgpr44
.LBB23_85:
	s_delay_alu instid0(SALU_CYCLE_1)
	s_and_not1_b32 vcc_lo, exec_lo, s2
	s_cbranch_vccnz .LBB23_88
; %bb.86:
	s_clause 0x1
	s_load_b128 s[0:3], s[36:37], 0x4
	s_load_b128 s[4:7], s[36:37], 0xc4
	s_cmp_lt_u32 s56, 2
	s_waitcnt lgkmcnt(0)
	v_mul_hi_u32 v5, s1, v4
	s_delay_alu instid0(VALU_DEP_1) | instskip(NEXT) | instid1(VALU_DEP_1)
	v_add_nc_u32_e32 v5, v4, v5
	v_lshrrev_b32_e32 v5, s2, v5
	s_delay_alu instid0(VALU_DEP_1) | instskip(NEXT) | instid1(VALU_DEP_1)
	v_mul_lo_u32 v6, v5, s0
	v_sub_nc_u32_e32 v4, v4, v6
	s_delay_alu instid0(VALU_DEP_1)
	v_mul_lo_u32 v56, v4, s4
	v_mul_lo_u32 v45, v4, s5
	;; [unrolled: 1-line block ×3, first 2 shown]
	s_cbranch_scc1 .LBB23_88
; %bb.87:
	s_clause 0x1
	s_load_b128 s[0:3], s[36:37], 0x10
	s_load_b128 s[4:7], s[36:37], 0xd0
	s_waitcnt lgkmcnt(0)
	v_mul_hi_u32 v4, s1, v5
	s_delay_alu instid0(VALU_DEP_1) | instskip(NEXT) | instid1(VALU_DEP_1)
	v_add_nc_u32_e32 v4, v5, v4
	v_lshrrev_b32_e32 v4, s2, v4
	s_delay_alu instid0(VALU_DEP_1) | instskip(NEXT) | instid1(VALU_DEP_1)
	v_mul_lo_u32 v4, v4, s0
	v_sub_nc_u32_e32 v8, v5, v4
	s_delay_alu instid0(VALU_DEP_1) | instskip(SKIP_2) | instid1(VALU_DEP_2)
	v_mad_u64_u32 v[4:5], null, v8, s4, v[56:57]
	v_mad_u64_u32 v[5:6], null, v8, s5, v[45:46]
	v_mad_u64_u32 v[6:7], null, v8, s6, v[44:45]
	v_dual_mov_b32 v56, v4 :: v_dual_mov_b32 v45, v5
	s_delay_alu instid0(VALU_DEP_2)
	v_mov_b32_e32 v44, v6
.LBB23_88:
	v_cmp_ne_u32_e32 vcc_lo, 1, v3
	v_add_nc_u32_e32 v4, 0x100, v47
	s_cbranch_vccnz .LBB23_94
; %bb.89:
	v_dual_mov_b32 v57, 0 :: v_dual_mov_b32 v58, 0
	v_mov_b32_e32 v59, 0
	s_cmp_lg_u32 s56, 0
	s_mov_b32 s2, 0
	s_cbranch_scc0 .LBB23_95
; %bb.90:
	s_min_u32 s3, s57, 15
	v_dual_mov_b32 v58, 0 :: v_dual_mov_b32 v59, 0
	s_add_i32 s0, s3, 1
	v_mov_b32_e32 v57, 0
	v_mov_b32_e32 v5, v4
	s_and_b32 s4, s0, 30
	s_add_u32 s0, s36, 0xffffffec
	s_addc_u32 s1, s37, -1
	s_set_inst_prefetch_distance 0x1
	.p2align	6
.LBB23_91:                              ; =>This Inner Loop Header: Depth=1
	s_clause 0x2
	s_load_b128 s[8:11], s[0:1], 0x18
	s_load_b64 s[6:7], s[0:1], 0x28
	s_load_b128 s[12:15], s[0:1], 0xd8
	s_waitcnt lgkmcnt(0)
	v_mul_hi_u32 v6, s9, v5
	s_delay_alu instid0(VALU_DEP_1) | instskip(NEXT) | instid1(VALU_DEP_1)
	v_add_nc_u32_e32 v6, v5, v6
	v_lshrrev_b32_e32 v6, s10, v6
	s_delay_alu instid0(VALU_DEP_1)
	v_mul_hi_u32 v7, s6, v6
	v_mul_lo_u32 v8, v6, s8
	s_load_b64 s[8:9], s[0:1], 0xe8
	s_add_u32 s0, s0, 24
	s_addc_u32 s1, s1, 0
	s_add_i32 s4, s4, -2
	s_delay_alu instid0(SALU_CYCLE_1) | instskip(NEXT) | instid1(VALU_DEP_2)
	s_cmp_lg_u32 s4, 0
	v_add_nc_u32_e32 v7, v6, v7
	s_delay_alu instid0(VALU_DEP_2) | instskip(NEXT) | instid1(VALU_DEP_2)
	v_sub_nc_u32_e32 v8, v5, v8
	v_lshrrev_b32_e32 v5, s7, v7
	s_delay_alu instid0(VALU_DEP_2) | instskip(NEXT) | instid1(VALU_DEP_2)
	v_mul_lo_u32 v9, v8, s12
	v_mul_lo_u32 v7, v5, s11
	s_delay_alu instid0(VALU_DEP_1) | instskip(SKIP_2) | instid1(VALU_DEP_3)
	v_sub_nc_u32_e32 v6, v6, v7
	v_mul_lo_u32 v7, v8, s13
	v_mul_lo_u32 v8, v8, s14
	;; [unrolled: 1-line block ×3, first 2 shown]
	s_waitcnt lgkmcnt(0)
	v_mul_lo_u32 v11, v6, s8
	v_mul_lo_u32 v6, v6, s9
	s_delay_alu instid0(VALU_DEP_3) | instskip(NEXT) | instid1(VALU_DEP_3)
	v_add3_u32 v57, v9, v57, v10
	v_add3_u32 v59, v7, v59, v11
	s_delay_alu instid0(VALU_DEP_3)
	v_add3_u32 v58, v8, v58, v6
	s_cbranch_scc1 .LBB23_91
; %bb.92:
	s_set_inst_prefetch_distance 0x2
	s_bitcmp1_b32 s3, 0
	s_cselect_b32 s3, -1, 0
	s_delay_alu instid0(SALU_CYCLE_1)
	s_and_b32 vcc_lo, exec_lo, s3
	s_cbranch_vccnz .LBB23_95
; %bb.93:
	s_clause 0x3
	s_load_b64 s[4:5], s[0:1], 0x18
	s_load_b32 s3, s[0:1], 0x20
	s_load_b64 s[6:7], s[0:1], 0xd8
	s_load_b32 s0, s[0:1], 0xe0
	s_waitcnt lgkmcnt(0)
	v_mul_hi_u32 v6, s5, v5
	s_delay_alu instid0(VALU_DEP_1) | instskip(NEXT) | instid1(VALU_DEP_1)
	v_add_nc_u32_e32 v6, v5, v6
	v_lshrrev_b32_e32 v6, s3, v6
	s_delay_alu instid0(VALU_DEP_1) | instskip(NEXT) | instid1(VALU_DEP_1)
	v_mul_lo_u32 v6, v6, s4
	v_sub_nc_u32_e32 v9, v5, v6
	s_delay_alu instid0(VALU_DEP_1) | instskip(SKIP_2) | instid1(VALU_DEP_3)
	v_mad_u64_u32 v[5:6], null, v9, s6, v[57:58]
	v_mad_u64_u32 v[6:7], null, v9, s7, v[59:60]
	;; [unrolled: 1-line block ×3, first 2 shown]
	v_mov_b32_e32 v57, v5
	s_delay_alu instid0(VALU_DEP_2)
	v_dual_mov_b32 v59, v6 :: v_dual_mov_b32 v58, v7
	s_branch .LBB23_95
.LBB23_94:
	s_mov_b32 s2, -1
                                        ; implicit-def: $vgpr57
                                        ; implicit-def: $vgpr59
                                        ; implicit-def: $vgpr58
.LBB23_95:
	s_delay_alu instid0(SALU_CYCLE_1)
	s_and_not1_b32 vcc_lo, exec_lo, s2
	s_cbranch_vccnz .LBB23_98
; %bb.96:
	s_clause 0x1
	s_load_b128 s[0:3], s[36:37], 0x4
	s_load_b128 s[4:7], s[36:37], 0xc4
	s_cmp_lt_u32 s56, 2
	s_waitcnt lgkmcnt(0)
	v_mul_hi_u32 v5, s1, v4
	s_delay_alu instid0(VALU_DEP_1) | instskip(NEXT) | instid1(VALU_DEP_1)
	v_add_nc_u32_e32 v5, v4, v5
	v_lshrrev_b32_e32 v5, s2, v5
	s_delay_alu instid0(VALU_DEP_1) | instskip(NEXT) | instid1(VALU_DEP_1)
	v_mul_lo_u32 v6, v5, s0
	v_sub_nc_u32_e32 v4, v4, v6
	s_delay_alu instid0(VALU_DEP_1)
	v_mul_lo_u32 v57, v4, s4
	v_mul_lo_u32 v59, v4, s5
	v_mul_lo_u32 v58, v4, s6
	s_cbranch_scc1 .LBB23_98
; %bb.97:
	s_clause 0x1
	s_load_b128 s[0:3], s[36:37], 0x10
	s_load_b128 s[4:7], s[36:37], 0xd0
	s_waitcnt lgkmcnt(0)
	v_mul_hi_u32 v4, s1, v5
	s_delay_alu instid0(VALU_DEP_1) | instskip(NEXT) | instid1(VALU_DEP_1)
	v_add_nc_u32_e32 v4, v5, v4
	v_lshrrev_b32_e32 v4, s2, v4
	s_delay_alu instid0(VALU_DEP_1) | instskip(NEXT) | instid1(VALU_DEP_1)
	v_mul_lo_u32 v4, v4, s0
	v_sub_nc_u32_e32 v8, v5, v4
	s_delay_alu instid0(VALU_DEP_1) | instskip(SKIP_2) | instid1(VALU_DEP_3)
	v_mad_u64_u32 v[4:5], null, v8, s4, v[57:58]
	v_mad_u64_u32 v[5:6], null, v8, s5, v[59:60]
	;; [unrolled: 1-line block ×3, first 2 shown]
	v_mov_b32_e32 v57, v4
	s_delay_alu instid0(VALU_DEP_2)
	v_dual_mov_b32 v59, v5 :: v_dual_mov_b32 v58, v6
.LBB23_98:
	v_cmp_ne_u32_e32 vcc_lo, 1, v3
	s_cbranch_vccnz .LBB23_104
; %bb.99:
	v_dual_mov_b32 v60, 0 :: v_dual_mov_b32 v61, 0
	v_mov_b32_e32 v62, 0
	s_cmp_lg_u32 s56, 0
	s_mov_b32 s2, 0
	s_cbranch_scc0 .LBB23_105
; %bb.100:
	s_min_u32 s3, s57, 15
	v_dual_mov_b32 v61, 0 :: v_dual_mov_b32 v62, 0
	s_add_i32 s0, s3, 1
	v_dual_mov_b32 v60, 0 :: v_dual_mov_b32 v3, v2
	s_and_b32 s4, s0, 30
	s_add_u32 s0, s36, 0xffffffec
	s_addc_u32 s1, s37, -1
	s_set_inst_prefetch_distance 0x1
	.p2align	6
.LBB23_101:                             ; =>This Inner Loop Header: Depth=1
	s_clause 0x2
	s_load_b128 s[8:11], s[0:1], 0x18
	s_load_b64 s[6:7], s[0:1], 0x28
	s_load_b128 s[12:15], s[0:1], 0xd8
	s_waitcnt lgkmcnt(0)
	v_mul_hi_u32 v4, s9, v3
	s_delay_alu instid0(VALU_DEP_1) | instskip(NEXT) | instid1(VALU_DEP_1)
	v_add_nc_u32_e32 v4, v3, v4
	v_lshrrev_b32_e32 v4, s10, v4
	s_delay_alu instid0(VALU_DEP_1)
	v_mul_hi_u32 v5, s6, v4
	v_mul_lo_u32 v6, v4, s8
	s_load_b64 s[8:9], s[0:1], 0xe8
	s_add_u32 s0, s0, 24
	s_addc_u32 s1, s1, 0
	s_add_i32 s4, s4, -2
	s_delay_alu instid0(SALU_CYCLE_1) | instskip(NEXT) | instid1(VALU_DEP_2)
	s_cmp_lg_u32 s4, 0
	v_add_nc_u32_e32 v5, v4, v5
	s_delay_alu instid0(VALU_DEP_2) | instskip(NEXT) | instid1(VALU_DEP_2)
	v_sub_nc_u32_e32 v6, v3, v6
	v_lshrrev_b32_e32 v3, s7, v5
	s_delay_alu instid0(VALU_DEP_2) | instskip(NEXT) | instid1(VALU_DEP_2)
	v_mul_lo_u32 v7, v6, s12
	v_mul_lo_u32 v5, v3, s11
	s_delay_alu instid0(VALU_DEP_1) | instskip(SKIP_2) | instid1(VALU_DEP_3)
	v_sub_nc_u32_e32 v4, v4, v5
	v_mul_lo_u32 v5, v6, s13
	v_mul_lo_u32 v6, v6, s14
	;; [unrolled: 1-line block ×3, first 2 shown]
	s_waitcnt lgkmcnt(0)
	v_mul_lo_u32 v9, v4, s8
	v_mul_lo_u32 v4, v4, s9
	s_delay_alu instid0(VALU_DEP_3) | instskip(NEXT) | instid1(VALU_DEP_3)
	v_add3_u32 v60, v7, v60, v8
	v_add3_u32 v62, v5, v62, v9
	s_delay_alu instid0(VALU_DEP_3)
	v_add3_u32 v61, v6, v61, v4
	s_cbranch_scc1 .LBB23_101
; %bb.102:
	s_set_inst_prefetch_distance 0x2
	s_bitcmp1_b32 s3, 0
	s_cselect_b32 s3, -1, 0
	s_delay_alu instid0(SALU_CYCLE_1)
	s_and_b32 vcc_lo, exec_lo, s3
	s_cbranch_vccnz .LBB23_105
; %bb.103:
	s_clause 0x3
	s_load_b64 s[4:5], s[0:1], 0x18
	s_load_b32 s3, s[0:1], 0x20
	s_load_b64 s[6:7], s[0:1], 0xd8
	s_load_b32 s0, s[0:1], 0xe0
	s_waitcnt lgkmcnt(0)
	v_mul_hi_u32 v4, s5, v3
	s_delay_alu instid0(VALU_DEP_1) | instskip(NEXT) | instid1(VALU_DEP_1)
	v_add_nc_u32_e32 v4, v3, v4
	v_lshrrev_b32_e32 v4, s3, v4
	s_delay_alu instid0(VALU_DEP_1) | instskip(NEXT) | instid1(VALU_DEP_1)
	v_mul_lo_u32 v4, v4, s4
	v_sub_nc_u32_e32 v7, v3, v4
	s_delay_alu instid0(VALU_DEP_1) | instskip(SKIP_2) | instid1(VALU_DEP_3)
	v_mad_u64_u32 v[3:4], null, v7, s6, v[60:61]
	v_mad_u64_u32 v[4:5], null, v7, s7, v[62:63]
	;; [unrolled: 1-line block ×3, first 2 shown]
	v_mov_b32_e32 v60, v3
	s_delay_alu instid0(VALU_DEP_2)
	v_dual_mov_b32 v62, v4 :: v_dual_mov_b32 v61, v5
	s_branch .LBB23_105
.LBB23_104:
	s_mov_b32 s2, -1
                                        ; implicit-def: $vgpr60
                                        ; implicit-def: $vgpr62
                                        ; implicit-def: $vgpr61
.LBB23_105:
	s_delay_alu instid0(SALU_CYCLE_1)
	s_and_not1_b32 vcc_lo, exec_lo, s2
	s_cbranch_vccnz .LBB23_108
; %bb.106:
	s_clause 0x1
	s_load_b128 s[0:3], s[36:37], 0x4
	s_load_b128 s[4:7], s[36:37], 0xc4
	s_cmp_lt_u32 s56, 2
	s_waitcnt lgkmcnt(0)
	v_mul_hi_u32 v3, s1, v2
	s_delay_alu instid0(VALU_DEP_1) | instskip(NEXT) | instid1(VALU_DEP_1)
	v_add_nc_u32_e32 v3, v2, v3
	v_lshrrev_b32_e32 v3, s2, v3
	s_delay_alu instid0(VALU_DEP_1) | instskip(NEXT) | instid1(VALU_DEP_1)
	v_mul_lo_u32 v4, v3, s0
	v_sub_nc_u32_e32 v2, v2, v4
	s_delay_alu instid0(VALU_DEP_1)
	v_mul_lo_u32 v60, v2, s4
	v_mul_lo_u32 v62, v2, s5
	;; [unrolled: 1-line block ×3, first 2 shown]
	s_cbranch_scc1 .LBB23_108
; %bb.107:
	s_clause 0x1
	s_load_b128 s[0:3], s[36:37], 0x10
	s_load_b128 s[4:7], s[36:37], 0xd0
	s_waitcnt lgkmcnt(0)
	v_mul_hi_u32 v2, s1, v3
	s_delay_alu instid0(VALU_DEP_1) | instskip(NEXT) | instid1(VALU_DEP_1)
	v_add_nc_u32_e32 v2, v3, v2
	v_lshrrev_b32_e32 v2, s2, v2
	s_delay_alu instid0(VALU_DEP_1) | instskip(NEXT) | instid1(VALU_DEP_1)
	v_mul_lo_u32 v2, v2, s0
	v_sub_nc_u32_e32 v6, v3, v2
	s_delay_alu instid0(VALU_DEP_1) | instskip(SKIP_2) | instid1(VALU_DEP_3)
	v_mad_u64_u32 v[2:3], null, v6, s4, v[60:61]
	v_mad_u64_u32 v[3:4], null, v6, s5, v[62:63]
	;; [unrolled: 1-line block ×3, first 2 shown]
	v_mov_b32_e32 v60, v2
	s_delay_alu instid0(VALU_DEP_2)
	v_dual_mov_b32 v62, v3 :: v_dual_mov_b32 v61, v4
.LBB23_108:
	s_clause 0x2
	s_load_b128 s[40:43], s[36:37], 0x188
	s_load_b64 s[38:39], s[36:37], 0x198
	s_load_b32 s0, s[36:37], 0x1a0
	s_waitcnt lgkmcnt(0)
	global_load_b32 v40, v1, s[42:43]
	global_load_b32 v43, v0, s[38:39]
	s_bitcmp1_b32 s0, 0
	s_cselect_b32 s0, -1, 0
	s_delay_alu instid0(SALU_CYCLE_1)
	s_xor_b32 s36, s0, -1
	s_mov_b32 s0, -1
	s_and_b32 vcc_lo, exec_lo, s36
	s_cbranch_vccz .LBB23_110
; %bb.109:
	s_waitcnt vmcnt(0)
	v_dual_mov_b32 v0, v40 :: v_dual_mov_b32 v1, v43
	s_getpc_b64 s[0:1]
	s_add_u32 s0, s0, _ZN12_GLOBAL__N_111calc_igammaIfEET_S1_S1_@rel32@lo+4
	s_addc_u32 s1, s1, _ZN12_GLOBAL__N_111calc_igammaIfEET_S1_S1_@rel32@hi+12
	s_delay_alu instid0(SALU_CYCLE_1)
	s_swappc_b64 s[30:31], s[0:1]
	v_mov_b32_e32 v42, v0
	s_cbranch_execz .LBB23_111
	s_branch .LBB23_112
.LBB23_110:
                                        ; implicit-def: $vgpr42
	s_and_not1_b32 vcc_lo, exec_lo, s0
	s_cbranch_vccnz .LBB23_112
.LBB23_111:
	s_waitcnt vmcnt(0)
	v_dual_mov_b32 v0, v40 :: v_dual_mov_b32 v1, v43
	s_getpc_b64 s[0:1]
	s_add_u32 s0, s0, _ZN12_GLOBAL__N_112calc_igammacIfEET_S1_S1_@rel32@lo+4
	s_addc_u32 s1, s1, _ZN12_GLOBAL__N_112calc_igammacIfEET_S1_S1_@rel32@hi+12
	s_delay_alu instid0(SALU_CYCLE_1)
	s_swappc_b64 s[30:31], s[0:1]
	v_mov_b32_e32 v42, v0
.LBB23_112:
	global_load_b32 v40, v45, s[42:43]
	global_load_b32 v44, v44, s[38:39]
	s_and_b32 vcc_lo, exec_lo, s36
	s_cbranch_vccz .LBB23_114
; %bb.113:
	s_waitcnt vmcnt(1)
	v_mov_b32_e32 v0, v40
	s_waitcnt vmcnt(0)
	v_mov_b32_e32 v1, v44
	s_getpc_b64 s[0:1]
	s_add_u32 s0, s0, _ZN12_GLOBAL__N_111calc_igammaIfEET_S1_S1_@rel32@lo+4
	s_addc_u32 s1, s1, _ZN12_GLOBAL__N_111calc_igammaIfEET_S1_S1_@rel32@hi+12
	s_delay_alu instid0(SALU_CYCLE_1)
	s_swappc_b64 s[30:31], s[0:1]
	v_mov_b32_e32 v43, v0
	s_cbranch_execz .LBB23_115
	s_branch .LBB23_116
.LBB23_114:
                                        ; implicit-def: $vgpr43
.LBB23_115:
	s_waitcnt vmcnt(1)
	v_mov_b32_e32 v0, v40
	s_waitcnt vmcnt(0)
	v_mov_b32_e32 v1, v44
	s_getpc_b64 s[0:1]
	s_add_u32 s0, s0, _ZN12_GLOBAL__N_112calc_igammacIfEET_S1_S1_@rel32@lo+4
	s_addc_u32 s1, s1, _ZN12_GLOBAL__N_112calc_igammacIfEET_S1_S1_@rel32@hi+12
	s_delay_alu instid0(SALU_CYCLE_1)
	s_swappc_b64 s[30:31], s[0:1]
	v_mov_b32_e32 v43, v0
.LBB23_116:
	global_load_b32 v40, v59, s[42:43]
	global_load_b32 v45, v58, s[38:39]
	s_and_b32 vcc_lo, exec_lo, s36
	s_cbranch_vccz .LBB23_118
; %bb.117:
	s_waitcnt vmcnt(0)
	v_dual_mov_b32 v0, v40 :: v_dual_mov_b32 v1, v45
	s_getpc_b64 s[0:1]
	s_add_u32 s0, s0, _ZN12_GLOBAL__N_111calc_igammaIfEET_S1_S1_@rel32@lo+4
	s_addc_u32 s1, s1, _ZN12_GLOBAL__N_111calc_igammaIfEET_S1_S1_@rel32@hi+12
	s_delay_alu instid0(SALU_CYCLE_1)
	s_swappc_b64 s[30:31], s[0:1]
	v_mov_b32_e32 v44, v0
	s_cbranch_execz .LBB23_119
	s_branch .LBB23_120
.LBB23_118:
                                        ; implicit-def: $vgpr44
.LBB23_119:
	s_waitcnt vmcnt(0)
	v_dual_mov_b32 v0, v40 :: v_dual_mov_b32 v1, v45
	s_getpc_b64 s[0:1]
	s_add_u32 s0, s0, _ZN12_GLOBAL__N_112calc_igammacIfEET_S1_S1_@rel32@lo+4
	s_addc_u32 s1, s1, _ZN12_GLOBAL__N_112calc_igammacIfEET_S1_S1_@rel32@hi+12
	s_delay_alu instid0(SALU_CYCLE_1)
	s_swappc_b64 s[30:31], s[0:1]
	v_mov_b32_e32 v44, v0
.LBB23_120:
	global_load_b32 v40, v62, s[42:43]
	global_load_b32 v45, v61, s[38:39]
	s_and_b32 vcc_lo, exec_lo, s36
	s_cbranch_vccz .LBB23_122
; %bb.121:
	s_waitcnt vmcnt(0)
	v_dual_mov_b32 v0, v40 :: v_dual_mov_b32 v1, v45
	s_getpc_b64 s[0:1]
	s_add_u32 s0, s0, _ZN12_GLOBAL__N_111calc_igammaIfEET_S1_S1_@rel32@lo+4
	s_addc_u32 s1, s1, _ZN12_GLOBAL__N_111calc_igammaIfEET_S1_S1_@rel32@hi+12
	s_delay_alu instid0(SALU_CYCLE_1)
	s_swappc_b64 s[30:31], s[0:1]
	s_cbranch_execz .LBB23_123
	s_branch .LBB23_124
.LBB23_122:
                                        ; implicit-def: $vgpr0
.LBB23_123:
	s_waitcnt vmcnt(0)
	v_dual_mov_b32 v0, v40 :: v_dual_mov_b32 v1, v45
	s_getpc_b64 s[0:1]
	s_add_u32 s0, s0, _ZN12_GLOBAL__N_112calc_igammacIfEET_S1_S1_@rel32@lo+4
	s_addc_u32 s1, s1, _ZN12_GLOBAL__N_112calc_igammacIfEET_S1_S1_@rel32@hi+12
	s_delay_alu instid0(SALU_CYCLE_1)
	s_swappc_b64 s[30:31], s[0:1]
.LBB23_124:
	s_waitcnt vmcnt(8)
	global_store_b32 v46, v42, s[40:41]
	s_waitcnt vmcnt(6)
	global_store_b32 v56, v43, s[40:41]
	s_waitcnt vmcnt(4)
	s_clause 0x1
	global_store_b32 v57, v44, s[40:41]
	global_store_b32 v60, v0, s[40:41]
	s_endpgm
	.section	.rodata,"a",@progbits
	.p2align	6, 0x0
	.amdhsa_kernel _ZN2at6native32elementwise_kernel_manual_unrollILi128ELi4EZNS0_22gpu_kernel_impl_nocastIN12_GLOBAL__N_110CalcIgammaIfEEEEvRNS_18TensorIteratorBaseERKT_EUlibE_EEviT1_
		.amdhsa_group_segment_fixed_size 0
		.amdhsa_private_segment_fixed_size 144
		.amdhsa_kernarg_size 432
		.amdhsa_user_sgpr_count 15
		.amdhsa_user_sgpr_dispatch_ptr 0
		.amdhsa_user_sgpr_queue_ptr 0
		.amdhsa_user_sgpr_kernarg_segment_ptr 1
		.amdhsa_user_sgpr_dispatch_id 0
		.amdhsa_user_sgpr_private_segment_size 0
		.amdhsa_wavefront_size32 1
		.amdhsa_uses_dynamic_stack 0
		.amdhsa_enable_private_segment 1
		.amdhsa_system_sgpr_workgroup_id_x 1
		.amdhsa_system_sgpr_workgroup_id_y 0
		.amdhsa_system_sgpr_workgroup_id_z 0
		.amdhsa_system_sgpr_workgroup_info 0
		.amdhsa_system_vgpr_workitem_id 0
		.amdhsa_next_free_vgpr 66
		.amdhsa_next_free_sgpr 66
		.amdhsa_reserve_vcc 1
		.amdhsa_float_round_mode_32 0
		.amdhsa_float_round_mode_16_64 0
		.amdhsa_float_denorm_mode_32 3
		.amdhsa_float_denorm_mode_16_64 3
		.amdhsa_dx10_clamp 1
		.amdhsa_ieee_mode 1
		.amdhsa_fp16_overflow 0
		.amdhsa_workgroup_processor_mode 1
		.amdhsa_memory_ordered 1
		.amdhsa_forward_progress 0
		.amdhsa_shared_vgpr_count 0
		.amdhsa_exception_fp_ieee_invalid_op 0
		.amdhsa_exception_fp_denorm_src 0
		.amdhsa_exception_fp_ieee_div_zero 0
		.amdhsa_exception_fp_ieee_overflow 0
		.amdhsa_exception_fp_ieee_underflow 0
		.amdhsa_exception_fp_ieee_inexact 0
		.amdhsa_exception_int_div_zero 0
	.end_amdhsa_kernel
	.section	.text._ZN2at6native32elementwise_kernel_manual_unrollILi128ELi4EZNS0_22gpu_kernel_impl_nocastIN12_GLOBAL__N_110CalcIgammaIfEEEEvRNS_18TensorIteratorBaseERKT_EUlibE_EEviT1_,"axG",@progbits,_ZN2at6native32elementwise_kernel_manual_unrollILi128ELi4EZNS0_22gpu_kernel_impl_nocastIN12_GLOBAL__N_110CalcIgammaIfEEEEvRNS_18TensorIteratorBaseERKT_EUlibE_EEviT1_,comdat
.Lfunc_end23:
	.size	_ZN2at6native32elementwise_kernel_manual_unrollILi128ELi4EZNS0_22gpu_kernel_impl_nocastIN12_GLOBAL__N_110CalcIgammaIfEEEEvRNS_18TensorIteratorBaseERKT_EUlibE_EEviT1_, .Lfunc_end23-_ZN2at6native32elementwise_kernel_manual_unrollILi128ELi4EZNS0_22gpu_kernel_impl_nocastIN12_GLOBAL__N_110CalcIgammaIfEEEEvRNS_18TensorIteratorBaseERKT_EUlibE_EEviT1_
                                        ; -- End function
	.section	.AMDGPU.csdata,"",@progbits
; Kernel info:
; codeLenInByte = 6576
; NumSgprs: 68
; NumVgprs: 66
; ScratchSize: 144
; MemoryBound: 0
; FloatMode: 240
; IeeeMode: 1
; LDSByteSize: 0 bytes/workgroup (compile time only)
; SGPRBlocks: 8
; VGPRBlocks: 8
; NumSGPRsForWavesPerEU: 68
; NumVGPRsForWavesPerEU: 66
; Occupancy: 16
; WaveLimiterHint : 1
; COMPUTE_PGM_RSRC2:SCRATCH_EN: 1
; COMPUTE_PGM_RSRC2:USER_SGPR: 15
; COMPUTE_PGM_RSRC2:TRAP_HANDLER: 0
; COMPUTE_PGM_RSRC2:TGID_X_EN: 1
; COMPUTE_PGM_RSRC2:TGID_Y_EN: 0
; COMPUTE_PGM_RSRC2:TGID_Z_EN: 0
; COMPUTE_PGM_RSRC2:TIDIG_COMP_CNT: 0
	.text
	.p2align	2                               ; -- Begin function _ZN3c104guts5applyIRN12_GLOBAL__N_110CalcIgammaIfEERSt5tupleIJffEEEEDaOT_OT0_
	.type	_ZN3c104guts5applyIRN12_GLOBAL__N_110CalcIgammaIfEERSt5tupleIJffEEEEDaOT_OT0_,@function
_ZN3c104guts5applyIRN12_GLOBAL__N_110CalcIgammaIfEERSt5tupleIJffEEEEDaOT_OT0_: ; @_ZN3c104guts5applyIRN12_GLOBAL__N_110CalcIgammaIfEERSt5tupleIJffEEEEDaOT_OT0_
; %bb.0:
	s_waitcnt vmcnt(0) expcnt(0) lgkmcnt(0)
	s_mov_b32 s0, s33
	s_mov_b32 s33, s32
	s_or_saveexec_b32 s1, -1
	scratch_store_b32 off, v42, s33 offset:8 ; 4-byte Folded Spill
	s_mov_b32 exec_lo, s1
	v_writelane_b32 v42, s0, 5
	s_add_i32 s32, s32, 16
	s_clause 0x1
	scratch_store_b32 off, v40, s33 offset:4
	; meta instruction
	scratch_store_b32 off, v41, s33
	v_writelane_b32 v42, s34, 0
	v_writelane_b32 v42, s35, 1
	;; [unrolled: 1-line block ×5, first 2 shown]
	v_and_b32_e32 v0, 1, v0
	s_delay_alu instid0(VALU_DEP_1) | instskip(SKIP_1) | instid1(SALU_CYCLE_1)
	v_cmp_eq_u32_e32 vcc_lo, 1, v0
                                        ; implicit-def: $vgpr0
	s_xor_b32 s0, vcc_lo, -1
	s_and_saveexec_b32 s1, s0
	s_delay_alu instid0(SALU_CYCLE_1)
	s_xor_b32 s36, exec_lo, s1
	s_cbranch_execz .LBB24_2
; %bb.1:
	v_mov_b32_e32 v0, v2
	s_getpc_b64 s[0:1]
	s_add_u32 s0, s0, _ZN12_GLOBAL__N_111calc_igammaIfEET_S1_S1_@rel32@lo+4
	s_addc_u32 s1, s1, _ZN12_GLOBAL__N_111calc_igammaIfEET_S1_S1_@rel32@hi+12
	s_delay_alu instid0(SALU_CYCLE_1)
	s_swappc_b64 s[30:31], s[0:1]
                                        ; implicit-def: $vgpr2
                                        ; implicit-def: $vgpr1
.LBB24_2:
	s_and_not1_saveexec_b32 s23, s36
	s_cbranch_execz .LBB24_4
; %bb.3:
	v_mov_b32_e32 v0, v2
	s_getpc_b64 s[0:1]
	s_add_u32 s0, s0, _ZN12_GLOBAL__N_112calc_igammacIfEET_S1_S1_@rel32@lo+4
	s_addc_u32 s1, s1, _ZN12_GLOBAL__N_112calc_igammacIfEET_S1_S1_@rel32@hi+12
	s_delay_alu instid0(SALU_CYCLE_1)
	s_swappc_b64 s[30:31], s[0:1]
.LBB24_4:
	s_or_b32 exec_lo, exec_lo, s23
	s_clause 0x1
	scratch_load_b32 v41, off, s33
	scratch_load_b32 v40, off, s33 offset:4
	v_readlane_b32 s30, v42, 3
	v_readlane_b32 s31, v42, 4
	;; [unrolled: 1-line block ×6, first 2 shown]
	s_or_saveexec_b32 s1, -1
	scratch_load_b32 v42, off, s33 offset:8 ; 4-byte Folded Reload
	s_mov_b32 exec_lo, s1
	s_add_i32 s32, s32, -16
	s_mov_b32 s33, s0
	s_waitcnt vmcnt(0)
	s_setpc_b64 s[30:31]
.Lfunc_end24:
	.size	_ZN3c104guts5applyIRN12_GLOBAL__N_110CalcIgammaIfEERSt5tupleIJffEEEEDaOT_OT0_, .Lfunc_end24-_ZN3c104guts5applyIRN12_GLOBAL__N_110CalcIgammaIfEERSt5tupleIJffEEEEDaOT_OT0_
                                        ; -- End function
	.section	.AMDGPU.csdata,"",@progbits
; Function info:
; codeLenInByte = 308
; NumSgprs: 39
; NumVgprs: 66
; ScratchSize: 160
; MemoryBound: 0
	.text
	.p2align	2                               ; -- Begin function _ZN2at6native25elementwise_kernel_helperILb1EN12_GLOBAL__N_110CalcIgammaIfEENS0_6memory8policies11unroll_baseILi512ESt5arrayIPcLm3EE23TrivialOffsetCalculatorILi2EjESB_ILi1EjENS5_12LoadWithCastILi2EEENS5_13StoreWithCastILi1EEELi32ELi1EEEEEvT0_T1_
	.type	_ZN2at6native25elementwise_kernel_helperILb1EN12_GLOBAL__N_110CalcIgammaIfEENS0_6memory8policies11unroll_baseILi512ESt5arrayIPcLm3EE23TrivialOffsetCalculatorILi2EjESB_ILi1EjENS5_12LoadWithCastILi2EEENS5_13StoreWithCastILi1EEELi32ELi1EEEEEvT0_T1_,@function
_ZN2at6native25elementwise_kernel_helperILb1EN12_GLOBAL__N_110CalcIgammaIfEENS0_6memory8policies11unroll_baseILi512ESt5arrayIPcLm3EE23TrivialOffsetCalculatorILi2EjESB_ILi1EjENS5_12LoadWithCastILi2EEENS5_13StoreWithCastILi1EEELi32ELi1EEEEEvT0_T1_: ; @_ZN2at6native25elementwise_kernel_helperILb1EN12_GLOBAL__N_110CalcIgammaIfEENS0_6memory8policies11unroll_baseILi512ESt5arrayIPcLm3EE23TrivialOffsetCalculatorILi2EjESB_ILi1EjENS5_12LoadWithCastILi2EEENS5_13StoreWithCastILi1EEELi32ELi1EEEEEvT0_T1_
; %bb.0:
	s_waitcnt vmcnt(0) expcnt(0) lgkmcnt(0)
	s_mov_b32 s0, s33
	s_mov_b32 s33, s32
	s_or_saveexec_b32 s1, -1
	s_clause 0x1
	scratch_store_b32 off, v40, s33 offset:272
	; meta instruction
	scratch_store_b32 off, v41, s33 offset:276
	s_mov_b32 exec_lo, s1
	v_writelane_b32 v41, s0, 13
	s_addk_i32 s32, 0x120
	scratch_store_b32 off, v42, s33         ; 4-byte Folded Spill
	v_writelane_b32 v40, s34, 0
	v_writelane_b32 v40, s35, 1
	;; [unrolled: 1-line block ×45, first 2 shown]
	s_clause 0x1
	s_load_b32 s0, s[8:9], 0x10
	s_load_b32 s1, s[8:9], 0x0
	s_mov_b32 s4, 0
	v_dual_mov_b32 v135, v13 :: v_dual_mov_b32 v134, v12
	s_mov_b32 s7, s4
	s_mov_b32 s6, s4
	s_mov_b32 s5, s4
	v_dual_mov_b32 v144, v2 :: v_dual_mov_b32 v15, s7
	v_dual_mov_b32 v13, s5 :: v_dual_and_b32 v0, 1, v0
	v_dual_mov_b32 v14, s6 :: v_dual_and_b32 v133, 0x3ff, v31
	v_dual_mov_b32 v146, v7 :: v_dual_mov_b32 v145, v1
	v_mov_b32_e32 v12, s4
	s_delay_alu instid0(VALU_DEP_4) | instskip(NEXT) | instid1(VALU_DEP_4)
	v_cmp_eq_u32_e32 vcc_lo, 1, v0
	v_dual_mov_b32 v7, v133 :: v_dual_and_b32 v2, 0xff, v8
	s_waitcnt lgkmcnt(0)
	s_lshr_b32 s0, s0, 16
	s_clause 0xb
	scratch_store_b128 off, v[12:15], s33 offset:16
	scratch_store_b128 off, v[12:15], s33 offset:32
	;; [unrolled: 1-line block ×12, first 2 shown]
	s_cmp_lg_u32 s0, 0
	s_clause 0x1
	scratch_store_b128 off, v[12:15], s33 offset:208
	scratch_store_b128 off, v[12:15], s33 offset:224
	s_cselect_b32 s0, -1, 0
	s_not_b32 s2, s12
	s_cmp_lg_u32 s0, 0
	s_clause 0x1
	scratch_store_b128 off, v[12:15], s33 offset:240
	scratch_store_b128 off, v[12:15], s33 offset:256
	s_addc_u32 s0, s1, s2
	s_mov_b32 s1, s4
	s_lshl_b32 s38, s0, 14
                                        ; implicit-def: $sgpr2
                                        ; implicit-def: $sgpr3
                                        ; implicit-def: $sgpr5
                                        ; implicit-def: $sgpr6
	s_branch .LBB25_17
.LBB25_1:                               ;   in Loop: Header=BB25_17 Depth=1
	s_or_b32 exec_lo, exec_lo, s0
	s_delay_alu instid0(SALU_CYCLE_1)
	s_and_not1_b32 s0, s50, exec_lo
	s_and_b32 s50, s55, exec_lo
	s_and_not1_b32 s49, s49, exec_lo
	s_and_b32 s53, s54, exec_lo
	s_or_b32 s50, s0, s50
	s_or_b32 s49, s49, s53
	s_or_not1_b32 s52, s52, exec_lo
.LBB25_2:                               ;   in Loop: Header=BB25_17 Depth=1
	s_or_b32 exec_lo, exec_lo, s51
	s_delay_alu instid0(SALU_CYCLE_1)
	s_and_not1_b32 s0, s47, exec_lo
	s_and_b32 s47, s50, exec_lo
	s_and_not1_b32 s46, s46, exec_lo
	s_and_b32 s49, s49, exec_lo
	s_or_b32 s47, s0, s47
	s_or_b32 s46, s46, s49
	s_or_not1_b32 s49, s52, exec_lo
.LBB25_3:                               ;   in Loop: Header=BB25_17 Depth=1
	s_or_b32 exec_lo, exec_lo, s48
	s_delay_alu instid0(SALU_CYCLE_1)
	s_and_not1_b32 s0, s44, exec_lo
	s_and_b32 s44, s47, exec_lo
	s_and_not1_b32 s43, s43, exec_lo
	s_and_b32 s46, s46, exec_lo
	s_or_b32 s44, s0, s44
	s_or_b32 s43, s43, s46
	s_or_not1_b32 s46, s49, exec_lo
.LBB25_4:                               ;   in Loop: Header=BB25_17 Depth=1
	s_or_b32 exec_lo, exec_lo, s45
	s_delay_alu instid0(SALU_CYCLE_1)
	s_and_not1_b32 s0, s41, exec_lo
	s_and_b32 s41, s44, exec_lo
	s_and_not1_b32 s40, s40, exec_lo
	s_and_b32 s43, s43, exec_lo
	s_or_b32 s41, s0, s41
	s_or_b32 s40, s40, s43
	s_or_not1_b32 s43, s46, exec_lo
.LBB25_5:                               ;   in Loop: Header=BB25_17 Depth=1
	s_or_b32 exec_lo, exec_lo, s42
	s_delay_alu instid0(SALU_CYCLE_1)
	s_and_not1_b32 s0, s37, exec_lo
	s_and_b32 s37, s41, exec_lo
	s_and_not1_b32 s36, s36, exec_lo
	s_and_b32 s40, s40, exec_lo
	s_or_b32 s37, s0, s37
	s_or_b32 s36, s36, s40
	s_or_not1_b32 s40, s43, exec_lo
.LBB25_6:                               ;   in Loop: Header=BB25_17 Depth=1
	s_or_b32 exec_lo, exec_lo, s39
	s_delay_alu instid0(SALU_CYCLE_1)
	s_and_not1_b32 s0, s34, exec_lo
	s_and_b32 s34, s37, exec_lo
	s_and_not1_b32 s31, s31, exec_lo
	s_and_b32 s36, s36, exec_lo
	s_or_b32 s34, s0, s34
	s_or_b32 s31, s31, s36
	s_or_not1_b32 s36, s40, exec_lo
.LBB25_7:                               ;   in Loop: Header=BB25_17 Depth=1
	s_or_b32 exec_lo, exec_lo, s35
	s_delay_alu instid0(SALU_CYCLE_1)
	s_and_not1_b32 s0, vcc_hi, exec_lo
	s_and_b32 vcc_hi, s34, exec_lo
	s_and_not1_b32 s29, s29, exec_lo
	s_and_b32 s31, s31, exec_lo
	s_or_b32 vcc_hi, s0, vcc_hi
	s_or_b32 s29, s29, s31
	s_or_not1_b32 s31, s36, exec_lo
.LBB25_8:                               ;   in Loop: Header=BB25_17 Depth=1
	s_or_b32 exec_lo, exec_lo, s30
	s_delay_alu instid0(SALU_CYCLE_1)
	s_and_not1_b32 s0, s27, exec_lo
	s_and_b32 s27, vcc_hi, exec_lo
	s_and_not1_b32 s26, s26, exec_lo
	s_and_b32 s29, s29, exec_lo
	s_or_b32 s27, s0, s27
	s_or_b32 s26, s26, s29
	s_or_not1_b32 s29, s31, exec_lo
.LBB25_9:                               ;   in Loop: Header=BB25_17 Depth=1
	s_or_b32 exec_lo, exec_lo, s28
	s_delay_alu instid0(SALU_CYCLE_1)
	s_and_not1_b32 s0, s24, exec_lo
	s_and_b32 s24, s27, exec_lo
	s_and_not1_b32 s23, s23, exec_lo
	s_and_b32 s26, s26, exec_lo
	s_or_b32 s24, s0, s24
	s_or_b32 s23, s23, s26
	s_or_not1_b32 s26, s29, exec_lo
.LBB25_10:                              ;   in Loop: Header=BB25_17 Depth=1
	s_or_b32 exec_lo, exec_lo, s25
	s_delay_alu instid0(SALU_CYCLE_1)
	s_and_not1_b32 s0, s21, exec_lo
	s_and_b32 s21, s24, exec_lo
	s_and_not1_b32 s20, s20, exec_lo
	s_and_b32 s23, s23, exec_lo
	s_or_b32 s21, s0, s21
	s_or_b32 s20, s20, s23
	s_or_not1_b32 s23, s26, exec_lo
.LBB25_11:                              ;   in Loop: Header=BB25_17 Depth=1
	s_or_b32 exec_lo, exec_lo, s22
	s_delay_alu instid0(SALU_CYCLE_1)
	s_and_not1_b32 s0, s18, exec_lo
	s_and_b32 s18, s21, exec_lo
	s_and_not1_b32 s17, s17, exec_lo
	s_and_b32 s20, s20, exec_lo
	s_or_b32 s18, s0, s18
	s_or_b32 s17, s17, s20
	s_or_not1_b32 s20, s23, exec_lo
.LBB25_12:                              ;   in Loop: Header=BB25_17 Depth=1
	s_or_b32 exec_lo, exec_lo, s19
	s_delay_alu instid0(SALU_CYCLE_1)
	s_and_not1_b32 s0, s15, exec_lo
	s_and_b32 s15, s18, exec_lo
	s_and_not1_b32 s14, s14, exec_lo
	s_and_b32 s17, s17, exec_lo
	s_or_b32 s15, s0, s15
	s_or_b32 s14, s14, s17
	s_or_not1_b32 s17, s20, exec_lo
.LBB25_13:                              ;   in Loop: Header=BB25_17 Depth=1
	s_or_b32 exec_lo, exec_lo, s16
	s_delay_alu instid0(SALU_CYCLE_1)
	s_and_not1_b32 s0, s12, exec_lo
	s_and_b32 s12, s15, exec_lo
	s_and_not1_b32 s11, s11, exec_lo
	s_and_b32 s14, s14, exec_lo
	s_or_b32 s12, s0, s12
	s_or_b32 s11, s11, s14
	s_or_not1_b32 s14, s17, exec_lo
.LBB25_14:                              ;   in Loop: Header=BB25_17 Depth=1
	s_or_b32 exec_lo, exec_lo, s13
	s_delay_alu instid0(SALU_CYCLE_1)
	s_and_not1_b32 s0, s9, exec_lo
	s_and_b32 s9, s12, exec_lo
	s_and_not1_b32 s8, s8, exec_lo
	s_and_b32 s11, s11, exec_lo
	s_or_b32 s9, s0, s9
	s_or_b32 s8, s8, s11
	s_or_not1_b32 s11, s14, exec_lo
.LBB25_15:                              ;   in Loop: Header=BB25_17 Depth=1
	s_or_b32 exec_lo, exec_lo, s10
	s_delay_alu instid0(SALU_CYCLE_1)
	s_and_not1_b32 s0, s6, exec_lo
	s_and_b32 s6, s9, exec_lo
	s_and_not1_b32 s5, s5, exec_lo
	s_and_b32 s8, s8, exec_lo
	s_or_b32 s6, s0, s6
	s_or_b32 s5, s5, s8
	s_or_not1_b32 s0, s11, exec_lo
.LBB25_16:                              ;   in Loop: Header=BB25_17 Depth=1
	s_or_b32 exec_lo, exec_lo, s7
	s_delay_alu instid0(SALU_CYCLE_1) | instskip(NEXT) | instid1(SALU_CYCLE_1)
	s_and_b32 s0, exec_lo, s0
	s_or_b32 s4, s0, s4
	s_and_not1_b32 s0, s3, exec_lo
	s_and_b32 s3, s6, exec_lo
	s_and_not1_b32 s2, s2, exec_lo
	s_and_b32 s7, s5, exec_lo
	s_or_b32 s3, s0, s3
	s_or_b32 s2, s2, s7
	s_and_not1_b32 exec_lo, exec_lo, s4
	s_cbranch_execz .LBB25_3650
.LBB25_17:                              ; =>This Inner Loop Header: Depth=1
	s_mov_b32 s8, -1
	s_mov_b32 s7, exec_lo
                                        ; implicit-def: $sgpr9
                                        ; implicit-def: $sgpr10
	v_cmpx_lt_i32_e64 v7, v146
	s_cbranch_execz .LBB25_127
; %bb.18:                               ;   in Loop: Header=BB25_17 Depth=1
	s_waitcnt vmcnt(0) lgkmcnt(0)
	v_add_nc_u32_e32 v12, s38, v7
	s_mov_b32 s11, 0
	s_mov_b32 s10, exec_lo
                                        ; implicit-def: $sgpr8
                                        ; implicit-def: $sgpr9
                                        ; implicit-def: $vgpr13
	s_delay_alu instid0(VALU_DEP_1) | instskip(NEXT) | instid1(VALU_DEP_1)
	v_mul_lo_u32 v0, v12, v10
	v_add_co_u32 v0, s0, v3, v0
	s_delay_alu instid0(VALU_DEP_1)
	v_add_co_ci_u32_e64 v1, s0, 0, v4, s0
	v_cmpx_lt_i16_e32 10, v2
	s_xor_b32 s10, exec_lo, s10
	s_cbranch_execnz .LBB25_21
; %bb.19:                               ;   in Loop: Header=BB25_17 Depth=1
	s_and_not1_saveexec_b32 s10, s10
	s_cbranch_execnz .LBB25_80
.LBB25_20:                              ;   in Loop: Header=BB25_17 Depth=1
	s_or_b32 exec_lo, exec_lo, s10
	s_mov_b32 s0, 0
	s_and_saveexec_b32 s10, s11
	s_cbranch_execnz .LBB25_121
	s_branch .LBB25_126
.LBB25_21:                              ;   in Loop: Header=BB25_17 Depth=1
	s_mov_b32 s8, exec_lo
                                        ; implicit-def: $sgpr12
                                        ; implicit-def: $sgpr9
                                        ; implicit-def: $vgpr13
	v_cmpx_lt_i16_e32 25, v2
	s_xor_b32 s8, exec_lo, s8
	s_cbranch_execz .LBB25_53
; %bb.22:                               ;   in Loop: Header=BB25_17 Depth=1
	s_mov_b32 s13, exec_lo
                                        ; implicit-def: $sgpr12
                                        ; implicit-def: $sgpr9
                                        ; implicit-def: $vgpr13
	v_cmpx_lt_i16_e32 28, v2
	s_xor_b32 s13, exec_lo, s13
	s_cbranch_execz .LBB25_38
; %bb.23:                               ;   in Loop: Header=BB25_17 Depth=1
	s_mov_b32 s14, 0
	s_mov_b32 s9, exec_lo
                                        ; implicit-def: $sgpr11
                                        ; implicit-def: $sgpr12
                                        ; implicit-def: $vgpr13
	v_cmpx_lt_i16_e32 43, v2
	s_xor_b32 s9, exec_lo, s9
	s_cbranch_execz .LBB25_33
; %bb.24:                               ;   in Loop: Header=BB25_17 Depth=1
	s_mov_b32 s12, exec_lo
                                        ; implicit-def: $sgpr11
                                        ; implicit-def: $sgpr15
                                        ; implicit-def: $vgpr13
	v_cmpx_lt_i16_e32 45, v2
	s_xor_b32 s12, exec_lo, s12
	s_cbranch_execz .LBB25_28
; %bb.25:                               ;   in Loop: Header=BB25_17 Depth=1
	s_mov_b32 s11, 0
	s_mov_b32 s15, exec_lo
                                        ; implicit-def: $vgpr13
	v_cmpx_eq_u16_e32 46, v2
	s_cbranch_execz .LBB25_27
; %bb.26:                               ;   in Loop: Header=BB25_17 Depth=1
	flat_load_b32 v0, v[0:1]
	s_mov_b32 s14, exec_lo
	s_waitcnt vmcnt(0) lgkmcnt(0)
	v_lshlrev_b32_e32 v13, 16, v0
.LBB25_27:                              ;   in Loop: Header=BB25_17 Depth=1
	s_or_b32 exec_lo, exec_lo, s15
	s_mov_b32 s15, -1
	s_and_b32 s14, s14, exec_lo
                                        ; implicit-def: $vgpr0_vgpr1
.LBB25_28:                              ;   in Loop: Header=BB25_17 Depth=1
	s_and_not1_saveexec_b32 s12, s12
	s_cbranch_execz .LBB25_32
; %bb.29:                               ;   in Loop: Header=BB25_17 Depth=1
	s_mov_b32 s17, s14
	s_mov_b32 s16, exec_lo
                                        ; implicit-def: $vgpr13
	v_cmpx_eq_u16_e32 44, v2
	s_cbranch_execz .LBB25_31
; %bb.30:                               ;   in Loop: Header=BB25_17 Depth=1
	flat_load_u8 v0, v[0:1]
	s_or_b32 s17, s14, exec_lo
	s_waitcnt vmcnt(0) lgkmcnt(0)
	v_lshlrev_b32_e32 v1, 23, v0
	v_cmp_ne_u32_e64 s0, 0xff, v0
	s_delay_alu instid0(VALU_DEP_1) | instskip(SKIP_1) | instid1(VALU_DEP_1)
	v_cndmask_b32_e64 v1, 0x7f800001, v1, s0
	v_cmp_ne_u32_e64 s0, 0, v0
	v_cndmask_b32_e64 v13, 0x400000, v1, s0
.LBB25_31:                              ;   in Loop: Header=BB25_17 Depth=1
	s_or_b32 exec_lo, exec_lo, s16
	s_delay_alu instid0(SALU_CYCLE_1)
	s_and_not1_b32 s0, s14, exec_lo
	s_and_b32 s14, s17, exec_lo
	s_and_not1_b32 s11, s11, exec_lo
	s_or_b32 s15, s15, exec_lo
	s_or_b32 s14, s0, s14
.LBB25_32:                              ;   in Loop: Header=BB25_17 Depth=1
	s_or_b32 exec_lo, exec_lo, s12
	s_delay_alu instid0(SALU_CYCLE_1)
	s_and_b32 s12, s11, exec_lo
	s_and_b32 s11, s15, exec_lo
	;; [unrolled: 1-line block ×3, first 2 shown]
                                        ; implicit-def: $vgpr0_vgpr1
.LBB25_33:                              ;   in Loop: Header=BB25_17 Depth=1
	s_and_not1_saveexec_b32 s9, s9
	s_cbranch_execz .LBB25_37
; %bb.34:                               ;   in Loop: Header=BB25_17 Depth=1
	s_mov_b32 s16, s14
	s_mov_b32 s15, exec_lo
                                        ; implicit-def: $vgpr13
	v_cmpx_eq_u16_e32 29, v2
	s_cbranch_execz .LBB25_36
; %bb.35:                               ;   in Loop: Header=BB25_17 Depth=1
	flat_load_b64 v[0:1], v[0:1]
	s_or_b32 s16, s14, exec_lo
	s_waitcnt vmcnt(0) lgkmcnt(0)
	v_clz_i32_u32_e32 v8, v1
	s_delay_alu instid0(VALU_DEP_1) | instskip(NEXT) | instid1(VALU_DEP_1)
	v_min_u32_e32 v8, 32, v8
	v_lshlrev_b64 v[0:1], v8, v[0:1]
	s_delay_alu instid0(VALU_DEP_1) | instskip(NEXT) | instid1(VALU_DEP_1)
	v_min_u32_e32 v0, 1, v0
	v_or_b32_e32 v0, v1, v0
	v_sub_nc_u32_e32 v1, 32, v8
	s_delay_alu instid0(VALU_DEP_2) | instskip(NEXT) | instid1(VALU_DEP_1)
	v_cvt_f32_u32_e32 v0, v0
	v_ldexp_f32 v13, v0, v1
.LBB25_36:                              ;   in Loop: Header=BB25_17 Depth=1
	s_or_b32 exec_lo, exec_lo, s15
	s_delay_alu instid0(SALU_CYCLE_1)
	s_and_not1_b32 s0, s14, exec_lo
	s_and_b32 s14, s16, exec_lo
	s_and_not1_b32 s12, s12, exec_lo
	s_or_b32 s11, s11, exec_lo
	s_or_b32 s14, s0, s14
.LBB25_37:                              ;   in Loop: Header=BB25_17 Depth=1
	s_or_b32 exec_lo, exec_lo, s9
	s_delay_alu instid0(SALU_CYCLE_1)
	s_and_b32 s9, s12, exec_lo
	s_and_b32 s12, s11, exec_lo
	;; [unrolled: 1-line block ×3, first 2 shown]
                                        ; implicit-def: $vgpr0_vgpr1
.LBB25_38:                              ;   in Loop: Header=BB25_17 Depth=1
	s_and_not1_saveexec_b32 s13, s13
	s_cbranch_execz .LBB25_52
; %bb.39:                               ;   in Loop: Header=BB25_17 Depth=1
	s_mov_b32 s14, exec_lo
                                        ; implicit-def: $vgpr13
	v_cmpx_lt_i16_e32 26, v2
	s_xor_b32 s14, exec_lo, s14
	s_cbranch_execz .LBB25_45
; %bb.40:                               ;   in Loop: Header=BB25_17 Depth=1
	v_cmp_lt_i16_e64 s0, 27, v2
                                        ; implicit-def: $vgpr13
	s_delay_alu instid0(VALU_DEP_1) | instskip(NEXT) | instid1(SALU_CYCLE_1)
	s_and_saveexec_b32 s15, s0
	s_xor_b32 s0, exec_lo, s15
	s_cbranch_execz .LBB25_42
; %bb.41:                               ;   in Loop: Header=BB25_17 Depth=1
	flat_load_b32 v0, v[0:1]
	s_waitcnt vmcnt(0) lgkmcnt(0)
	v_cvt_f32_u32_e32 v13, v0
                                        ; implicit-def: $vgpr0_vgpr1
.LBB25_42:                              ;   in Loop: Header=BB25_17 Depth=1
	s_and_not1_saveexec_b32 s0, s0
	s_cbranch_execz .LBB25_44
; %bb.43:                               ;   in Loop: Header=BB25_17 Depth=1
	flat_load_u16 v0, v[0:1]
	s_waitcnt vmcnt(0) lgkmcnt(0)
	v_cvt_f32_u32_e32 v13, v0
.LBB25_44:                              ;   in Loop: Header=BB25_17 Depth=1
	s_or_b32 exec_lo, exec_lo, s0
                                        ; implicit-def: $vgpr0_vgpr1
.LBB25_45:                              ;   in Loop: Header=BB25_17 Depth=1
	s_and_not1_saveexec_b32 s14, s14
	s_cbranch_execz .LBB25_51
; %bb.46:                               ;   in Loop: Header=BB25_17 Depth=1
	flat_load_u8 v0, v[0:1]
	s_mov_b32 s15, 0
	s_mov_b32 s17, exec_lo
                                        ; implicit-def: $sgpr16
	s_waitcnt vmcnt(0) lgkmcnt(0)
	v_cmpx_lt_i16_e32 0x7f, v0
	s_xor_b32 s17, exec_lo, s17
	s_cbranch_execnz .LBB25_765
; %bb.47:                               ;   in Loop: Header=BB25_17 Depth=1
	s_or_saveexec_b32 s17, s17
	v_mov_b32_e32 v13, s16
	s_xor_b32 exec_lo, exec_lo, s17
	s_cbranch_execnz .LBB25_768
.LBB25_48:                              ;   in Loop: Header=BB25_17 Depth=1
	s_or_b32 exec_lo, exec_lo, s17
	s_and_saveexec_b32 s16, s15
	s_cbranch_execz .LBB25_50
.LBB25_49:                              ;   in Loop: Header=BB25_17 Depth=1
	v_and_b32_e32 v1, 0xffff, v0
	v_lshlrev_b32_e32 v0, 24, v0
	s_delay_alu instid0(VALU_DEP_2) | instskip(NEXT) | instid1(VALU_DEP_2)
	v_and_b32_e32 v8, 7, v1
	v_and_b32_e32 v0, 0x80000000, v0
	s_delay_alu instid0(VALU_DEP_2) | instskip(NEXT) | instid1(VALU_DEP_1)
	v_clz_i32_u32_e32 v13, v8
	v_min_u32_e32 v13, 32, v13
	s_delay_alu instid0(VALU_DEP_1) | instskip(SKIP_1) | instid1(VALU_DEP_2)
	v_subrev_nc_u32_e32 v14, 28, v13
	v_sub_nc_u32_e32 v13, 29, v13
	v_lshlrev_b32_e32 v14, v14, v1
	v_bfe_u32 v1, v1, 3, 4
	s_delay_alu instid0(VALU_DEP_2) | instskip(NEXT) | instid1(VALU_DEP_2)
	v_and_b32_e32 v14, 7, v14
	v_cmp_eq_u32_e64 s0, 0, v1
	s_delay_alu instid0(VALU_DEP_1) | instskip(NEXT) | instid1(VALU_DEP_3)
	v_cndmask_b32_e64 v1, v1, v13, s0
	v_cndmask_b32_e64 v8, v8, v14, s0
	s_delay_alu instid0(VALU_DEP_2) | instskip(NEXT) | instid1(VALU_DEP_2)
	v_lshl_add_u32 v1, v1, 23, 0x3b800000
	v_lshlrev_b32_e32 v8, 20, v8
	s_delay_alu instid0(VALU_DEP_1)
	v_or3_b32 v13, v0, v1, v8
.LBB25_50:                              ;   in Loop: Header=BB25_17 Depth=1
	s_or_b32 exec_lo, exec_lo, s16
.LBB25_51:                              ;   in Loop: Header=BB25_17 Depth=1
	s_delay_alu instid0(SALU_CYCLE_1) | instskip(NEXT) | instid1(SALU_CYCLE_1)
	s_or_b32 exec_lo, exec_lo, s14
	s_and_not1_b32 s9, s9, exec_lo
	s_and_not1_b32 s12, s12, exec_lo
	s_or_b32 s11, s11, exec_lo
.LBB25_52:                              ;   in Loop: Header=BB25_17 Depth=1
	s_or_b32 exec_lo, exec_lo, s13
	s_delay_alu instid0(SALU_CYCLE_1)
	s_and_b32 s9, s9, exec_lo
	s_and_b32 s12, s12, exec_lo
	;; [unrolled: 1-line block ×3, first 2 shown]
                                        ; implicit-def: $vgpr0_vgpr1
.LBB25_53:                              ;   in Loop: Header=BB25_17 Depth=1
	s_and_not1_saveexec_b32 s8, s8
	s_cbranch_execz .LBB25_79
; %bb.54:                               ;   in Loop: Header=BB25_17 Depth=1
	s_mov_b32 s14, s11
	s_mov_b32 s13, exec_lo
                                        ; implicit-def: $vgpr13
	v_cmpx_lt_i16_e32 22, v2
	s_xor_b32 s13, exec_lo, s13
	s_cbranch_execz .LBB25_68
; %bb.55:                               ;   in Loop: Header=BB25_17 Depth=1
	s_mov_b32 s14, exec_lo
                                        ; implicit-def: $vgpr13
	v_cmpx_lt_i16_e32 23, v2
	s_xor_b32 s14, exec_lo, s14
	s_cbranch_execz .LBB25_65
; %bb.56:                               ;   in Loop: Header=BB25_17 Depth=1
	;; [unrolled: 6-line block ×3, first 2 shown]
	flat_load_u8 v0, v[0:1]
	s_mov_b32 s16, 0
	s_mov_b32 s18, exec_lo
                                        ; implicit-def: $sgpr17
	s_waitcnt vmcnt(0) lgkmcnt(0)
	v_cmpx_lt_i16_e32 0x7f, v0
	s_xor_b32 s18, exec_lo, s18
	s_cbranch_execnz .LBB25_980
; %bb.58:                               ;   in Loop: Header=BB25_17 Depth=1
	s_or_saveexec_b32 s18, s18
	v_mov_b32_e32 v13, s17
	s_xor_b32 exec_lo, exec_lo, s18
	s_cbranch_execnz .LBB25_983
.LBB25_59:                              ;   in Loop: Header=BB25_17 Depth=1
	s_or_b32 exec_lo, exec_lo, s18
	s_and_saveexec_b32 s17, s16
	s_cbranch_execz .LBB25_61
.LBB25_60:                              ;   in Loop: Header=BB25_17 Depth=1
	v_and_b32_e32 v1, 0xffff, v0
	v_lshlrev_b32_e32 v0, 24, v0
	s_delay_alu instid0(VALU_DEP_2) | instskip(NEXT) | instid1(VALU_DEP_2)
	v_and_b32_e32 v8, 3, v1
	v_and_b32_e32 v0, 0x80000000, v0
	s_delay_alu instid0(VALU_DEP_2) | instskip(NEXT) | instid1(VALU_DEP_1)
	v_clz_i32_u32_e32 v13, v8
	v_min_u32_e32 v13, 32, v13
	s_delay_alu instid0(VALU_DEP_1) | instskip(SKIP_1) | instid1(VALU_DEP_2)
	v_subrev_nc_u32_e32 v14, 29, v13
	v_sub_nc_u32_e32 v13, 30, v13
	v_lshlrev_b32_e32 v14, v14, v1
	v_bfe_u32 v1, v1, 2, 5
	s_delay_alu instid0(VALU_DEP_2) | instskip(NEXT) | instid1(VALU_DEP_2)
	v_and_b32_e32 v14, 3, v14
	v_cmp_eq_u32_e64 s0, 0, v1
	s_delay_alu instid0(VALU_DEP_1) | instskip(NEXT) | instid1(VALU_DEP_3)
	v_cndmask_b32_e64 v1, v1, v13, s0
	v_cndmask_b32_e64 v8, v8, v14, s0
	s_delay_alu instid0(VALU_DEP_2) | instskip(NEXT) | instid1(VALU_DEP_2)
	v_lshl_add_u32 v1, v1, 23, 0x37800000
	v_lshlrev_b32_e32 v8, 21, v8
	s_delay_alu instid0(VALU_DEP_1)
	v_or3_b32 v13, v0, v1, v8
.LBB25_61:                              ;   in Loop: Header=BB25_17 Depth=1
	s_or_b32 exec_lo, exec_lo, s17
                                        ; implicit-def: $vgpr0_vgpr1
.LBB25_62:                              ;   in Loop: Header=BB25_17 Depth=1
	s_and_not1_saveexec_b32 s15, s15
	s_cbranch_execz .LBB25_64
; %bb.63:                               ;   in Loop: Header=BB25_17 Depth=1
	flat_load_u8 v0, v[0:1]
	s_waitcnt vmcnt(0) lgkmcnt(0)
	v_lshlrev_b32_e32 v0, 24, v0
	s_delay_alu instid0(VALU_DEP_1) | instskip(NEXT) | instid1(VALU_DEP_1)
	v_and_b32_e32 v1, 0x7f000000, v0
	v_clz_i32_u32_e32 v8, v1
	v_add_nc_u32_e32 v14, 0x1000000, v1
	v_cmp_ne_u32_e64 s0, 0, v1
	s_delay_alu instid0(VALU_DEP_3) | instskip(NEXT) | instid1(VALU_DEP_1)
	v_min_u32_e32 v8, 32, v8
	v_sub_nc_u32_e64 v8, v8, 4 clamp
	s_delay_alu instid0(VALU_DEP_1) | instskip(SKIP_1) | instid1(VALU_DEP_2)
	v_lshlrev_b32_e32 v13, v8, v1
	v_lshlrev_b32_e32 v8, 23, v8
	v_lshrrev_b32_e32 v13, 4, v13
	s_delay_alu instid0(VALU_DEP_1) | instskip(SKIP_1) | instid1(VALU_DEP_2)
	v_sub_nc_u32_e32 v8, v13, v8
	v_ashrrev_i32_e32 v13, 8, v14
	v_add_nc_u32_e32 v8, 0x3c000000, v8
	s_delay_alu instid0(VALU_DEP_1) | instskip(NEXT) | instid1(VALU_DEP_1)
	v_and_or_b32 v8, 0x7f800000, v13, v8
	v_cndmask_b32_e64 v1, 0, v8, s0
	s_delay_alu instid0(VALU_DEP_1)
	v_and_or_b32 v13, 0x80000000, v0, v1
.LBB25_64:                              ;   in Loop: Header=BB25_17 Depth=1
	s_or_b32 exec_lo, exec_lo, s15
                                        ; implicit-def: $vgpr0_vgpr1
.LBB25_65:                              ;   in Loop: Header=BB25_17 Depth=1
	s_and_not1_saveexec_b32 s14, s14
	s_cbranch_execz .LBB25_67
; %bb.66:                               ;   in Loop: Header=BB25_17 Depth=1
	flat_load_u8 v0, v[0:1]
	s_waitcnt vmcnt(0) lgkmcnt(0)
	v_lshlrev_b32_e32 v1, 25, v0
	v_lshlrev_b16 v0, 8, v0
	s_delay_alu instid0(VALU_DEP_2) | instskip(NEXT) | instid1(VALU_DEP_2)
	v_lshrrev_b32_e32 v8, 4, v1
	v_and_or_b32 v13, 0x7f00, v0, 0.5
	v_cmp_gt_u32_e64 s0, 0x8000000, v1
	v_bfe_i32 v0, v0, 0, 16
	s_delay_alu instid0(VALU_DEP_4) | instskip(NEXT) | instid1(VALU_DEP_1)
	v_or_b32_e32 v8, 0x70000000, v8
	v_dual_add_f32 v13, -0.5, v13 :: v_dual_mul_f32 v8, 0x7800000, v8
	s_delay_alu instid0(VALU_DEP_1) | instskip(NEXT) | instid1(VALU_DEP_1)
	v_cndmask_b32_e64 v1, v8, v13, s0
	v_and_or_b32 v13, 0x80000000, v0, v1
.LBB25_67:                              ;   in Loop: Header=BB25_17 Depth=1
	s_or_b32 exec_lo, exec_lo, s14
	s_delay_alu instid0(SALU_CYCLE_1)
	s_or_b32 s14, s11, exec_lo
                                        ; implicit-def: $vgpr0_vgpr1
.LBB25_68:                              ;   in Loop: Header=BB25_17 Depth=1
	s_or_saveexec_b32 s13, s13
                                        ; implicit-def: $sgpr15
                                        ; implicit-def: $sgpr0
	s_delay_alu instid0(SALU_CYCLE_1)
	s_xor_b32 exec_lo, exec_lo, s13
	s_cbranch_execz .LBB25_78
; %bb.69:                               ;   in Loop: Header=BB25_17 Depth=1
	s_mov_b32 s16, s14
	s_mov_b32 s18, exec_lo
                                        ; implicit-def: $sgpr17
                                        ; implicit-def: $sgpr15
                                        ; implicit-def: $vgpr13
	v_cmpx_lt_i16_e32 14, v2
	s_xor_b32 s18, exec_lo, s18
	s_cbranch_execz .LBB25_73
; %bb.70:                               ;   in Loop: Header=BB25_17 Depth=1
	s_mov_b32 s16, s14
	s_mov_b32 s15, exec_lo
                                        ; implicit-def: $vgpr13
	v_cmpx_eq_u16_e32 15, v2
	s_cbranch_execz .LBB25_72
; %bb.71:                               ;   in Loop: Header=BB25_17 Depth=1
	flat_load_u16 v0, v[0:1]
	s_or_b32 s16, s14, exec_lo
	s_waitcnt vmcnt(0) lgkmcnt(0)
	v_lshlrev_b32_e32 v13, 16, v0
.LBB25_72:                              ;   in Loop: Header=BB25_17 Depth=1
	s_or_b32 exec_lo, exec_lo, s15
	s_delay_alu instid0(SALU_CYCLE_1)
	s_and_not1_b32 s0, s14, exec_lo
	s_and_b32 s16, s16, exec_lo
	s_mov_b32 s15, -1
	s_mov_b32 s17, 0
	s_or_b32 s16, s0, s16
                                        ; implicit-def: $vgpr0_vgpr1
.LBB25_73:                              ;   in Loop: Header=BB25_17 Depth=1
	s_and_not1_saveexec_b32 s18, s18
	s_cbranch_execz .LBB25_77
; %bb.74:                               ;   in Loop: Header=BB25_17 Depth=1
	s_mov_b32 s19, s16
	s_mov_b32 s20, exec_lo
                                        ; implicit-def: $vgpr13
	v_cmpx_eq_u16_e32 11, v2
	s_cbranch_execz .LBB25_76
; %bb.75:                               ;   in Loop: Header=BB25_17 Depth=1
	flat_load_u8 v0, v[0:1]
	s_or_b32 s19, s16, exec_lo
	s_waitcnt vmcnt(0) lgkmcnt(0)
	v_cmp_ne_u16_e64 s0, 0, v0
	s_delay_alu instid0(VALU_DEP_1)
	v_cndmask_b32_e64 v13, 0, 1.0, s0
.LBB25_76:                              ;   in Loop: Header=BB25_17 Depth=1
	s_or_b32 exec_lo, exec_lo, s20
	s_delay_alu instid0(SALU_CYCLE_1)
	s_and_not1_b32 s0, s16, exec_lo
	s_and_b32 s16, s19, exec_lo
	s_and_not1_b32 s17, s17, exec_lo
	s_or_b32 s15, s15, exec_lo
	s_or_b32 s16, s0, s16
.LBB25_77:                              ;   in Loop: Header=BB25_17 Depth=1
	s_or_b32 exec_lo, exec_lo, s18
	s_delay_alu instid0(SALU_CYCLE_1)
	s_and_not1_b32 s14, s14, exec_lo
	s_and_b32 s16, s16, exec_lo
	s_and_b32 s0, s17, exec_lo
	;; [unrolled: 1-line block ×3, first 2 shown]
	s_or_b32 s14, s14, s16
.LBB25_78:                              ;   in Loop: Header=BB25_17 Depth=1
	s_or_b32 exec_lo, exec_lo, s13
	s_delay_alu instid0(SALU_CYCLE_1)
	s_and_not1_b32 s9, s9, exec_lo
	s_and_b32 s0, s0, exec_lo
	s_and_not1_b32 s11, s11, exec_lo
	s_or_b32 s9, s9, s0
	s_and_not1_b32 s0, s12, exec_lo
	s_and_b32 s12, s15, exec_lo
	s_and_b32 s13, s14, exec_lo
	s_or_b32 s12, s0, s12
	s_or_b32 s11, s11, s13
.LBB25_79:                              ;   in Loop: Header=BB25_17 Depth=1
	s_or_b32 exec_lo, exec_lo, s8
	s_delay_alu instid0(SALU_CYCLE_1)
	s_and_b32 s9, s9, exec_lo
	s_and_b32 s8, s12, exec_lo
	;; [unrolled: 1-line block ×3, first 2 shown]
                                        ; implicit-def: $vgpr0_vgpr1
	s_and_not1_saveexec_b32 s10, s10
	s_cbranch_execz .LBB25_20
.LBB25_80:                              ;   in Loop: Header=BB25_17 Depth=1
	s_mov_b32 s12, exec_lo
                                        ; implicit-def: $vgpr13
	v_cmpx_lt_i16_e32 4, v2
	s_xor_b32 s12, exec_lo, s12
	s_cbranch_execz .LBB25_102
; %bb.81:                               ;   in Loop: Header=BB25_17 Depth=1
	s_mov_b32 s13, exec_lo
                                        ; implicit-def: $vgpr13
	v_cmpx_lt_i16_e32 7, v2
	s_xor_b32 s13, exec_lo, s13
	s_cbranch_execz .LBB25_91
; %bb.82:                               ;   in Loop: Header=BB25_17 Depth=1
	;; [unrolled: 6-line block ×3, first 2 shown]
	v_cmp_lt_i16_e64 s0, 9, v2
                                        ; implicit-def: $vgpr13
	s_delay_alu instid0(VALU_DEP_1) | instskip(NEXT) | instid1(SALU_CYCLE_1)
	s_and_saveexec_b32 s15, s0
	s_xor_b32 s0, exec_lo, s15
	s_cbranch_execz .LBB25_85
; %bb.84:                               ;   in Loop: Header=BB25_17 Depth=1
	flat_load_b64 v[0:1], v[0:1]
	s_waitcnt vmcnt(0) lgkmcnt(0)
	v_cvt_f32_f64_e32 v13, v[0:1]
                                        ; implicit-def: $vgpr0_vgpr1
.LBB25_85:                              ;   in Loop: Header=BB25_17 Depth=1
	s_and_not1_saveexec_b32 s0, s0
	s_cbranch_execz .LBB25_87
; %bb.86:                               ;   in Loop: Header=BB25_17 Depth=1
	flat_load_b32 v13, v[0:1]
.LBB25_87:                              ;   in Loop: Header=BB25_17 Depth=1
	s_or_b32 exec_lo, exec_lo, s0
                                        ; implicit-def: $vgpr0_vgpr1
.LBB25_88:                              ;   in Loop: Header=BB25_17 Depth=1
	s_and_not1_saveexec_b32 s0, s14
	s_cbranch_execz .LBB25_90
; %bb.89:                               ;   in Loop: Header=BB25_17 Depth=1
	flat_load_b32 v0, v[0:1]
	s_waitcnt vmcnt(0) lgkmcnt(0)
	v_cvt_f32_f16_e32 v13, v0
.LBB25_90:                              ;   in Loop: Header=BB25_17 Depth=1
	s_or_b32 exec_lo, exec_lo, s0
                                        ; implicit-def: $vgpr0_vgpr1
.LBB25_91:                              ;   in Loop: Header=BB25_17 Depth=1
	s_and_not1_saveexec_b32 s13, s13
	s_cbranch_execz .LBB25_101
; %bb.92:                               ;   in Loop: Header=BB25_17 Depth=1
	s_mov_b32 s14, exec_lo
                                        ; implicit-def: $vgpr13
	v_cmpx_lt_i16_e32 5, v2
	s_xor_b32 s14, exec_lo, s14
	s_cbranch_execz .LBB25_98
; %bb.93:                               ;   in Loop: Header=BB25_17 Depth=1
	v_cmp_lt_i16_e64 s0, 6, v2
                                        ; implicit-def: $vgpr13
	s_delay_alu instid0(VALU_DEP_1) | instskip(NEXT) | instid1(SALU_CYCLE_1)
	s_and_saveexec_b32 s15, s0
	s_xor_b32 s0, exec_lo, s15
	s_cbranch_execz .LBB25_95
; %bb.94:                               ;   in Loop: Header=BB25_17 Depth=1
	flat_load_b64 v[0:1], v[0:1]
	s_waitcnt vmcnt(0) lgkmcnt(0)
	v_cvt_f32_f64_e32 v13, v[0:1]
                                        ; implicit-def: $vgpr0_vgpr1
.LBB25_95:                              ;   in Loop: Header=BB25_17 Depth=1
	s_and_not1_saveexec_b32 s0, s0
	s_cbranch_execz .LBB25_97
; %bb.96:                               ;   in Loop: Header=BB25_17 Depth=1
	s_waitcnt vmcnt(0) lgkmcnt(0)
	flat_load_b32 v13, v[0:1]
.LBB25_97:                              ;   in Loop: Header=BB25_17 Depth=1
	s_or_b32 exec_lo, exec_lo, s0
                                        ; implicit-def: $vgpr0_vgpr1
.LBB25_98:                              ;   in Loop: Header=BB25_17 Depth=1
	s_and_not1_saveexec_b32 s0, s14
	s_cbranch_execz .LBB25_100
; %bb.99:                               ;   in Loop: Header=BB25_17 Depth=1
	flat_load_u16 v0, v[0:1]
	s_waitcnt vmcnt(0) lgkmcnt(0)
	v_cvt_f32_f16_e32 v13, v0
.LBB25_100:                             ;   in Loop: Header=BB25_17 Depth=1
	s_or_b32 exec_lo, exec_lo, s0
.LBB25_101:                             ;   in Loop: Header=BB25_17 Depth=1
	s_delay_alu instid0(SALU_CYCLE_1)
	s_or_b32 exec_lo, exec_lo, s13
                                        ; implicit-def: $vgpr0_vgpr1
.LBB25_102:                             ;   in Loop: Header=BB25_17 Depth=1
	s_and_not1_saveexec_b32 s12, s12
	s_cbranch_execz .LBB25_120
; %bb.103:                              ;   in Loop: Header=BB25_17 Depth=1
	s_mov_b32 s13, exec_lo
                                        ; implicit-def: $vgpr13
	v_cmpx_lt_i16_e32 1, v2
	s_xor_b32 s13, exec_lo, s13
	s_cbranch_execz .LBB25_113
; %bb.104:                              ;   in Loop: Header=BB25_17 Depth=1
	s_mov_b32 s14, exec_lo
                                        ; implicit-def: $vgpr13
	v_cmpx_lt_i16_e32 2, v2
	s_xor_b32 s14, exec_lo, s14
	s_cbranch_execz .LBB25_110
; %bb.105:                              ;   in Loop: Header=BB25_17 Depth=1
	v_cmp_lt_i16_e64 s0, 3, v2
                                        ; implicit-def: $vgpr13
	s_delay_alu instid0(VALU_DEP_1) | instskip(NEXT) | instid1(SALU_CYCLE_1)
	s_and_saveexec_b32 s15, s0
	s_xor_b32 s0, exec_lo, s15
	s_cbranch_execz .LBB25_107
; %bb.106:                              ;   in Loop: Header=BB25_17 Depth=1
	flat_load_b64 v[0:1], v[0:1]
	s_waitcnt vmcnt(0) lgkmcnt(0)
	v_xor_b32_e32 v8, v0, v1
	v_cls_i32_e32 v13, v1
	s_delay_alu instid0(VALU_DEP_2) | instskip(NEXT) | instid1(VALU_DEP_2)
	v_ashrrev_i32_e32 v8, 31, v8
	v_add_nc_u32_e32 v13, -1, v13
	s_delay_alu instid0(VALU_DEP_2) | instskip(NEXT) | instid1(VALU_DEP_1)
	v_add_nc_u32_e32 v8, 32, v8
	v_min_u32_e32 v8, v13, v8
	s_delay_alu instid0(VALU_DEP_1) | instskip(NEXT) | instid1(VALU_DEP_1)
	v_lshlrev_b64 v[0:1], v8, v[0:1]
	v_min_u32_e32 v0, 1, v0
	s_delay_alu instid0(VALU_DEP_1) | instskip(SKIP_1) | instid1(VALU_DEP_2)
	v_or_b32_e32 v0, v1, v0
	v_sub_nc_u32_e32 v1, 32, v8
	v_cvt_f32_i32_e32 v0, v0
	s_delay_alu instid0(VALU_DEP_1)
	v_ldexp_f32 v13, v0, v1
                                        ; implicit-def: $vgpr0_vgpr1
.LBB25_107:                             ;   in Loop: Header=BB25_17 Depth=1
	s_and_not1_saveexec_b32 s0, s0
	s_cbranch_execz .LBB25_109
; %bb.108:                              ;   in Loop: Header=BB25_17 Depth=1
	flat_load_b32 v0, v[0:1]
	s_waitcnt vmcnt(0) lgkmcnt(0)
	v_cvt_f32_i32_e32 v13, v0
.LBB25_109:                             ;   in Loop: Header=BB25_17 Depth=1
	s_or_b32 exec_lo, exec_lo, s0
                                        ; implicit-def: $vgpr0_vgpr1
.LBB25_110:                             ;   in Loop: Header=BB25_17 Depth=1
	s_and_not1_saveexec_b32 s0, s14
	s_cbranch_execz .LBB25_112
; %bb.111:                              ;   in Loop: Header=BB25_17 Depth=1
	flat_load_i16 v0, v[0:1]
	s_waitcnt vmcnt(0) lgkmcnt(0)
	v_cvt_f32_i32_e32 v13, v0
.LBB25_112:                             ;   in Loop: Header=BB25_17 Depth=1
	s_or_b32 exec_lo, exec_lo, s0
                                        ; implicit-def: $vgpr0_vgpr1
.LBB25_113:                             ;   in Loop: Header=BB25_17 Depth=1
	s_and_not1_saveexec_b32 s13, s13
	s_cbranch_execz .LBB25_119
; %bb.114:                              ;   in Loop: Header=BB25_17 Depth=1
	v_cmp_lt_i16_e64 s0, 0, v2
                                        ; implicit-def: $vgpr13
	s_delay_alu instid0(VALU_DEP_1) | instskip(NEXT) | instid1(SALU_CYCLE_1)
	s_and_saveexec_b32 s14, s0
	s_xor_b32 s0, exec_lo, s14
	s_cbranch_execz .LBB25_116
; %bb.115:                              ;   in Loop: Header=BB25_17 Depth=1
	flat_load_i8 v0, v[0:1]
	s_waitcnt vmcnt(0) lgkmcnt(0)
	v_cvt_f32_i32_e32 v13, v0
                                        ; implicit-def: $vgpr0_vgpr1
.LBB25_116:                             ;   in Loop: Header=BB25_17 Depth=1
	s_and_not1_saveexec_b32 s0, s0
	s_cbranch_execz .LBB25_118
; %bb.117:                              ;   in Loop: Header=BB25_17 Depth=1
	flat_load_u8 v0, v[0:1]
	s_waitcnt vmcnt(0) lgkmcnt(0)
	v_cvt_f32_ubyte0_e32 v13, v0
.LBB25_118:                             ;   in Loop: Header=BB25_17 Depth=1
	s_or_b32 exec_lo, exec_lo, s0
.LBB25_119:                             ;   in Loop: Header=BB25_17 Depth=1
	s_delay_alu instid0(SALU_CYCLE_1)
	s_or_b32 exec_lo, exec_lo, s13
.LBB25_120:                             ;   in Loop: Header=BB25_17 Depth=1
	s_delay_alu instid0(SALU_CYCLE_1) | instskip(NEXT) | instid1(SALU_CYCLE_1)
	s_or_b32 exec_lo, exec_lo, s12
	s_and_not1_b32 s9, s9, exec_lo
	s_and_not1_b32 s8, s8, exec_lo
	s_or_b32 s11, s11, exec_lo
	s_or_b32 exec_lo, exec_lo, s10
	s_mov_b32 s0, 0
	s_and_saveexec_b32 s10, s11
	s_cbranch_execz .LBB25_126
.LBB25_121:                             ;   in Loop: Header=BB25_17 Depth=1
	s_add_i32 s0, s33, 16
	s_mov_b32 s14, 0
	v_add_nc_u32_e64 v8, s1, s0
	s_mov_b32 s11, exec_lo
                                        ; implicit-def: $sgpr12
                                        ; implicit-def: $sgpr13
	s_delay_alu instid0(VALU_DEP_1) | instskip(SKIP_4) | instid1(VALU_DEP_2)
	v_add_nc_u32_e32 v0, 4, v8
	s_waitcnt vmcnt(0) lgkmcnt(0)
	scratch_store_b32 v0, v13, off
	v_mul_lo_u32 v0, v12, v11
	v_and_b32_e32 v13, 0xff, v9
                                        ; implicit-def: $vgpr12
	v_add_co_u32 v0, s0, v5, v0
	s_delay_alu instid0(VALU_DEP_1) | instskip(NEXT) | instid1(VALU_DEP_3)
	v_add_co_ci_u32_e64 v1, s0, 0, v6, s0
	v_cmpx_lt_i16_e32 10, v13
	s_xor_b32 s11, exec_lo, s11
	s_cbranch_execnz .LBB25_132
; %bb.122:                              ;   in Loop: Header=BB25_17 Depth=1
	s_and_not1_saveexec_b32 s11, s11
	s_cbranch_execnz .LBB25_191
.LBB25_123:                             ;   in Loop: Header=BB25_17 Depth=1
	s_or_b32 exec_lo, exec_lo, s11
	s_mov_b32 s0, 0
	s_and_saveexec_b32 s11, s14
	s_cbranch_execz .LBB25_125
.LBB25_124:                             ;   in Loop: Header=BB25_17 Depth=1
	v_add_nc_u32_e32 v7, 0x200, v7
	s_mov_b32 s0, exec_lo
	s_and_not1_b32 s13, s13, exec_lo
	s_and_not1_b32 s12, s12, exec_lo
	s_waitcnt vmcnt(0) lgkmcnt(0)
	scratch_store_b32 v8, v12, off
.LBB25_125:                             ;   in Loop: Header=BB25_17 Depth=1
	s_or_b32 exec_lo, exec_lo, s11
	s_delay_alu instid0(SALU_CYCLE_1)
	s_and_not1_b32 s9, s9, exec_lo
	s_and_b32 s11, s13, exec_lo
	s_and_not1_b32 s8, s8, exec_lo
	s_and_b32 s12, s12, exec_lo
	s_or_b32 s9, s9, s11
	s_or_b32 s8, s8, s12
	s_and_b32 s0, s0, exec_lo
.LBB25_126:                             ;   in Loop: Header=BB25_17 Depth=1
	s_or_b32 exec_lo, exec_lo, s10
	s_delay_alu instid0(SALU_CYCLE_1)
	s_and_b32 s10, s9, exec_lo
	s_and_b32 s9, s8, exec_lo
	s_or_not1_b32 s8, s0, exec_lo
.LBB25_127:                             ;   in Loop: Header=BB25_17 Depth=1
	s_or_b32 exec_lo, exec_lo, s7
	s_delay_alu instid0(SALU_CYCLE_1)
	s_and_not1_b32 s6, s6, exec_lo
	s_and_b32 s7, s10, exec_lo
	s_and_not1_b32 s5, s5, exec_lo
	s_and_b32 s9, s9, exec_lo
	s_mov_b32 s0, -1
	s_or_b32 s6, s6, s7
	s_or_b32 s5, s5, s9
	s_and_saveexec_b32 s7, s8
	s_cbranch_execz .LBB25_16
; %bb.128:                              ;   in Loop: Header=BB25_17 Depth=1
	s_mov_b32 s11, -1
	s_mov_b32 s12, -1
	s_mov_b32 s10, exec_lo
                                        ; implicit-def: $sgpr8
                                        ; implicit-def: $sgpr9
	v_cmpx_lt_i32_e64 v7, v146
	s_cbranch_execz .LBB25_338
; %bb.129:                              ;   in Loop: Header=BB25_17 Depth=1
	s_waitcnt vmcnt(0) lgkmcnt(0)
	v_add_nc_u32_e32 v12, s38, v7
	s_mov_b32 s13, 0
	s_mov_b32 s12, exec_lo
                                        ; implicit-def: $sgpr8
                                        ; implicit-def: $sgpr9
                                        ; implicit-def: $vgpr13
	s_delay_alu instid0(VALU_DEP_1) | instskip(NEXT) | instid1(VALU_DEP_1)
	v_mul_lo_u32 v0, v12, v10
	v_add_co_u32 v0, s0, v3, v0
	s_delay_alu instid0(VALU_DEP_1)
	v_add_co_ci_u32_e64 v1, s0, 0, v4, s0
	v_cmpx_lt_i16_e32 10, v2
	s_xor_b32 s12, exec_lo, s12
	s_cbranch_execnz .LBB25_232
; %bb.130:                              ;   in Loop: Header=BB25_17 Depth=1
	s_and_not1_saveexec_b32 s12, s12
	s_cbranch_execnz .LBB25_291
.LBB25_131:                             ;   in Loop: Header=BB25_17 Depth=1
	s_or_b32 exec_lo, exec_lo, s12
	s_mov_b32 s0, 0
	s_and_saveexec_b32 s12, s13
	s_cbranch_execnz .LBB25_332
	s_branch .LBB25_337
.LBB25_132:                             ;   in Loop: Header=BB25_17 Depth=1
	s_mov_b32 s12, exec_lo
                                        ; implicit-def: $sgpr15
                                        ; implicit-def: $sgpr13
                                        ; implicit-def: $vgpr12
	v_cmpx_lt_i16_e32 25, v13
	s_xor_b32 s12, exec_lo, s12
	s_cbranch_execz .LBB25_164
; %bb.133:                              ;   in Loop: Header=BB25_17 Depth=1
	s_mov_b32 s13, exec_lo
                                        ; implicit-def: $sgpr15
                                        ; implicit-def: $sgpr16
                                        ; implicit-def: $vgpr12
	v_cmpx_lt_i16_e32 28, v13
	s_xor_b32 s13, exec_lo, s13
	s_cbranch_execz .LBB25_149
; %bb.134:                              ;   in Loop: Header=BB25_17 Depth=1
	s_mov_b32 s17, 0
	s_mov_b32 s14, exec_lo
                                        ; implicit-def: $sgpr15
                                        ; implicit-def: $sgpr16
                                        ; implicit-def: $vgpr12
	v_cmpx_lt_i16_e32 43, v13
	s_xor_b32 s14, exec_lo, s14
	s_cbranch_execz .LBB25_144
; %bb.135:                              ;   in Loop: Header=BB25_17 Depth=1
	s_mov_b32 s18, exec_lo
                                        ; implicit-def: $sgpr16
                                        ; implicit-def: $sgpr15
                                        ; implicit-def: $vgpr12
	v_cmpx_lt_i16_e32 45, v13
	s_xor_b32 s18, exec_lo, s18
	s_cbranch_execz .LBB25_139
; %bb.136:                              ;   in Loop: Header=BB25_17 Depth=1
	s_mov_b32 s15, 0
	s_mov_b32 s16, exec_lo
                                        ; implicit-def: $vgpr12
	v_cmpx_eq_u16_e32 46, v13
	s_cbranch_execz .LBB25_138
; %bb.137:                              ;   in Loop: Header=BB25_17 Depth=1
	flat_load_b32 v0, v[0:1]
	s_mov_b32 s17, exec_lo
	s_waitcnt vmcnt(0) lgkmcnt(0)
	v_lshlrev_b32_e32 v12, 16, v0
.LBB25_138:                             ;   in Loop: Header=BB25_17 Depth=1
	s_or_b32 exec_lo, exec_lo, s16
	s_mov_b32 s16, -1
	s_and_b32 s17, s17, exec_lo
                                        ; implicit-def: $vgpr13
                                        ; implicit-def: $vgpr0_vgpr1
.LBB25_139:                             ;   in Loop: Header=BB25_17 Depth=1
	s_and_not1_saveexec_b32 s18, s18
	s_cbranch_execz .LBB25_143
; %bb.140:                              ;   in Loop: Header=BB25_17 Depth=1
	s_mov_b32 s20, s17
	s_mov_b32 s19, exec_lo
                                        ; implicit-def: $vgpr12
	v_cmpx_eq_u16_e32 44, v13
	s_cbranch_execz .LBB25_142
; %bb.141:                              ;   in Loop: Header=BB25_17 Depth=1
	flat_load_u8 v0, v[0:1]
	s_or_b32 s20, s17, exec_lo
	s_waitcnt vmcnt(0) lgkmcnt(0)
	v_lshlrev_b32_e32 v1, 23, v0
	v_cmp_ne_u32_e64 s0, 0xff, v0
	s_delay_alu instid0(VALU_DEP_1) | instskip(SKIP_1) | instid1(VALU_DEP_1)
	v_cndmask_b32_e64 v1, 0x7f800001, v1, s0
	v_cmp_ne_u32_e64 s0, 0, v0
	v_cndmask_b32_e64 v12, 0x400000, v1, s0
.LBB25_142:                             ;   in Loop: Header=BB25_17 Depth=1
	s_or_b32 exec_lo, exec_lo, s19
	s_delay_alu instid0(SALU_CYCLE_1)
	s_and_not1_b32 s0, s17, exec_lo
	s_and_b32 s17, s20, exec_lo
	s_or_b32 s16, s16, exec_lo
	s_and_not1_b32 s15, s15, exec_lo
	s_or_b32 s17, s0, s17
.LBB25_143:                             ;   in Loop: Header=BB25_17 Depth=1
	s_or_b32 exec_lo, exec_lo, s18
	s_delay_alu instid0(SALU_CYCLE_1)
	s_and_b32 s16, s16, exec_lo
	s_and_b32 s15, s15, exec_lo
	;; [unrolled: 1-line block ×3, first 2 shown]
                                        ; implicit-def: $vgpr13
                                        ; implicit-def: $vgpr0_vgpr1
.LBB25_144:                             ;   in Loop: Header=BB25_17 Depth=1
	s_and_not1_saveexec_b32 s14, s14
	s_cbranch_execz .LBB25_148
; %bb.145:                              ;   in Loop: Header=BB25_17 Depth=1
	s_mov_b32 s19, s17
	s_mov_b32 s18, exec_lo
                                        ; implicit-def: $vgpr12
	v_cmpx_eq_u16_e32 29, v13
	s_cbranch_execz .LBB25_147
; %bb.146:                              ;   in Loop: Header=BB25_17 Depth=1
	flat_load_b64 v[0:1], v[0:1]
	s_or_b32 s19, s17, exec_lo
	s_waitcnt vmcnt(0) lgkmcnt(0)
	v_clz_i32_u32_e32 v12, v1
	s_delay_alu instid0(VALU_DEP_1) | instskip(NEXT) | instid1(VALU_DEP_1)
	v_min_u32_e32 v12, 32, v12
	v_lshlrev_b64 v[0:1], v12, v[0:1]
	s_delay_alu instid0(VALU_DEP_1) | instskip(NEXT) | instid1(VALU_DEP_1)
	v_min_u32_e32 v0, 1, v0
	v_or_b32_e32 v0, v1, v0
	v_sub_nc_u32_e32 v1, 32, v12
	s_delay_alu instid0(VALU_DEP_2) | instskip(NEXT) | instid1(VALU_DEP_1)
	v_cvt_f32_u32_e32 v0, v0
	v_ldexp_f32 v12, v0, v1
.LBB25_147:                             ;   in Loop: Header=BB25_17 Depth=1
	s_or_b32 exec_lo, exec_lo, s18
	s_delay_alu instid0(SALU_CYCLE_1)
	s_and_not1_b32 s0, s17, exec_lo
	s_and_b32 s17, s19, exec_lo
	s_or_b32 s16, s16, exec_lo
	s_and_not1_b32 s15, s15, exec_lo
	s_or_b32 s17, s0, s17
.LBB25_148:                             ;   in Loop: Header=BB25_17 Depth=1
	s_or_b32 exec_lo, exec_lo, s14
	s_delay_alu instid0(SALU_CYCLE_1)
	s_and_b32 s16, s16, exec_lo
	s_and_b32 s15, s15, exec_lo
	;; [unrolled: 1-line block ×3, first 2 shown]
                                        ; implicit-def: $vgpr13
                                        ; implicit-def: $vgpr0_vgpr1
.LBB25_149:                             ;   in Loop: Header=BB25_17 Depth=1
	s_and_not1_saveexec_b32 s13, s13
	s_cbranch_execz .LBB25_163
; %bb.150:                              ;   in Loop: Header=BB25_17 Depth=1
	s_mov_b32 s17, exec_lo
                                        ; implicit-def: $vgpr12
	v_cmpx_lt_i16_e32 26, v13
	s_xor_b32 s17, exec_lo, s17
	s_cbranch_execz .LBB25_156
; %bb.151:                              ;   in Loop: Header=BB25_17 Depth=1
	v_cmp_lt_i16_e64 s0, 27, v13
                                        ; implicit-def: $vgpr12
	s_delay_alu instid0(VALU_DEP_1) | instskip(NEXT) | instid1(SALU_CYCLE_1)
	s_and_saveexec_b32 s18, s0
	s_xor_b32 s0, exec_lo, s18
	s_cbranch_execz .LBB25_153
; %bb.152:                              ;   in Loop: Header=BB25_17 Depth=1
	flat_load_b32 v0, v[0:1]
	s_waitcnt vmcnt(0) lgkmcnt(0)
	v_cvt_f32_u32_e32 v12, v0
                                        ; implicit-def: $vgpr0_vgpr1
.LBB25_153:                             ;   in Loop: Header=BB25_17 Depth=1
	s_and_not1_saveexec_b32 s0, s0
	s_cbranch_execz .LBB25_155
; %bb.154:                              ;   in Loop: Header=BB25_17 Depth=1
	flat_load_u16 v0, v[0:1]
	s_waitcnt vmcnt(0) lgkmcnt(0)
	v_cvt_f32_u32_e32 v12, v0
.LBB25_155:                             ;   in Loop: Header=BB25_17 Depth=1
	s_or_b32 exec_lo, exec_lo, s0
                                        ; implicit-def: $vgpr0_vgpr1
.LBB25_156:                             ;   in Loop: Header=BB25_17 Depth=1
	s_and_not1_saveexec_b32 s17, s17
	s_cbranch_execz .LBB25_162
; %bb.157:                              ;   in Loop: Header=BB25_17 Depth=1
	flat_load_u8 v0, v[0:1]
	s_mov_b32 s18, 0
	s_mov_b32 s20, exec_lo
                                        ; implicit-def: $sgpr19
	s_waitcnt vmcnt(0) lgkmcnt(0)
	v_cmpx_lt_i16_e32 0x7f, v0
	s_xor_b32 s20, exec_lo, s20
	s_cbranch_execnz .LBB25_984
; %bb.158:                              ;   in Loop: Header=BB25_17 Depth=1
	s_or_saveexec_b32 s20, s20
	v_mov_b32_e32 v12, s19
	s_xor_b32 exec_lo, exec_lo, s20
	s_cbranch_execnz .LBB25_987
.LBB25_159:                             ;   in Loop: Header=BB25_17 Depth=1
	s_or_b32 exec_lo, exec_lo, s20
	s_and_saveexec_b32 s19, s18
	s_cbranch_execz .LBB25_161
.LBB25_160:                             ;   in Loop: Header=BB25_17 Depth=1
	v_and_b32_e32 v1, 0xffff, v0
	v_lshlrev_b32_e32 v0, 24, v0
	s_delay_alu instid0(VALU_DEP_2) | instskip(NEXT) | instid1(VALU_DEP_2)
	v_and_b32_e32 v12, 7, v1
	v_and_b32_e32 v0, 0x80000000, v0
	s_delay_alu instid0(VALU_DEP_2) | instskip(NEXT) | instid1(VALU_DEP_1)
	v_clz_i32_u32_e32 v13, v12
	v_min_u32_e32 v13, 32, v13
	s_delay_alu instid0(VALU_DEP_1) | instskip(SKIP_1) | instid1(VALU_DEP_2)
	v_subrev_nc_u32_e32 v14, 28, v13
	v_sub_nc_u32_e32 v13, 29, v13
	v_lshlrev_b32_e32 v14, v14, v1
	v_bfe_u32 v1, v1, 3, 4
	s_delay_alu instid0(VALU_DEP_2) | instskip(NEXT) | instid1(VALU_DEP_2)
	v_and_b32_e32 v14, 7, v14
	v_cmp_eq_u32_e64 s0, 0, v1
	s_delay_alu instid0(VALU_DEP_1) | instskip(NEXT) | instid1(VALU_DEP_3)
	v_cndmask_b32_e64 v1, v1, v13, s0
	v_cndmask_b32_e64 v12, v12, v14, s0
	s_delay_alu instid0(VALU_DEP_2) | instskip(NEXT) | instid1(VALU_DEP_2)
	v_lshl_add_u32 v1, v1, 23, 0x3b800000
	v_lshlrev_b32_e32 v12, 20, v12
	s_delay_alu instid0(VALU_DEP_1)
	v_or3_b32 v12, v0, v1, v12
.LBB25_161:                             ;   in Loop: Header=BB25_17 Depth=1
	s_or_b32 exec_lo, exec_lo, s19
.LBB25_162:                             ;   in Loop: Header=BB25_17 Depth=1
	s_delay_alu instid0(SALU_CYCLE_1) | instskip(NEXT) | instid1(SALU_CYCLE_1)
	s_or_b32 exec_lo, exec_lo, s17
	s_and_not1_b32 s16, s16, exec_lo
	s_and_not1_b32 s15, s15, exec_lo
	s_or_b32 s14, s14, exec_lo
.LBB25_163:                             ;   in Loop: Header=BB25_17 Depth=1
	s_or_b32 exec_lo, exec_lo, s13
	s_delay_alu instid0(SALU_CYCLE_1)
	s_and_b32 s13, s16, exec_lo
	s_and_b32 s15, s15, exec_lo
	s_and_b32 s14, s14, exec_lo
                                        ; implicit-def: $vgpr13
                                        ; implicit-def: $vgpr0_vgpr1
.LBB25_164:                             ;   in Loop: Header=BB25_17 Depth=1
	s_and_not1_saveexec_b32 s12, s12
	s_cbranch_execz .LBB25_190
; %bb.165:                              ;   in Loop: Header=BB25_17 Depth=1
	s_mov_b32 s17, s14
	s_mov_b32 s16, exec_lo
                                        ; implicit-def: $vgpr12
	v_cmpx_lt_i16_e32 22, v13
	s_xor_b32 s16, exec_lo, s16
	s_cbranch_execz .LBB25_179
; %bb.166:                              ;   in Loop: Header=BB25_17 Depth=1
	s_mov_b32 s17, exec_lo
                                        ; implicit-def: $vgpr12
	v_cmpx_lt_i16_e32 23, v13
	s_xor_b32 s17, exec_lo, s17
	s_cbranch_execz .LBB25_176
; %bb.167:                              ;   in Loop: Header=BB25_17 Depth=1
	;; [unrolled: 6-line block ×3, first 2 shown]
	flat_load_u8 v0, v[0:1]
	s_mov_b32 s19, 0
	s_mov_b32 s21, exec_lo
                                        ; implicit-def: $sgpr20
	s_waitcnt vmcnt(0) lgkmcnt(0)
	v_cmpx_lt_i16_e32 0x7f, v0
	s_xor_b32 s21, exec_lo, s21
	s_cbranch_execnz .LBB25_1203
; %bb.169:                              ;   in Loop: Header=BB25_17 Depth=1
	s_or_saveexec_b32 s21, s21
	v_mov_b32_e32 v12, s20
	s_xor_b32 exec_lo, exec_lo, s21
	s_cbranch_execnz .LBB25_1206
.LBB25_170:                             ;   in Loop: Header=BB25_17 Depth=1
	s_or_b32 exec_lo, exec_lo, s21
	s_and_saveexec_b32 s20, s19
	s_cbranch_execz .LBB25_172
.LBB25_171:                             ;   in Loop: Header=BB25_17 Depth=1
	v_and_b32_e32 v1, 0xffff, v0
	v_lshlrev_b32_e32 v0, 24, v0
	s_delay_alu instid0(VALU_DEP_2) | instskip(NEXT) | instid1(VALU_DEP_2)
	v_and_b32_e32 v12, 3, v1
	v_and_b32_e32 v0, 0x80000000, v0
	s_delay_alu instid0(VALU_DEP_2) | instskip(NEXT) | instid1(VALU_DEP_1)
	v_clz_i32_u32_e32 v13, v12
	v_min_u32_e32 v13, 32, v13
	s_delay_alu instid0(VALU_DEP_1) | instskip(SKIP_1) | instid1(VALU_DEP_2)
	v_subrev_nc_u32_e32 v14, 29, v13
	v_sub_nc_u32_e32 v13, 30, v13
	v_lshlrev_b32_e32 v14, v14, v1
	v_bfe_u32 v1, v1, 2, 5
	s_delay_alu instid0(VALU_DEP_2) | instskip(NEXT) | instid1(VALU_DEP_2)
	v_and_b32_e32 v14, 3, v14
	v_cmp_eq_u32_e64 s0, 0, v1
	s_delay_alu instid0(VALU_DEP_1) | instskip(NEXT) | instid1(VALU_DEP_3)
	v_cndmask_b32_e64 v1, v1, v13, s0
	v_cndmask_b32_e64 v12, v12, v14, s0
	s_delay_alu instid0(VALU_DEP_2) | instskip(NEXT) | instid1(VALU_DEP_2)
	v_lshl_add_u32 v1, v1, 23, 0x37800000
	v_lshlrev_b32_e32 v12, 21, v12
	s_delay_alu instid0(VALU_DEP_1)
	v_or3_b32 v12, v0, v1, v12
.LBB25_172:                             ;   in Loop: Header=BB25_17 Depth=1
	s_or_b32 exec_lo, exec_lo, s20
                                        ; implicit-def: $vgpr0_vgpr1
.LBB25_173:                             ;   in Loop: Header=BB25_17 Depth=1
	s_and_not1_saveexec_b32 s18, s18
	s_cbranch_execz .LBB25_175
; %bb.174:                              ;   in Loop: Header=BB25_17 Depth=1
	flat_load_u8 v0, v[0:1]
	s_waitcnt vmcnt(0) lgkmcnt(0)
	v_lshlrev_b32_e32 v0, 24, v0
	s_delay_alu instid0(VALU_DEP_1) | instskip(NEXT) | instid1(VALU_DEP_1)
	v_and_b32_e32 v1, 0x7f000000, v0
	v_clz_i32_u32_e32 v12, v1
	v_add_nc_u32_e32 v14, 0x1000000, v1
	v_cmp_ne_u32_e64 s0, 0, v1
	s_delay_alu instid0(VALU_DEP_3) | instskip(NEXT) | instid1(VALU_DEP_1)
	v_min_u32_e32 v12, 32, v12
	v_sub_nc_u32_e64 v12, v12, 4 clamp
	s_delay_alu instid0(VALU_DEP_1) | instskip(SKIP_1) | instid1(VALU_DEP_2)
	v_lshlrev_b32_e32 v13, v12, v1
	v_lshlrev_b32_e32 v12, 23, v12
	v_lshrrev_b32_e32 v13, 4, v13
	s_delay_alu instid0(VALU_DEP_1) | instskip(SKIP_1) | instid1(VALU_DEP_2)
	v_sub_nc_u32_e32 v12, v13, v12
	v_ashrrev_i32_e32 v13, 8, v14
	v_add_nc_u32_e32 v12, 0x3c000000, v12
	s_delay_alu instid0(VALU_DEP_1) | instskip(NEXT) | instid1(VALU_DEP_1)
	v_and_or_b32 v12, 0x7f800000, v13, v12
	v_cndmask_b32_e64 v1, 0, v12, s0
	s_delay_alu instid0(VALU_DEP_1)
	v_and_or_b32 v12, 0x80000000, v0, v1
.LBB25_175:                             ;   in Loop: Header=BB25_17 Depth=1
	s_or_b32 exec_lo, exec_lo, s18
                                        ; implicit-def: $vgpr0_vgpr1
.LBB25_176:                             ;   in Loop: Header=BB25_17 Depth=1
	s_and_not1_saveexec_b32 s17, s17
	s_cbranch_execz .LBB25_178
; %bb.177:                              ;   in Loop: Header=BB25_17 Depth=1
	flat_load_u8 v0, v[0:1]
	s_waitcnt vmcnt(0) lgkmcnt(0)
	v_lshlrev_b32_e32 v1, 25, v0
	v_lshlrev_b16 v0, 8, v0
	s_delay_alu instid0(VALU_DEP_2) | instskip(NEXT) | instid1(VALU_DEP_2)
	v_lshrrev_b32_e32 v12, 4, v1
	v_and_or_b32 v13, 0x7f00, v0, 0.5
	v_cmp_gt_u32_e64 s0, 0x8000000, v1
	v_bfe_i32 v0, v0, 0, 16
	s_delay_alu instid0(VALU_DEP_4) | instskip(NEXT) | instid1(VALU_DEP_1)
	v_or_b32_e32 v12, 0x70000000, v12
	v_dual_add_f32 v13, -0.5, v13 :: v_dual_mul_f32 v12, 0x7800000, v12
	s_delay_alu instid0(VALU_DEP_1) | instskip(NEXT) | instid1(VALU_DEP_1)
	v_cndmask_b32_e64 v1, v12, v13, s0
	v_and_or_b32 v12, 0x80000000, v0, v1
.LBB25_178:                             ;   in Loop: Header=BB25_17 Depth=1
	s_or_b32 exec_lo, exec_lo, s17
	s_delay_alu instid0(SALU_CYCLE_1)
	s_or_b32 s17, s14, exec_lo
                                        ; implicit-def: $vgpr13
                                        ; implicit-def: $vgpr0_vgpr1
.LBB25_179:                             ;   in Loop: Header=BB25_17 Depth=1
	s_or_saveexec_b32 s16, s16
                                        ; implicit-def: $sgpr18
                                        ; implicit-def: $sgpr0
	s_delay_alu instid0(SALU_CYCLE_1)
	s_xor_b32 exec_lo, exec_lo, s16
	s_cbranch_execz .LBB25_189
; %bb.180:                              ;   in Loop: Header=BB25_17 Depth=1
	s_mov_b32 s19, s17
	s_mov_b32 s21, exec_lo
                                        ; implicit-def: $sgpr20
                                        ; implicit-def: $sgpr18
                                        ; implicit-def: $vgpr12
	v_cmpx_lt_i16_e32 14, v13
	s_xor_b32 s21, exec_lo, s21
	s_cbranch_execz .LBB25_184
; %bb.181:                              ;   in Loop: Header=BB25_17 Depth=1
	s_mov_b32 s19, s17
	s_mov_b32 s18, exec_lo
                                        ; implicit-def: $vgpr12
	v_cmpx_eq_u16_e32 15, v13
	s_cbranch_execz .LBB25_183
; %bb.182:                              ;   in Loop: Header=BB25_17 Depth=1
	flat_load_u16 v0, v[0:1]
	s_or_b32 s19, s17, exec_lo
	s_waitcnt vmcnt(0) lgkmcnt(0)
	v_lshlrev_b32_e32 v12, 16, v0
.LBB25_183:                             ;   in Loop: Header=BB25_17 Depth=1
	s_or_b32 exec_lo, exec_lo, s18
	s_delay_alu instid0(SALU_CYCLE_1)
	s_and_not1_b32 s0, s17, exec_lo
	s_and_b32 s19, s19, exec_lo
	s_mov_b32 s18, 0
	s_mov_b32 s20, -1
	s_or_b32 s19, s0, s19
                                        ; implicit-def: $vgpr13
                                        ; implicit-def: $vgpr0_vgpr1
.LBB25_184:                             ;   in Loop: Header=BB25_17 Depth=1
	s_and_not1_saveexec_b32 s21, s21
	s_cbranch_execz .LBB25_188
; %bb.185:                              ;   in Loop: Header=BB25_17 Depth=1
	s_mov_b32 s22, s19
	s_mov_b32 s23, exec_lo
                                        ; implicit-def: $vgpr12
	v_cmpx_eq_u16_e32 11, v13
	s_cbranch_execz .LBB25_187
; %bb.186:                              ;   in Loop: Header=BB25_17 Depth=1
	flat_load_u8 v0, v[0:1]
	s_or_b32 s22, s19, exec_lo
	s_waitcnt vmcnt(0) lgkmcnt(0)
	v_cmp_ne_u16_e64 s0, 0, v0
	s_delay_alu instid0(VALU_DEP_1)
	v_cndmask_b32_e64 v12, 0, 1.0, s0
.LBB25_187:                             ;   in Loop: Header=BB25_17 Depth=1
	s_or_b32 exec_lo, exec_lo, s23
	s_delay_alu instid0(SALU_CYCLE_1)
	s_and_not1_b32 s0, s19, exec_lo
	s_and_b32 s19, s22, exec_lo
	s_or_b32 s20, s20, exec_lo
	s_and_not1_b32 s18, s18, exec_lo
	s_or_b32 s19, s0, s19
.LBB25_188:                             ;   in Loop: Header=BB25_17 Depth=1
	s_or_b32 exec_lo, exec_lo, s21
	s_delay_alu instid0(SALU_CYCLE_1)
	s_and_not1_b32 s17, s17, exec_lo
	s_and_b32 s19, s19, exec_lo
	s_and_b32 s0, s20, exec_lo
	s_and_b32 s18, s18, exec_lo
	s_or_b32 s17, s17, s19
.LBB25_189:                             ;   in Loop: Header=BB25_17 Depth=1
	s_or_b32 exec_lo, exec_lo, s16
	s_delay_alu instid0(SALU_CYCLE_1)
	s_and_not1_b32 s13, s13, exec_lo
	s_and_b32 s0, s0, exec_lo
	s_and_not1_b32 s14, s14, exec_lo
	s_or_b32 s13, s13, s0
	s_and_not1_b32 s0, s15, exec_lo
	s_and_b32 s15, s18, exec_lo
	s_and_b32 s16, s17, exec_lo
	s_or_b32 s15, s0, s15
	s_or_b32 s14, s14, s16
.LBB25_190:                             ;   in Loop: Header=BB25_17 Depth=1
	s_or_b32 exec_lo, exec_lo, s12
	s_delay_alu instid0(SALU_CYCLE_1)
	s_and_b32 s13, s13, exec_lo
	s_and_b32 s12, s15, exec_lo
	;; [unrolled: 1-line block ×3, first 2 shown]
                                        ; implicit-def: $vgpr13
                                        ; implicit-def: $vgpr0_vgpr1
	s_and_not1_saveexec_b32 s11, s11
	s_cbranch_execz .LBB25_123
.LBB25_191:                             ;   in Loop: Header=BB25_17 Depth=1
	s_mov_b32 s15, exec_lo
                                        ; implicit-def: $vgpr12
	v_cmpx_lt_i16_e32 4, v13
	s_xor_b32 s15, exec_lo, s15
	s_cbranch_execz .LBB25_213
; %bb.192:                              ;   in Loop: Header=BB25_17 Depth=1
	s_mov_b32 s16, exec_lo
                                        ; implicit-def: $vgpr12
	v_cmpx_lt_i16_e32 7, v13
	s_xor_b32 s16, exec_lo, s16
	s_cbranch_execz .LBB25_202
; %bb.193:                              ;   in Loop: Header=BB25_17 Depth=1
	;; [unrolled: 6-line block ×3, first 2 shown]
	v_cmp_lt_i16_e64 s0, 9, v13
                                        ; implicit-def: $vgpr12
	s_delay_alu instid0(VALU_DEP_1) | instskip(NEXT) | instid1(SALU_CYCLE_1)
	s_and_saveexec_b32 s18, s0
	s_xor_b32 s0, exec_lo, s18
	s_cbranch_execz .LBB25_196
; %bb.195:                              ;   in Loop: Header=BB25_17 Depth=1
	flat_load_b64 v[0:1], v[0:1]
	s_waitcnt vmcnt(0) lgkmcnt(0)
	v_cvt_f32_f64_e32 v12, v[0:1]
                                        ; implicit-def: $vgpr0_vgpr1
.LBB25_196:                             ;   in Loop: Header=BB25_17 Depth=1
	s_and_not1_saveexec_b32 s0, s0
	s_cbranch_execz .LBB25_198
; %bb.197:                              ;   in Loop: Header=BB25_17 Depth=1
	flat_load_b32 v12, v[0:1]
.LBB25_198:                             ;   in Loop: Header=BB25_17 Depth=1
	s_or_b32 exec_lo, exec_lo, s0
                                        ; implicit-def: $vgpr0_vgpr1
.LBB25_199:                             ;   in Loop: Header=BB25_17 Depth=1
	s_and_not1_saveexec_b32 s0, s17
	s_cbranch_execz .LBB25_201
; %bb.200:                              ;   in Loop: Header=BB25_17 Depth=1
	flat_load_b32 v0, v[0:1]
	s_waitcnt vmcnt(0) lgkmcnt(0)
	v_cvt_f32_f16_e32 v12, v0
.LBB25_201:                             ;   in Loop: Header=BB25_17 Depth=1
	s_or_b32 exec_lo, exec_lo, s0
                                        ; implicit-def: $vgpr0_vgpr1
                                        ; implicit-def: $vgpr13
.LBB25_202:                             ;   in Loop: Header=BB25_17 Depth=1
	s_and_not1_saveexec_b32 s16, s16
	s_cbranch_execz .LBB25_212
; %bb.203:                              ;   in Loop: Header=BB25_17 Depth=1
	s_mov_b32 s17, exec_lo
                                        ; implicit-def: $vgpr12
	v_cmpx_lt_i16_e32 5, v13
	s_xor_b32 s17, exec_lo, s17
	s_cbranch_execz .LBB25_209
; %bb.204:                              ;   in Loop: Header=BB25_17 Depth=1
	v_cmp_lt_i16_e64 s0, 6, v13
                                        ; implicit-def: $vgpr12
	s_delay_alu instid0(VALU_DEP_1) | instskip(NEXT) | instid1(SALU_CYCLE_1)
	s_and_saveexec_b32 s18, s0
	s_xor_b32 s0, exec_lo, s18
	s_cbranch_execz .LBB25_206
; %bb.205:                              ;   in Loop: Header=BB25_17 Depth=1
	flat_load_b64 v[0:1], v[0:1]
	s_waitcnt vmcnt(0) lgkmcnt(0)
	v_cvt_f32_f64_e32 v12, v[0:1]
                                        ; implicit-def: $vgpr0_vgpr1
.LBB25_206:                             ;   in Loop: Header=BB25_17 Depth=1
	s_and_not1_saveexec_b32 s0, s0
	s_cbranch_execz .LBB25_208
; %bb.207:                              ;   in Loop: Header=BB25_17 Depth=1
	s_waitcnt vmcnt(0) lgkmcnt(0)
	flat_load_b32 v12, v[0:1]
.LBB25_208:                             ;   in Loop: Header=BB25_17 Depth=1
	s_or_b32 exec_lo, exec_lo, s0
                                        ; implicit-def: $vgpr0_vgpr1
.LBB25_209:                             ;   in Loop: Header=BB25_17 Depth=1
	s_and_not1_saveexec_b32 s0, s17
	s_cbranch_execz .LBB25_211
; %bb.210:                              ;   in Loop: Header=BB25_17 Depth=1
	flat_load_u16 v0, v[0:1]
	s_waitcnt vmcnt(0) lgkmcnt(0)
	v_cvt_f32_f16_e32 v12, v0
.LBB25_211:                             ;   in Loop: Header=BB25_17 Depth=1
	s_or_b32 exec_lo, exec_lo, s0
.LBB25_212:                             ;   in Loop: Header=BB25_17 Depth=1
	s_delay_alu instid0(SALU_CYCLE_1)
	s_or_b32 exec_lo, exec_lo, s16
                                        ; implicit-def: $vgpr13
                                        ; implicit-def: $vgpr0_vgpr1
.LBB25_213:                             ;   in Loop: Header=BB25_17 Depth=1
	s_and_not1_saveexec_b32 s15, s15
	s_cbranch_execz .LBB25_231
; %bb.214:                              ;   in Loop: Header=BB25_17 Depth=1
	s_mov_b32 s16, exec_lo
                                        ; implicit-def: $vgpr12
	v_cmpx_lt_i16_e32 1, v13
	s_xor_b32 s16, exec_lo, s16
	s_cbranch_execz .LBB25_224
; %bb.215:                              ;   in Loop: Header=BB25_17 Depth=1
	s_mov_b32 s17, exec_lo
                                        ; implicit-def: $vgpr12
	v_cmpx_lt_i16_e32 2, v13
	s_xor_b32 s17, exec_lo, s17
	s_cbranch_execz .LBB25_221
; %bb.216:                              ;   in Loop: Header=BB25_17 Depth=1
	v_cmp_lt_i16_e64 s0, 3, v13
                                        ; implicit-def: $vgpr12
	s_delay_alu instid0(VALU_DEP_1) | instskip(NEXT) | instid1(SALU_CYCLE_1)
	s_and_saveexec_b32 s18, s0
	s_xor_b32 s0, exec_lo, s18
	s_cbranch_execz .LBB25_218
; %bb.217:                              ;   in Loop: Header=BB25_17 Depth=1
	flat_load_b64 v[0:1], v[0:1]
	s_waitcnt vmcnt(0) lgkmcnt(0)
	v_xor_b32_e32 v12, v0, v1
	v_cls_i32_e32 v13, v1
	s_delay_alu instid0(VALU_DEP_2) | instskip(NEXT) | instid1(VALU_DEP_2)
	v_ashrrev_i32_e32 v12, 31, v12
	v_add_nc_u32_e32 v13, -1, v13
	s_delay_alu instid0(VALU_DEP_2) | instskip(NEXT) | instid1(VALU_DEP_1)
	v_add_nc_u32_e32 v12, 32, v12
	v_min_u32_e32 v12, v13, v12
	s_delay_alu instid0(VALU_DEP_1) | instskip(NEXT) | instid1(VALU_DEP_1)
	v_lshlrev_b64 v[0:1], v12, v[0:1]
	v_min_u32_e32 v0, 1, v0
	s_delay_alu instid0(VALU_DEP_1) | instskip(SKIP_1) | instid1(VALU_DEP_2)
	v_or_b32_e32 v0, v1, v0
	v_sub_nc_u32_e32 v1, 32, v12
	v_cvt_f32_i32_e32 v0, v0
	s_delay_alu instid0(VALU_DEP_1)
	v_ldexp_f32 v12, v0, v1
                                        ; implicit-def: $vgpr0_vgpr1
.LBB25_218:                             ;   in Loop: Header=BB25_17 Depth=1
	s_and_not1_saveexec_b32 s0, s0
	s_cbranch_execz .LBB25_220
; %bb.219:                              ;   in Loop: Header=BB25_17 Depth=1
	flat_load_b32 v0, v[0:1]
	s_waitcnt vmcnt(0) lgkmcnt(0)
	v_cvt_f32_i32_e32 v12, v0
.LBB25_220:                             ;   in Loop: Header=BB25_17 Depth=1
	s_or_b32 exec_lo, exec_lo, s0
                                        ; implicit-def: $vgpr0_vgpr1
.LBB25_221:                             ;   in Loop: Header=BB25_17 Depth=1
	s_and_not1_saveexec_b32 s0, s17
	s_cbranch_execz .LBB25_223
; %bb.222:                              ;   in Loop: Header=BB25_17 Depth=1
	flat_load_i16 v0, v[0:1]
	s_waitcnt vmcnt(0) lgkmcnt(0)
	v_cvt_f32_i32_e32 v12, v0
.LBB25_223:                             ;   in Loop: Header=BB25_17 Depth=1
	s_or_b32 exec_lo, exec_lo, s0
                                        ; implicit-def: $vgpr0_vgpr1
                                        ; implicit-def: $vgpr13
.LBB25_224:                             ;   in Loop: Header=BB25_17 Depth=1
	s_and_not1_saveexec_b32 s16, s16
	s_cbranch_execz .LBB25_230
; %bb.225:                              ;   in Loop: Header=BB25_17 Depth=1
	v_cmp_lt_i16_e64 s0, 0, v13
                                        ; implicit-def: $vgpr12
	s_delay_alu instid0(VALU_DEP_1) | instskip(NEXT) | instid1(SALU_CYCLE_1)
	s_and_saveexec_b32 s17, s0
	s_xor_b32 s0, exec_lo, s17
	s_cbranch_execz .LBB25_227
; %bb.226:                              ;   in Loop: Header=BB25_17 Depth=1
	flat_load_i8 v0, v[0:1]
	s_waitcnt vmcnt(0) lgkmcnt(0)
	v_cvt_f32_i32_e32 v12, v0
                                        ; implicit-def: $vgpr0_vgpr1
.LBB25_227:                             ;   in Loop: Header=BB25_17 Depth=1
	s_and_not1_saveexec_b32 s0, s0
	s_cbranch_execz .LBB25_229
; %bb.228:                              ;   in Loop: Header=BB25_17 Depth=1
	flat_load_u8 v0, v[0:1]
	s_waitcnt vmcnt(0) lgkmcnt(0)
	v_cvt_f32_ubyte0_e32 v12, v0
.LBB25_229:                             ;   in Loop: Header=BB25_17 Depth=1
	s_or_b32 exec_lo, exec_lo, s0
.LBB25_230:                             ;   in Loop: Header=BB25_17 Depth=1
	s_delay_alu instid0(SALU_CYCLE_1)
	s_or_b32 exec_lo, exec_lo, s16
.LBB25_231:                             ;   in Loop: Header=BB25_17 Depth=1
	s_delay_alu instid0(SALU_CYCLE_1) | instskip(NEXT) | instid1(SALU_CYCLE_1)
	s_or_b32 exec_lo, exec_lo, s15
	s_and_not1_b32 s13, s13, exec_lo
	s_and_not1_b32 s12, s12, exec_lo
	s_or_b32 s14, s14, exec_lo
	s_or_b32 exec_lo, exec_lo, s11
	s_mov_b32 s0, 0
	s_and_saveexec_b32 s11, s14
	s_cbranch_execnz .LBB25_124
	s_branch .LBB25_125
.LBB25_232:                             ;   in Loop: Header=BB25_17 Depth=1
	s_mov_b32 s8, exec_lo
                                        ; implicit-def: $sgpr14
                                        ; implicit-def: $sgpr9
                                        ; implicit-def: $vgpr13
	v_cmpx_lt_i16_e32 25, v2
	s_xor_b32 s8, exec_lo, s8
	s_cbranch_execz .LBB25_264
; %bb.233:                              ;   in Loop: Header=BB25_17 Depth=1
	s_mov_b32 s9, exec_lo
                                        ; implicit-def: $sgpr14
                                        ; implicit-def: $sgpr15
                                        ; implicit-def: $vgpr13
	v_cmpx_lt_i16_e32 28, v2
	s_xor_b32 s9, exec_lo, s9
	s_cbranch_execz .LBB25_249
; %bb.234:                              ;   in Loop: Header=BB25_17 Depth=1
	s_mov_b32 s16, 0
	s_mov_b32 s13, exec_lo
                                        ; implicit-def: $sgpr14
                                        ; implicit-def: $sgpr15
                                        ; implicit-def: $vgpr13
	v_cmpx_lt_i16_e32 43, v2
	s_xor_b32 s13, exec_lo, s13
	s_cbranch_execz .LBB25_244
; %bb.235:                              ;   in Loop: Header=BB25_17 Depth=1
	s_mov_b32 s15, exec_lo
                                        ; implicit-def: $sgpr14
                                        ; implicit-def: $sgpr17
                                        ; implicit-def: $vgpr13
	v_cmpx_lt_i16_e32 45, v2
	s_xor_b32 s15, exec_lo, s15
	s_cbranch_execz .LBB25_239
; %bb.236:                              ;   in Loop: Header=BB25_17 Depth=1
	s_mov_b32 s14, 0
	s_mov_b32 s17, exec_lo
                                        ; implicit-def: $vgpr13
	v_cmpx_eq_u16_e32 46, v2
	s_cbranch_execz .LBB25_238
; %bb.237:                              ;   in Loop: Header=BB25_17 Depth=1
	flat_load_b32 v0, v[0:1]
	s_mov_b32 s16, exec_lo
	s_waitcnt vmcnt(0) lgkmcnt(0)
	v_lshlrev_b32_e32 v13, 16, v0
.LBB25_238:                             ;   in Loop: Header=BB25_17 Depth=1
	s_or_b32 exec_lo, exec_lo, s17
	s_mov_b32 s17, -1
	s_and_b32 s16, s16, exec_lo
                                        ; implicit-def: $vgpr0_vgpr1
.LBB25_239:                             ;   in Loop: Header=BB25_17 Depth=1
	s_and_not1_saveexec_b32 s15, s15
	s_cbranch_execz .LBB25_243
; %bb.240:                              ;   in Loop: Header=BB25_17 Depth=1
	s_mov_b32 s19, s16
	s_mov_b32 s18, exec_lo
                                        ; implicit-def: $vgpr13
	v_cmpx_eq_u16_e32 44, v2
	s_cbranch_execz .LBB25_242
; %bb.241:                              ;   in Loop: Header=BB25_17 Depth=1
	flat_load_u8 v0, v[0:1]
	s_or_b32 s19, s16, exec_lo
	s_waitcnt vmcnt(0) lgkmcnt(0)
	v_lshlrev_b32_e32 v1, 23, v0
	v_cmp_ne_u32_e64 s0, 0xff, v0
	s_delay_alu instid0(VALU_DEP_1) | instskip(SKIP_1) | instid1(VALU_DEP_1)
	v_cndmask_b32_e64 v1, 0x7f800001, v1, s0
	v_cmp_ne_u32_e64 s0, 0, v0
	v_cndmask_b32_e64 v13, 0x400000, v1, s0
.LBB25_242:                             ;   in Loop: Header=BB25_17 Depth=1
	s_or_b32 exec_lo, exec_lo, s18
	s_delay_alu instid0(SALU_CYCLE_1)
	s_and_not1_b32 s0, s16, exec_lo
	s_and_b32 s16, s19, exec_lo
	s_and_not1_b32 s14, s14, exec_lo
	s_or_b32 s17, s17, exec_lo
	s_or_b32 s16, s0, s16
.LBB25_243:                             ;   in Loop: Header=BB25_17 Depth=1
	s_or_b32 exec_lo, exec_lo, s15
	s_delay_alu instid0(SALU_CYCLE_1)
	s_and_b32 s15, s14, exec_lo
	s_and_b32 s14, s17, exec_lo
	;; [unrolled: 1-line block ×3, first 2 shown]
                                        ; implicit-def: $vgpr0_vgpr1
.LBB25_244:                             ;   in Loop: Header=BB25_17 Depth=1
	s_and_not1_saveexec_b32 s13, s13
	s_cbranch_execz .LBB25_248
; %bb.245:                              ;   in Loop: Header=BB25_17 Depth=1
	s_mov_b32 s18, s16
	s_mov_b32 s17, exec_lo
                                        ; implicit-def: $vgpr13
	v_cmpx_eq_u16_e32 29, v2
	s_cbranch_execz .LBB25_247
; %bb.246:                              ;   in Loop: Header=BB25_17 Depth=1
	flat_load_b64 v[0:1], v[0:1]
	s_or_b32 s18, s16, exec_lo
	s_waitcnt vmcnt(0) lgkmcnt(0)
	v_clz_i32_u32_e32 v8, v1
	s_delay_alu instid0(VALU_DEP_1) | instskip(NEXT) | instid1(VALU_DEP_1)
	v_min_u32_e32 v8, 32, v8
	v_lshlrev_b64 v[0:1], v8, v[0:1]
	s_delay_alu instid0(VALU_DEP_1) | instskip(NEXT) | instid1(VALU_DEP_1)
	v_min_u32_e32 v0, 1, v0
	v_or_b32_e32 v0, v1, v0
	v_sub_nc_u32_e32 v1, 32, v8
	s_delay_alu instid0(VALU_DEP_2) | instskip(NEXT) | instid1(VALU_DEP_1)
	v_cvt_f32_u32_e32 v0, v0
	v_ldexp_f32 v13, v0, v1
.LBB25_247:                             ;   in Loop: Header=BB25_17 Depth=1
	s_or_b32 exec_lo, exec_lo, s17
	s_delay_alu instid0(SALU_CYCLE_1)
	s_and_not1_b32 s0, s16, exec_lo
	s_and_b32 s16, s18, exec_lo
	s_and_not1_b32 s15, s15, exec_lo
	s_or_b32 s14, s14, exec_lo
	s_or_b32 s16, s0, s16
.LBB25_248:                             ;   in Loop: Header=BB25_17 Depth=1
	s_or_b32 exec_lo, exec_lo, s13
	s_delay_alu instid0(SALU_CYCLE_1)
	s_and_b32 s15, s15, exec_lo
	s_and_b32 s14, s14, exec_lo
	;; [unrolled: 1-line block ×3, first 2 shown]
                                        ; implicit-def: $vgpr0_vgpr1
.LBB25_249:                             ;   in Loop: Header=BB25_17 Depth=1
	s_and_not1_saveexec_b32 s9, s9
	s_cbranch_execz .LBB25_263
; %bb.250:                              ;   in Loop: Header=BB25_17 Depth=1
	s_mov_b32 s16, exec_lo
                                        ; implicit-def: $vgpr13
	v_cmpx_lt_i16_e32 26, v2
	s_xor_b32 s16, exec_lo, s16
	s_cbranch_execz .LBB25_256
; %bb.251:                              ;   in Loop: Header=BB25_17 Depth=1
	v_cmp_lt_i16_e64 s0, 27, v2
                                        ; implicit-def: $vgpr13
	s_delay_alu instid0(VALU_DEP_1) | instskip(NEXT) | instid1(SALU_CYCLE_1)
	s_and_saveexec_b32 s17, s0
	s_xor_b32 s0, exec_lo, s17
	s_cbranch_execz .LBB25_253
; %bb.252:                              ;   in Loop: Header=BB25_17 Depth=1
	flat_load_b32 v0, v[0:1]
	s_waitcnt vmcnt(0) lgkmcnt(0)
	v_cvt_f32_u32_e32 v13, v0
                                        ; implicit-def: $vgpr0_vgpr1
.LBB25_253:                             ;   in Loop: Header=BB25_17 Depth=1
	s_and_not1_saveexec_b32 s0, s0
	s_cbranch_execz .LBB25_255
; %bb.254:                              ;   in Loop: Header=BB25_17 Depth=1
	flat_load_u16 v0, v[0:1]
	s_waitcnt vmcnt(0) lgkmcnt(0)
	v_cvt_f32_u32_e32 v13, v0
.LBB25_255:                             ;   in Loop: Header=BB25_17 Depth=1
	s_or_b32 exec_lo, exec_lo, s0
                                        ; implicit-def: $vgpr0_vgpr1
.LBB25_256:                             ;   in Loop: Header=BB25_17 Depth=1
	s_and_not1_saveexec_b32 s16, s16
	s_cbranch_execz .LBB25_262
; %bb.257:                              ;   in Loop: Header=BB25_17 Depth=1
	flat_load_u8 v0, v[0:1]
	s_mov_b32 s17, 0
	s_mov_b32 s19, exec_lo
                                        ; implicit-def: $sgpr18
	s_waitcnt vmcnt(0) lgkmcnt(0)
	v_cmpx_lt_i16_e32 0x7f, v0
	s_xor_b32 s19, exec_lo, s19
	s_cbranch_execnz .LBB25_988
; %bb.258:                              ;   in Loop: Header=BB25_17 Depth=1
	s_or_saveexec_b32 s19, s19
	v_mov_b32_e32 v13, s18
	s_xor_b32 exec_lo, exec_lo, s19
	s_cbranch_execnz .LBB25_991
.LBB25_259:                             ;   in Loop: Header=BB25_17 Depth=1
	s_or_b32 exec_lo, exec_lo, s19
	s_and_saveexec_b32 s18, s17
	s_cbranch_execz .LBB25_261
.LBB25_260:                             ;   in Loop: Header=BB25_17 Depth=1
	v_and_b32_e32 v1, 0xffff, v0
	v_lshlrev_b32_e32 v0, 24, v0
	s_delay_alu instid0(VALU_DEP_2) | instskip(NEXT) | instid1(VALU_DEP_2)
	v_and_b32_e32 v8, 7, v1
	v_and_b32_e32 v0, 0x80000000, v0
	s_delay_alu instid0(VALU_DEP_2) | instskip(NEXT) | instid1(VALU_DEP_1)
	v_clz_i32_u32_e32 v13, v8
	v_min_u32_e32 v13, 32, v13
	s_delay_alu instid0(VALU_DEP_1) | instskip(SKIP_1) | instid1(VALU_DEP_2)
	v_subrev_nc_u32_e32 v14, 28, v13
	v_sub_nc_u32_e32 v13, 29, v13
	v_lshlrev_b32_e32 v14, v14, v1
	v_bfe_u32 v1, v1, 3, 4
	s_delay_alu instid0(VALU_DEP_2) | instskip(NEXT) | instid1(VALU_DEP_2)
	v_and_b32_e32 v14, 7, v14
	v_cmp_eq_u32_e64 s0, 0, v1
	s_delay_alu instid0(VALU_DEP_1) | instskip(NEXT) | instid1(VALU_DEP_3)
	v_cndmask_b32_e64 v1, v1, v13, s0
	v_cndmask_b32_e64 v8, v8, v14, s0
	s_delay_alu instid0(VALU_DEP_2) | instskip(NEXT) | instid1(VALU_DEP_2)
	v_lshl_add_u32 v1, v1, 23, 0x3b800000
	v_lshlrev_b32_e32 v8, 20, v8
	s_delay_alu instid0(VALU_DEP_1)
	v_or3_b32 v13, v0, v1, v8
.LBB25_261:                             ;   in Loop: Header=BB25_17 Depth=1
	s_or_b32 exec_lo, exec_lo, s18
.LBB25_262:                             ;   in Loop: Header=BB25_17 Depth=1
	s_delay_alu instid0(SALU_CYCLE_1) | instskip(NEXT) | instid1(SALU_CYCLE_1)
	s_or_b32 exec_lo, exec_lo, s16
	s_and_not1_b32 s15, s15, exec_lo
	s_and_not1_b32 s14, s14, exec_lo
	s_or_b32 s13, s13, exec_lo
.LBB25_263:                             ;   in Loop: Header=BB25_17 Depth=1
	s_or_b32 exec_lo, exec_lo, s9
	s_delay_alu instid0(SALU_CYCLE_1)
	s_and_b32 s9, s15, exec_lo
	s_and_b32 s14, s14, exec_lo
	;; [unrolled: 1-line block ×3, first 2 shown]
                                        ; implicit-def: $vgpr0_vgpr1
.LBB25_264:                             ;   in Loop: Header=BB25_17 Depth=1
	s_and_not1_saveexec_b32 s8, s8
	s_cbranch_execz .LBB25_290
; %bb.265:                              ;   in Loop: Header=BB25_17 Depth=1
	s_mov_b32 s16, s13
	s_mov_b32 s15, exec_lo
                                        ; implicit-def: $vgpr13
	v_cmpx_lt_i16_e32 22, v2
	s_xor_b32 s15, exec_lo, s15
	s_cbranch_execz .LBB25_279
; %bb.266:                              ;   in Loop: Header=BB25_17 Depth=1
	s_mov_b32 s16, exec_lo
                                        ; implicit-def: $vgpr13
	v_cmpx_lt_i16_e32 23, v2
	s_xor_b32 s16, exec_lo, s16
	s_cbranch_execz .LBB25_276
; %bb.267:                              ;   in Loop: Header=BB25_17 Depth=1
	s_mov_b32 s17, exec_lo
                                        ; implicit-def: $vgpr13
	v_cmpx_lt_i16_e32 24, v2
	s_xor_b32 s17, exec_lo, s17
	s_cbranch_execz .LBB25_273
; %bb.268:                              ;   in Loop: Header=BB25_17 Depth=1
	flat_load_u8 v0, v[0:1]
	s_mov_b32 s18, 0
	s_mov_b32 s20, exec_lo
                                        ; implicit-def: $sgpr19
	s_waitcnt vmcnt(0) lgkmcnt(0)
	v_cmpx_lt_i16_e32 0x7f, v0
	s_xor_b32 s20, exec_lo, s20
	s_cbranch_execnz .LBB25_1207
; %bb.269:                              ;   in Loop: Header=BB25_17 Depth=1
	s_or_saveexec_b32 s20, s20
	v_mov_b32_e32 v13, s19
	s_xor_b32 exec_lo, exec_lo, s20
	s_cbranch_execnz .LBB25_1210
.LBB25_270:                             ;   in Loop: Header=BB25_17 Depth=1
	s_or_b32 exec_lo, exec_lo, s20
	s_and_saveexec_b32 s19, s18
	s_cbranch_execz .LBB25_272
.LBB25_271:                             ;   in Loop: Header=BB25_17 Depth=1
	v_and_b32_e32 v1, 0xffff, v0
	v_lshlrev_b32_e32 v0, 24, v0
	s_delay_alu instid0(VALU_DEP_2) | instskip(NEXT) | instid1(VALU_DEP_2)
	v_and_b32_e32 v8, 3, v1
	v_and_b32_e32 v0, 0x80000000, v0
	s_delay_alu instid0(VALU_DEP_2) | instskip(NEXT) | instid1(VALU_DEP_1)
	v_clz_i32_u32_e32 v13, v8
	v_min_u32_e32 v13, 32, v13
	s_delay_alu instid0(VALU_DEP_1) | instskip(SKIP_1) | instid1(VALU_DEP_2)
	v_subrev_nc_u32_e32 v14, 29, v13
	v_sub_nc_u32_e32 v13, 30, v13
	v_lshlrev_b32_e32 v14, v14, v1
	v_bfe_u32 v1, v1, 2, 5
	s_delay_alu instid0(VALU_DEP_2) | instskip(NEXT) | instid1(VALU_DEP_2)
	v_and_b32_e32 v14, 3, v14
	v_cmp_eq_u32_e64 s0, 0, v1
	s_delay_alu instid0(VALU_DEP_1) | instskip(NEXT) | instid1(VALU_DEP_3)
	v_cndmask_b32_e64 v1, v1, v13, s0
	v_cndmask_b32_e64 v8, v8, v14, s0
	s_delay_alu instid0(VALU_DEP_2) | instskip(NEXT) | instid1(VALU_DEP_2)
	v_lshl_add_u32 v1, v1, 23, 0x37800000
	v_lshlrev_b32_e32 v8, 21, v8
	s_delay_alu instid0(VALU_DEP_1)
	v_or3_b32 v13, v0, v1, v8
.LBB25_272:                             ;   in Loop: Header=BB25_17 Depth=1
	s_or_b32 exec_lo, exec_lo, s19
                                        ; implicit-def: $vgpr0_vgpr1
.LBB25_273:                             ;   in Loop: Header=BB25_17 Depth=1
	s_and_not1_saveexec_b32 s17, s17
	s_cbranch_execz .LBB25_275
; %bb.274:                              ;   in Loop: Header=BB25_17 Depth=1
	flat_load_u8 v0, v[0:1]
	s_waitcnt vmcnt(0) lgkmcnt(0)
	v_lshlrev_b32_e32 v0, 24, v0
	s_delay_alu instid0(VALU_DEP_1) | instskip(NEXT) | instid1(VALU_DEP_1)
	v_and_b32_e32 v1, 0x7f000000, v0
	v_clz_i32_u32_e32 v8, v1
	v_add_nc_u32_e32 v14, 0x1000000, v1
	v_cmp_ne_u32_e64 s0, 0, v1
	s_delay_alu instid0(VALU_DEP_3) | instskip(NEXT) | instid1(VALU_DEP_1)
	v_min_u32_e32 v8, 32, v8
	v_sub_nc_u32_e64 v8, v8, 4 clamp
	s_delay_alu instid0(VALU_DEP_1) | instskip(SKIP_1) | instid1(VALU_DEP_2)
	v_lshlrev_b32_e32 v13, v8, v1
	v_lshlrev_b32_e32 v8, 23, v8
	v_lshrrev_b32_e32 v13, 4, v13
	s_delay_alu instid0(VALU_DEP_1) | instskip(SKIP_1) | instid1(VALU_DEP_2)
	v_sub_nc_u32_e32 v8, v13, v8
	v_ashrrev_i32_e32 v13, 8, v14
	v_add_nc_u32_e32 v8, 0x3c000000, v8
	s_delay_alu instid0(VALU_DEP_1) | instskip(NEXT) | instid1(VALU_DEP_1)
	v_and_or_b32 v8, 0x7f800000, v13, v8
	v_cndmask_b32_e64 v1, 0, v8, s0
	s_delay_alu instid0(VALU_DEP_1)
	v_and_or_b32 v13, 0x80000000, v0, v1
.LBB25_275:                             ;   in Loop: Header=BB25_17 Depth=1
	s_or_b32 exec_lo, exec_lo, s17
                                        ; implicit-def: $vgpr0_vgpr1
.LBB25_276:                             ;   in Loop: Header=BB25_17 Depth=1
	s_and_not1_saveexec_b32 s16, s16
	s_cbranch_execz .LBB25_278
; %bb.277:                              ;   in Loop: Header=BB25_17 Depth=1
	flat_load_u8 v0, v[0:1]
	s_waitcnt vmcnt(0) lgkmcnt(0)
	v_lshlrev_b32_e32 v1, 25, v0
	v_lshlrev_b16 v0, 8, v0
	s_delay_alu instid0(VALU_DEP_2) | instskip(NEXT) | instid1(VALU_DEP_2)
	v_lshrrev_b32_e32 v8, 4, v1
	v_and_or_b32 v13, 0x7f00, v0, 0.5
	v_cmp_gt_u32_e64 s0, 0x8000000, v1
	v_bfe_i32 v0, v0, 0, 16
	s_delay_alu instid0(VALU_DEP_4) | instskip(NEXT) | instid1(VALU_DEP_1)
	v_or_b32_e32 v8, 0x70000000, v8
	v_dual_add_f32 v13, -0.5, v13 :: v_dual_mul_f32 v8, 0x7800000, v8
	s_delay_alu instid0(VALU_DEP_1) | instskip(NEXT) | instid1(VALU_DEP_1)
	v_cndmask_b32_e64 v1, v8, v13, s0
	v_and_or_b32 v13, 0x80000000, v0, v1
.LBB25_278:                             ;   in Loop: Header=BB25_17 Depth=1
	s_or_b32 exec_lo, exec_lo, s16
	s_delay_alu instid0(SALU_CYCLE_1)
	s_or_b32 s16, s13, exec_lo
                                        ; implicit-def: $vgpr0_vgpr1
.LBB25_279:                             ;   in Loop: Header=BB25_17 Depth=1
	s_or_saveexec_b32 s15, s15
                                        ; implicit-def: $sgpr17
                                        ; implicit-def: $sgpr0
	s_delay_alu instid0(SALU_CYCLE_1)
	s_xor_b32 exec_lo, exec_lo, s15
	s_cbranch_execz .LBB25_289
; %bb.280:                              ;   in Loop: Header=BB25_17 Depth=1
	s_mov_b32 s18, s16
	s_mov_b32 s20, exec_lo
                                        ; implicit-def: $sgpr19
                                        ; implicit-def: $sgpr17
                                        ; implicit-def: $vgpr13
	v_cmpx_lt_i16_e32 14, v2
	s_xor_b32 s20, exec_lo, s20
	s_cbranch_execz .LBB25_284
; %bb.281:                              ;   in Loop: Header=BB25_17 Depth=1
	s_mov_b32 s18, s16
	s_mov_b32 s17, exec_lo
                                        ; implicit-def: $vgpr13
	v_cmpx_eq_u16_e32 15, v2
	s_cbranch_execz .LBB25_283
; %bb.282:                              ;   in Loop: Header=BB25_17 Depth=1
	flat_load_u16 v0, v[0:1]
	s_or_b32 s18, s16, exec_lo
	s_waitcnt vmcnt(0) lgkmcnt(0)
	v_lshlrev_b32_e32 v13, 16, v0
.LBB25_283:                             ;   in Loop: Header=BB25_17 Depth=1
	s_or_b32 exec_lo, exec_lo, s17
	s_delay_alu instid0(SALU_CYCLE_1)
	s_and_not1_b32 s0, s16, exec_lo
	s_and_b32 s18, s18, exec_lo
	s_mov_b32 s17, -1
	s_mov_b32 s19, 0
	s_or_b32 s18, s0, s18
                                        ; implicit-def: $vgpr0_vgpr1
.LBB25_284:                             ;   in Loop: Header=BB25_17 Depth=1
	s_and_not1_saveexec_b32 s20, s20
	s_cbranch_execz .LBB25_288
; %bb.285:                              ;   in Loop: Header=BB25_17 Depth=1
	s_mov_b32 s21, s18
	s_mov_b32 s22, exec_lo
                                        ; implicit-def: $vgpr13
	v_cmpx_eq_u16_e32 11, v2
	s_cbranch_execz .LBB25_287
; %bb.286:                              ;   in Loop: Header=BB25_17 Depth=1
	flat_load_u8 v0, v[0:1]
	s_or_b32 s21, s18, exec_lo
	s_waitcnt vmcnt(0) lgkmcnt(0)
	v_cmp_ne_u16_e64 s0, 0, v0
	s_delay_alu instid0(VALU_DEP_1)
	v_cndmask_b32_e64 v13, 0, 1.0, s0
.LBB25_287:                             ;   in Loop: Header=BB25_17 Depth=1
	s_or_b32 exec_lo, exec_lo, s22
	s_delay_alu instid0(SALU_CYCLE_1)
	s_and_not1_b32 s0, s18, exec_lo
	s_and_b32 s18, s21, exec_lo
	s_and_not1_b32 s19, s19, exec_lo
	s_or_b32 s17, s17, exec_lo
	s_or_b32 s18, s0, s18
.LBB25_288:                             ;   in Loop: Header=BB25_17 Depth=1
	s_or_b32 exec_lo, exec_lo, s20
	s_delay_alu instid0(SALU_CYCLE_1)
	s_and_not1_b32 s16, s16, exec_lo
	s_and_b32 s18, s18, exec_lo
	s_and_b32 s0, s19, exec_lo
	;; [unrolled: 1-line block ×3, first 2 shown]
	s_or_b32 s16, s16, s18
.LBB25_289:                             ;   in Loop: Header=BB25_17 Depth=1
	s_or_b32 exec_lo, exec_lo, s15
	s_delay_alu instid0(SALU_CYCLE_1)
	s_and_not1_b32 s9, s9, exec_lo
	s_and_b32 s0, s0, exec_lo
	s_and_not1_b32 s13, s13, exec_lo
	s_or_b32 s9, s9, s0
	s_and_not1_b32 s0, s14, exec_lo
	s_and_b32 s14, s17, exec_lo
	s_and_b32 s15, s16, exec_lo
	s_or_b32 s14, s0, s14
	s_or_b32 s13, s13, s15
.LBB25_290:                             ;   in Loop: Header=BB25_17 Depth=1
	s_or_b32 exec_lo, exec_lo, s8
	s_delay_alu instid0(SALU_CYCLE_1)
	s_and_b32 s9, s9, exec_lo
	s_and_b32 s8, s14, exec_lo
	;; [unrolled: 1-line block ×3, first 2 shown]
                                        ; implicit-def: $vgpr0_vgpr1
	s_and_not1_saveexec_b32 s12, s12
	s_cbranch_execz .LBB25_131
.LBB25_291:                             ;   in Loop: Header=BB25_17 Depth=1
	s_mov_b32 s14, exec_lo
                                        ; implicit-def: $vgpr13
	v_cmpx_lt_i16_e32 4, v2
	s_xor_b32 s14, exec_lo, s14
	s_cbranch_execz .LBB25_313
; %bb.292:                              ;   in Loop: Header=BB25_17 Depth=1
	s_mov_b32 s15, exec_lo
                                        ; implicit-def: $vgpr13
	v_cmpx_lt_i16_e32 7, v2
	s_xor_b32 s15, exec_lo, s15
	s_cbranch_execz .LBB25_302
; %bb.293:                              ;   in Loop: Header=BB25_17 Depth=1
	;; [unrolled: 6-line block ×3, first 2 shown]
	v_cmp_lt_i16_e64 s0, 9, v2
                                        ; implicit-def: $vgpr13
	s_delay_alu instid0(VALU_DEP_1) | instskip(NEXT) | instid1(SALU_CYCLE_1)
	s_and_saveexec_b32 s17, s0
	s_xor_b32 s0, exec_lo, s17
	s_cbranch_execz .LBB25_296
; %bb.295:                              ;   in Loop: Header=BB25_17 Depth=1
	flat_load_b64 v[0:1], v[0:1]
	s_waitcnt vmcnt(0) lgkmcnt(0)
	v_cvt_f32_f64_e32 v13, v[0:1]
                                        ; implicit-def: $vgpr0_vgpr1
.LBB25_296:                             ;   in Loop: Header=BB25_17 Depth=1
	s_and_not1_saveexec_b32 s0, s0
	s_cbranch_execz .LBB25_298
; %bb.297:                              ;   in Loop: Header=BB25_17 Depth=1
	flat_load_b32 v13, v[0:1]
.LBB25_298:                             ;   in Loop: Header=BB25_17 Depth=1
	s_or_b32 exec_lo, exec_lo, s0
                                        ; implicit-def: $vgpr0_vgpr1
.LBB25_299:                             ;   in Loop: Header=BB25_17 Depth=1
	s_and_not1_saveexec_b32 s0, s16
	s_cbranch_execz .LBB25_301
; %bb.300:                              ;   in Loop: Header=BB25_17 Depth=1
	flat_load_b32 v0, v[0:1]
	s_waitcnt vmcnt(0) lgkmcnt(0)
	v_cvt_f32_f16_e32 v13, v0
.LBB25_301:                             ;   in Loop: Header=BB25_17 Depth=1
	s_or_b32 exec_lo, exec_lo, s0
                                        ; implicit-def: $vgpr0_vgpr1
.LBB25_302:                             ;   in Loop: Header=BB25_17 Depth=1
	s_and_not1_saveexec_b32 s15, s15
	s_cbranch_execz .LBB25_312
; %bb.303:                              ;   in Loop: Header=BB25_17 Depth=1
	s_mov_b32 s16, exec_lo
                                        ; implicit-def: $vgpr13
	v_cmpx_lt_i16_e32 5, v2
	s_xor_b32 s16, exec_lo, s16
	s_cbranch_execz .LBB25_309
; %bb.304:                              ;   in Loop: Header=BB25_17 Depth=1
	v_cmp_lt_i16_e64 s0, 6, v2
                                        ; implicit-def: $vgpr13
	s_delay_alu instid0(VALU_DEP_1) | instskip(NEXT) | instid1(SALU_CYCLE_1)
	s_and_saveexec_b32 s17, s0
	s_xor_b32 s0, exec_lo, s17
	s_cbranch_execz .LBB25_306
; %bb.305:                              ;   in Loop: Header=BB25_17 Depth=1
	flat_load_b64 v[0:1], v[0:1]
	s_waitcnt vmcnt(0) lgkmcnt(0)
	v_cvt_f32_f64_e32 v13, v[0:1]
                                        ; implicit-def: $vgpr0_vgpr1
.LBB25_306:                             ;   in Loop: Header=BB25_17 Depth=1
	s_and_not1_saveexec_b32 s0, s0
	s_cbranch_execz .LBB25_308
; %bb.307:                              ;   in Loop: Header=BB25_17 Depth=1
	s_waitcnt vmcnt(0) lgkmcnt(0)
	flat_load_b32 v13, v[0:1]
.LBB25_308:                             ;   in Loop: Header=BB25_17 Depth=1
	s_or_b32 exec_lo, exec_lo, s0
                                        ; implicit-def: $vgpr0_vgpr1
.LBB25_309:                             ;   in Loop: Header=BB25_17 Depth=1
	s_and_not1_saveexec_b32 s0, s16
	s_cbranch_execz .LBB25_311
; %bb.310:                              ;   in Loop: Header=BB25_17 Depth=1
	flat_load_u16 v0, v[0:1]
	s_waitcnt vmcnt(0) lgkmcnt(0)
	v_cvt_f32_f16_e32 v13, v0
.LBB25_311:                             ;   in Loop: Header=BB25_17 Depth=1
	s_or_b32 exec_lo, exec_lo, s0
.LBB25_312:                             ;   in Loop: Header=BB25_17 Depth=1
	s_delay_alu instid0(SALU_CYCLE_1)
	s_or_b32 exec_lo, exec_lo, s15
                                        ; implicit-def: $vgpr0_vgpr1
.LBB25_313:                             ;   in Loop: Header=BB25_17 Depth=1
	s_and_not1_saveexec_b32 s14, s14
	s_cbranch_execz .LBB25_331
; %bb.314:                              ;   in Loop: Header=BB25_17 Depth=1
	s_mov_b32 s15, exec_lo
                                        ; implicit-def: $vgpr13
	v_cmpx_lt_i16_e32 1, v2
	s_xor_b32 s15, exec_lo, s15
	s_cbranch_execz .LBB25_324
; %bb.315:                              ;   in Loop: Header=BB25_17 Depth=1
	s_mov_b32 s16, exec_lo
                                        ; implicit-def: $vgpr13
	v_cmpx_lt_i16_e32 2, v2
	s_xor_b32 s16, exec_lo, s16
	s_cbranch_execz .LBB25_321
; %bb.316:                              ;   in Loop: Header=BB25_17 Depth=1
	v_cmp_lt_i16_e64 s0, 3, v2
                                        ; implicit-def: $vgpr13
	s_delay_alu instid0(VALU_DEP_1) | instskip(NEXT) | instid1(SALU_CYCLE_1)
	s_and_saveexec_b32 s17, s0
	s_xor_b32 s0, exec_lo, s17
	s_cbranch_execz .LBB25_318
; %bb.317:                              ;   in Loop: Header=BB25_17 Depth=1
	flat_load_b64 v[0:1], v[0:1]
	s_waitcnt vmcnt(0) lgkmcnt(0)
	v_xor_b32_e32 v8, v0, v1
	v_cls_i32_e32 v13, v1
	s_delay_alu instid0(VALU_DEP_2) | instskip(NEXT) | instid1(VALU_DEP_2)
	v_ashrrev_i32_e32 v8, 31, v8
	v_add_nc_u32_e32 v13, -1, v13
	s_delay_alu instid0(VALU_DEP_2) | instskip(NEXT) | instid1(VALU_DEP_1)
	v_add_nc_u32_e32 v8, 32, v8
	v_min_u32_e32 v8, v13, v8
	s_delay_alu instid0(VALU_DEP_1) | instskip(NEXT) | instid1(VALU_DEP_1)
	v_lshlrev_b64 v[0:1], v8, v[0:1]
	v_min_u32_e32 v0, 1, v0
	s_delay_alu instid0(VALU_DEP_1) | instskip(SKIP_1) | instid1(VALU_DEP_2)
	v_or_b32_e32 v0, v1, v0
	v_sub_nc_u32_e32 v1, 32, v8
	v_cvt_f32_i32_e32 v0, v0
	s_delay_alu instid0(VALU_DEP_1)
	v_ldexp_f32 v13, v0, v1
                                        ; implicit-def: $vgpr0_vgpr1
.LBB25_318:                             ;   in Loop: Header=BB25_17 Depth=1
	s_and_not1_saveexec_b32 s0, s0
	s_cbranch_execz .LBB25_320
; %bb.319:                              ;   in Loop: Header=BB25_17 Depth=1
	flat_load_b32 v0, v[0:1]
	s_waitcnt vmcnt(0) lgkmcnt(0)
	v_cvt_f32_i32_e32 v13, v0
.LBB25_320:                             ;   in Loop: Header=BB25_17 Depth=1
	s_or_b32 exec_lo, exec_lo, s0
                                        ; implicit-def: $vgpr0_vgpr1
.LBB25_321:                             ;   in Loop: Header=BB25_17 Depth=1
	s_and_not1_saveexec_b32 s0, s16
	s_cbranch_execz .LBB25_323
; %bb.322:                              ;   in Loop: Header=BB25_17 Depth=1
	flat_load_i16 v0, v[0:1]
	s_waitcnt vmcnt(0) lgkmcnt(0)
	v_cvt_f32_i32_e32 v13, v0
.LBB25_323:                             ;   in Loop: Header=BB25_17 Depth=1
	s_or_b32 exec_lo, exec_lo, s0
                                        ; implicit-def: $vgpr0_vgpr1
.LBB25_324:                             ;   in Loop: Header=BB25_17 Depth=1
	s_and_not1_saveexec_b32 s15, s15
	s_cbranch_execz .LBB25_330
; %bb.325:                              ;   in Loop: Header=BB25_17 Depth=1
	v_cmp_lt_i16_e64 s0, 0, v2
                                        ; implicit-def: $vgpr13
	s_delay_alu instid0(VALU_DEP_1) | instskip(NEXT) | instid1(SALU_CYCLE_1)
	s_and_saveexec_b32 s16, s0
	s_xor_b32 s0, exec_lo, s16
	s_cbranch_execz .LBB25_327
; %bb.326:                              ;   in Loop: Header=BB25_17 Depth=1
	flat_load_i8 v0, v[0:1]
	s_waitcnt vmcnt(0) lgkmcnt(0)
	v_cvt_f32_i32_e32 v13, v0
                                        ; implicit-def: $vgpr0_vgpr1
.LBB25_327:                             ;   in Loop: Header=BB25_17 Depth=1
	s_and_not1_saveexec_b32 s0, s0
	s_cbranch_execz .LBB25_329
; %bb.328:                              ;   in Loop: Header=BB25_17 Depth=1
	flat_load_u8 v0, v[0:1]
	s_waitcnt vmcnt(0) lgkmcnt(0)
	v_cvt_f32_ubyte0_e32 v13, v0
.LBB25_329:                             ;   in Loop: Header=BB25_17 Depth=1
	s_or_b32 exec_lo, exec_lo, s0
.LBB25_330:                             ;   in Loop: Header=BB25_17 Depth=1
	s_delay_alu instid0(SALU_CYCLE_1)
	s_or_b32 exec_lo, exec_lo, s15
.LBB25_331:                             ;   in Loop: Header=BB25_17 Depth=1
	s_delay_alu instid0(SALU_CYCLE_1) | instskip(NEXT) | instid1(SALU_CYCLE_1)
	s_or_b32 exec_lo, exec_lo, s14
	s_and_not1_b32 s9, s9, exec_lo
	s_and_not1_b32 s8, s8, exec_lo
	s_or_b32 s13, s13, exec_lo
	s_or_b32 exec_lo, exec_lo, s12
	s_mov_b32 s0, 0
	s_and_saveexec_b32 s12, s13
	s_cbranch_execz .LBB25_337
.LBB25_332:                             ;   in Loop: Header=BB25_17 Depth=1
	s_add_i32 s0, s33, 16
	s_mov_b32 s16, 0
	v_add_nc_u32_e64 v8, s1, s0
	s_mov_b32 s13, exec_lo
                                        ; implicit-def: $sgpr14
                                        ; implicit-def: $sgpr15
	s_delay_alu instid0(VALU_DEP_1) | instskip(SKIP_4) | instid1(VALU_DEP_2)
	v_add_nc_u32_e32 v0, 12, v8
	s_waitcnt vmcnt(0) lgkmcnt(0)
	scratch_store_b32 v0, v13, off
	v_mul_lo_u32 v0, v12, v11
	v_and_b32_e32 v13, 0xff, v9
                                        ; implicit-def: $vgpr12
	v_add_co_u32 v0, s0, v5, v0
	s_delay_alu instid0(VALU_DEP_1) | instskip(NEXT) | instid1(VALU_DEP_3)
	v_add_co_ci_u32_e64 v1, s0, 0, v6, s0
	v_cmpx_lt_i16_e32 10, v13
	s_xor_b32 s13, exec_lo, s13
	s_cbranch_execnz .LBB25_343
; %bb.333:                              ;   in Loop: Header=BB25_17 Depth=1
	s_and_not1_saveexec_b32 s13, s13
	s_cbranch_execnz .LBB25_402
.LBB25_334:                             ;   in Loop: Header=BB25_17 Depth=1
	s_or_b32 exec_lo, exec_lo, s13
	s_mov_b32 s0, 0
	s_and_saveexec_b32 s13, s16
	s_cbranch_execz .LBB25_336
.LBB25_335:                             ;   in Loop: Header=BB25_17 Depth=1
	v_add_nc_u32_e32 v0, 8, v8
	v_add_nc_u32_e32 v7, 0x200, v7
	s_mov_b32 s0, exec_lo
	s_and_not1_b32 s15, s15, exec_lo
	s_and_not1_b32 s14, s14, exec_lo
	s_waitcnt vmcnt(0) lgkmcnt(0)
	scratch_store_b32 v0, v12, off
.LBB25_336:                             ;   in Loop: Header=BB25_17 Depth=1
	s_or_b32 exec_lo, exec_lo, s13
	s_delay_alu instid0(SALU_CYCLE_1)
	s_and_not1_b32 s9, s9, exec_lo
	s_and_b32 s13, s15, exec_lo
	s_and_not1_b32 s8, s8, exec_lo
	s_and_b32 s14, s14, exec_lo
	s_or_b32 s9, s9, s13
	s_or_b32 s8, s8, s14
	s_and_b32 s0, s0, exec_lo
.LBB25_337:                             ;   in Loop: Header=BB25_17 Depth=1
	s_or_b32 exec_lo, exec_lo, s12
	s_delay_alu instid0(SALU_CYCLE_1)
	s_and_b32 s9, s9, exec_lo
	s_and_b32 s8, s8, exec_lo
	s_or_not1_b32 s12, s0, exec_lo
.LBB25_338:                             ;   in Loop: Header=BB25_17 Depth=1
	s_or_b32 exec_lo, exec_lo, s10
	s_and_saveexec_b32 s10, s12
	s_cbranch_execz .LBB25_15
; %bb.339:                              ;   in Loop: Header=BB25_17 Depth=1
	s_mov_b32 s14, -1
	s_mov_b32 s15, -1
	s_mov_b32 s13, exec_lo
                                        ; implicit-def: $sgpr11
                                        ; implicit-def: $sgpr12
	v_cmpx_lt_i32_e64 v7, v146
	s_cbranch_execz .LBB25_549
; %bb.340:                              ;   in Loop: Header=BB25_17 Depth=1
	s_waitcnt vmcnt(0) lgkmcnt(0)
	v_add_nc_u32_e32 v12, s38, v7
	s_mov_b32 s16, 0
	s_mov_b32 s15, exec_lo
                                        ; implicit-def: $sgpr11
                                        ; implicit-def: $sgpr12
                                        ; implicit-def: $vgpr13
	s_delay_alu instid0(VALU_DEP_1) | instskip(NEXT) | instid1(VALU_DEP_1)
	v_mul_lo_u32 v0, v12, v10
	v_add_co_u32 v0, s0, v3, v0
	s_delay_alu instid0(VALU_DEP_1)
	v_add_co_ci_u32_e64 v1, s0, 0, v4, s0
	v_cmpx_lt_i16_e32 10, v2
	s_xor_b32 s15, exec_lo, s15
	s_cbranch_execnz .LBB25_443
; %bb.341:                              ;   in Loop: Header=BB25_17 Depth=1
	s_and_not1_saveexec_b32 s15, s15
	s_cbranch_execnz .LBB25_502
.LBB25_342:                             ;   in Loop: Header=BB25_17 Depth=1
	s_or_b32 exec_lo, exec_lo, s15
	s_mov_b32 s0, 0
	s_and_saveexec_b32 s15, s16
	s_cbranch_execnz .LBB25_543
	s_branch .LBB25_548
.LBB25_343:                             ;   in Loop: Header=BB25_17 Depth=1
	s_mov_b32 s14, exec_lo
                                        ; implicit-def: $sgpr17
                                        ; implicit-def: $sgpr15
                                        ; implicit-def: $vgpr12
	v_cmpx_lt_i16_e32 25, v13
	s_xor_b32 s14, exec_lo, s14
	s_cbranch_execz .LBB25_375
; %bb.344:                              ;   in Loop: Header=BB25_17 Depth=1
	s_mov_b32 s15, exec_lo
                                        ; implicit-def: $sgpr17
                                        ; implicit-def: $sgpr18
                                        ; implicit-def: $vgpr12
	v_cmpx_lt_i16_e32 28, v13
	s_xor_b32 s15, exec_lo, s15
	s_cbranch_execz .LBB25_360
; %bb.345:                              ;   in Loop: Header=BB25_17 Depth=1
	s_mov_b32 s19, 0
	s_mov_b32 s16, exec_lo
                                        ; implicit-def: $sgpr17
                                        ; implicit-def: $sgpr18
                                        ; implicit-def: $vgpr12
	v_cmpx_lt_i16_e32 43, v13
	s_xor_b32 s16, exec_lo, s16
	s_cbranch_execz .LBB25_355
; %bb.346:                              ;   in Loop: Header=BB25_17 Depth=1
	s_mov_b32 s20, exec_lo
                                        ; implicit-def: $sgpr18
                                        ; implicit-def: $sgpr17
                                        ; implicit-def: $vgpr12
	v_cmpx_lt_i16_e32 45, v13
	s_xor_b32 s20, exec_lo, s20
	s_cbranch_execz .LBB25_350
; %bb.347:                              ;   in Loop: Header=BB25_17 Depth=1
	s_mov_b32 s17, 0
	s_mov_b32 s18, exec_lo
                                        ; implicit-def: $vgpr12
	v_cmpx_eq_u16_e32 46, v13
	s_cbranch_execz .LBB25_349
; %bb.348:                              ;   in Loop: Header=BB25_17 Depth=1
	flat_load_b32 v0, v[0:1]
	s_mov_b32 s19, exec_lo
	s_waitcnt vmcnt(0) lgkmcnt(0)
	v_lshlrev_b32_e32 v12, 16, v0
.LBB25_349:                             ;   in Loop: Header=BB25_17 Depth=1
	s_or_b32 exec_lo, exec_lo, s18
	s_mov_b32 s18, -1
	s_and_b32 s19, s19, exec_lo
                                        ; implicit-def: $vgpr13
                                        ; implicit-def: $vgpr0_vgpr1
.LBB25_350:                             ;   in Loop: Header=BB25_17 Depth=1
	s_and_not1_saveexec_b32 s20, s20
	s_cbranch_execz .LBB25_354
; %bb.351:                              ;   in Loop: Header=BB25_17 Depth=1
	s_mov_b32 s22, s19
	s_mov_b32 s21, exec_lo
                                        ; implicit-def: $vgpr12
	v_cmpx_eq_u16_e32 44, v13
	s_cbranch_execz .LBB25_353
; %bb.352:                              ;   in Loop: Header=BB25_17 Depth=1
	flat_load_u8 v0, v[0:1]
	s_or_b32 s22, s19, exec_lo
	s_waitcnt vmcnt(0) lgkmcnt(0)
	v_lshlrev_b32_e32 v1, 23, v0
	v_cmp_ne_u32_e64 s0, 0xff, v0
	s_delay_alu instid0(VALU_DEP_1) | instskip(SKIP_1) | instid1(VALU_DEP_1)
	v_cndmask_b32_e64 v1, 0x7f800001, v1, s0
	v_cmp_ne_u32_e64 s0, 0, v0
	v_cndmask_b32_e64 v12, 0x400000, v1, s0
.LBB25_353:                             ;   in Loop: Header=BB25_17 Depth=1
	s_or_b32 exec_lo, exec_lo, s21
	s_delay_alu instid0(SALU_CYCLE_1)
	s_and_not1_b32 s0, s19, exec_lo
	s_and_b32 s19, s22, exec_lo
	s_or_b32 s18, s18, exec_lo
	s_and_not1_b32 s17, s17, exec_lo
	s_or_b32 s19, s0, s19
.LBB25_354:                             ;   in Loop: Header=BB25_17 Depth=1
	s_or_b32 exec_lo, exec_lo, s20
	s_delay_alu instid0(SALU_CYCLE_1)
	s_and_b32 s18, s18, exec_lo
	s_and_b32 s17, s17, exec_lo
	s_and_b32 s19, s19, exec_lo
                                        ; implicit-def: $vgpr13
                                        ; implicit-def: $vgpr0_vgpr1
.LBB25_355:                             ;   in Loop: Header=BB25_17 Depth=1
	s_and_not1_saveexec_b32 s16, s16
	s_cbranch_execz .LBB25_359
; %bb.356:                              ;   in Loop: Header=BB25_17 Depth=1
	s_mov_b32 s21, s19
	s_mov_b32 s20, exec_lo
                                        ; implicit-def: $vgpr12
	v_cmpx_eq_u16_e32 29, v13
	s_cbranch_execz .LBB25_358
; %bb.357:                              ;   in Loop: Header=BB25_17 Depth=1
	flat_load_b64 v[0:1], v[0:1]
	s_or_b32 s21, s19, exec_lo
	s_waitcnt vmcnt(0) lgkmcnt(0)
	v_clz_i32_u32_e32 v12, v1
	s_delay_alu instid0(VALU_DEP_1) | instskip(NEXT) | instid1(VALU_DEP_1)
	v_min_u32_e32 v12, 32, v12
	v_lshlrev_b64 v[0:1], v12, v[0:1]
	s_delay_alu instid0(VALU_DEP_1) | instskip(NEXT) | instid1(VALU_DEP_1)
	v_min_u32_e32 v0, 1, v0
	v_or_b32_e32 v0, v1, v0
	v_sub_nc_u32_e32 v1, 32, v12
	s_delay_alu instid0(VALU_DEP_2) | instskip(NEXT) | instid1(VALU_DEP_1)
	v_cvt_f32_u32_e32 v0, v0
	v_ldexp_f32 v12, v0, v1
.LBB25_358:                             ;   in Loop: Header=BB25_17 Depth=1
	s_or_b32 exec_lo, exec_lo, s20
	s_delay_alu instid0(SALU_CYCLE_1)
	s_and_not1_b32 s0, s19, exec_lo
	s_and_b32 s19, s21, exec_lo
	s_or_b32 s18, s18, exec_lo
	s_and_not1_b32 s17, s17, exec_lo
	s_or_b32 s19, s0, s19
.LBB25_359:                             ;   in Loop: Header=BB25_17 Depth=1
	s_or_b32 exec_lo, exec_lo, s16
	s_delay_alu instid0(SALU_CYCLE_1)
	s_and_b32 s18, s18, exec_lo
	s_and_b32 s17, s17, exec_lo
	;; [unrolled: 1-line block ×3, first 2 shown]
                                        ; implicit-def: $vgpr13
                                        ; implicit-def: $vgpr0_vgpr1
.LBB25_360:                             ;   in Loop: Header=BB25_17 Depth=1
	s_and_not1_saveexec_b32 s15, s15
	s_cbranch_execz .LBB25_374
; %bb.361:                              ;   in Loop: Header=BB25_17 Depth=1
	s_mov_b32 s19, exec_lo
                                        ; implicit-def: $vgpr12
	v_cmpx_lt_i16_e32 26, v13
	s_xor_b32 s19, exec_lo, s19
	s_cbranch_execz .LBB25_367
; %bb.362:                              ;   in Loop: Header=BB25_17 Depth=1
	v_cmp_lt_i16_e64 s0, 27, v13
                                        ; implicit-def: $vgpr12
	s_delay_alu instid0(VALU_DEP_1) | instskip(NEXT) | instid1(SALU_CYCLE_1)
	s_and_saveexec_b32 s20, s0
	s_xor_b32 s0, exec_lo, s20
	s_cbranch_execz .LBB25_364
; %bb.363:                              ;   in Loop: Header=BB25_17 Depth=1
	flat_load_b32 v0, v[0:1]
	s_waitcnt vmcnt(0) lgkmcnt(0)
	v_cvt_f32_u32_e32 v12, v0
                                        ; implicit-def: $vgpr0_vgpr1
.LBB25_364:                             ;   in Loop: Header=BB25_17 Depth=1
	s_and_not1_saveexec_b32 s0, s0
	s_cbranch_execz .LBB25_366
; %bb.365:                              ;   in Loop: Header=BB25_17 Depth=1
	flat_load_u16 v0, v[0:1]
	s_waitcnt vmcnt(0) lgkmcnt(0)
	v_cvt_f32_u32_e32 v12, v0
.LBB25_366:                             ;   in Loop: Header=BB25_17 Depth=1
	s_or_b32 exec_lo, exec_lo, s0
                                        ; implicit-def: $vgpr0_vgpr1
.LBB25_367:                             ;   in Loop: Header=BB25_17 Depth=1
	s_and_not1_saveexec_b32 s19, s19
	s_cbranch_execz .LBB25_373
; %bb.368:                              ;   in Loop: Header=BB25_17 Depth=1
	flat_load_u8 v0, v[0:1]
	s_mov_b32 s20, 0
	s_mov_b32 s22, exec_lo
                                        ; implicit-def: $sgpr21
	s_waitcnt vmcnt(0) lgkmcnt(0)
	v_cmpx_lt_i16_e32 0x7f, v0
	s_xor_b32 s22, exec_lo, s22
	s_cbranch_execnz .LBB25_1211
; %bb.369:                              ;   in Loop: Header=BB25_17 Depth=1
	s_or_saveexec_b32 s22, s22
	v_mov_b32_e32 v12, s21
	s_xor_b32 exec_lo, exec_lo, s22
	s_cbranch_execnz .LBB25_1214
.LBB25_370:                             ;   in Loop: Header=BB25_17 Depth=1
	s_or_b32 exec_lo, exec_lo, s22
	s_and_saveexec_b32 s21, s20
	s_cbranch_execz .LBB25_372
.LBB25_371:                             ;   in Loop: Header=BB25_17 Depth=1
	v_and_b32_e32 v1, 0xffff, v0
	v_lshlrev_b32_e32 v0, 24, v0
	s_delay_alu instid0(VALU_DEP_2) | instskip(NEXT) | instid1(VALU_DEP_2)
	v_and_b32_e32 v12, 7, v1
	v_and_b32_e32 v0, 0x80000000, v0
	s_delay_alu instid0(VALU_DEP_2) | instskip(NEXT) | instid1(VALU_DEP_1)
	v_clz_i32_u32_e32 v13, v12
	v_min_u32_e32 v13, 32, v13
	s_delay_alu instid0(VALU_DEP_1) | instskip(SKIP_1) | instid1(VALU_DEP_2)
	v_subrev_nc_u32_e32 v14, 28, v13
	v_sub_nc_u32_e32 v13, 29, v13
	v_lshlrev_b32_e32 v14, v14, v1
	v_bfe_u32 v1, v1, 3, 4
	s_delay_alu instid0(VALU_DEP_2) | instskip(NEXT) | instid1(VALU_DEP_2)
	v_and_b32_e32 v14, 7, v14
	v_cmp_eq_u32_e64 s0, 0, v1
	s_delay_alu instid0(VALU_DEP_1) | instskip(NEXT) | instid1(VALU_DEP_3)
	v_cndmask_b32_e64 v1, v1, v13, s0
	v_cndmask_b32_e64 v12, v12, v14, s0
	s_delay_alu instid0(VALU_DEP_2) | instskip(NEXT) | instid1(VALU_DEP_2)
	v_lshl_add_u32 v1, v1, 23, 0x3b800000
	v_lshlrev_b32_e32 v12, 20, v12
	s_delay_alu instid0(VALU_DEP_1)
	v_or3_b32 v12, v0, v1, v12
.LBB25_372:                             ;   in Loop: Header=BB25_17 Depth=1
	s_or_b32 exec_lo, exec_lo, s21
.LBB25_373:                             ;   in Loop: Header=BB25_17 Depth=1
	s_delay_alu instid0(SALU_CYCLE_1) | instskip(NEXT) | instid1(SALU_CYCLE_1)
	s_or_b32 exec_lo, exec_lo, s19
	s_and_not1_b32 s18, s18, exec_lo
	s_and_not1_b32 s17, s17, exec_lo
	s_or_b32 s16, s16, exec_lo
.LBB25_374:                             ;   in Loop: Header=BB25_17 Depth=1
	s_or_b32 exec_lo, exec_lo, s15
	s_delay_alu instid0(SALU_CYCLE_1)
	s_and_b32 s15, s18, exec_lo
	s_and_b32 s17, s17, exec_lo
	;; [unrolled: 1-line block ×3, first 2 shown]
                                        ; implicit-def: $vgpr13
                                        ; implicit-def: $vgpr0_vgpr1
.LBB25_375:                             ;   in Loop: Header=BB25_17 Depth=1
	s_and_not1_saveexec_b32 s14, s14
	s_cbranch_execz .LBB25_401
; %bb.376:                              ;   in Loop: Header=BB25_17 Depth=1
	s_mov_b32 s19, s16
	s_mov_b32 s18, exec_lo
                                        ; implicit-def: $vgpr12
	v_cmpx_lt_i16_e32 22, v13
	s_xor_b32 s18, exec_lo, s18
	s_cbranch_execz .LBB25_390
; %bb.377:                              ;   in Loop: Header=BB25_17 Depth=1
	s_mov_b32 s19, exec_lo
                                        ; implicit-def: $vgpr12
	v_cmpx_lt_i16_e32 23, v13
	s_xor_b32 s19, exec_lo, s19
	s_cbranch_execz .LBB25_387
; %bb.378:                              ;   in Loop: Header=BB25_17 Depth=1
	;; [unrolled: 6-line block ×3, first 2 shown]
	flat_load_u8 v0, v[0:1]
	s_mov_b32 s21, 0
	s_mov_b32 s23, exec_lo
                                        ; implicit-def: $sgpr22
	s_waitcnt vmcnt(0) lgkmcnt(0)
	v_cmpx_lt_i16_e32 0x7f, v0
	s_xor_b32 s23, exec_lo, s23
	s_cbranch_execnz .LBB25_1430
; %bb.380:                              ;   in Loop: Header=BB25_17 Depth=1
	s_or_saveexec_b32 s23, s23
	v_mov_b32_e32 v12, s22
	s_xor_b32 exec_lo, exec_lo, s23
	s_cbranch_execnz .LBB25_1433
.LBB25_381:                             ;   in Loop: Header=BB25_17 Depth=1
	s_or_b32 exec_lo, exec_lo, s23
	s_and_saveexec_b32 s22, s21
	s_cbranch_execz .LBB25_383
.LBB25_382:                             ;   in Loop: Header=BB25_17 Depth=1
	v_and_b32_e32 v1, 0xffff, v0
	v_lshlrev_b32_e32 v0, 24, v0
	s_delay_alu instid0(VALU_DEP_2) | instskip(NEXT) | instid1(VALU_DEP_2)
	v_and_b32_e32 v12, 3, v1
	v_and_b32_e32 v0, 0x80000000, v0
	s_delay_alu instid0(VALU_DEP_2) | instskip(NEXT) | instid1(VALU_DEP_1)
	v_clz_i32_u32_e32 v13, v12
	v_min_u32_e32 v13, 32, v13
	s_delay_alu instid0(VALU_DEP_1) | instskip(SKIP_1) | instid1(VALU_DEP_2)
	v_subrev_nc_u32_e32 v14, 29, v13
	v_sub_nc_u32_e32 v13, 30, v13
	v_lshlrev_b32_e32 v14, v14, v1
	v_bfe_u32 v1, v1, 2, 5
	s_delay_alu instid0(VALU_DEP_2) | instskip(NEXT) | instid1(VALU_DEP_2)
	v_and_b32_e32 v14, 3, v14
	v_cmp_eq_u32_e64 s0, 0, v1
	s_delay_alu instid0(VALU_DEP_1) | instskip(NEXT) | instid1(VALU_DEP_3)
	v_cndmask_b32_e64 v1, v1, v13, s0
	v_cndmask_b32_e64 v12, v12, v14, s0
	s_delay_alu instid0(VALU_DEP_2) | instskip(NEXT) | instid1(VALU_DEP_2)
	v_lshl_add_u32 v1, v1, 23, 0x37800000
	v_lshlrev_b32_e32 v12, 21, v12
	s_delay_alu instid0(VALU_DEP_1)
	v_or3_b32 v12, v0, v1, v12
.LBB25_383:                             ;   in Loop: Header=BB25_17 Depth=1
	s_or_b32 exec_lo, exec_lo, s22
                                        ; implicit-def: $vgpr0_vgpr1
.LBB25_384:                             ;   in Loop: Header=BB25_17 Depth=1
	s_and_not1_saveexec_b32 s20, s20
	s_cbranch_execz .LBB25_386
; %bb.385:                              ;   in Loop: Header=BB25_17 Depth=1
	flat_load_u8 v0, v[0:1]
	s_waitcnt vmcnt(0) lgkmcnt(0)
	v_lshlrev_b32_e32 v0, 24, v0
	s_delay_alu instid0(VALU_DEP_1) | instskip(NEXT) | instid1(VALU_DEP_1)
	v_and_b32_e32 v1, 0x7f000000, v0
	v_clz_i32_u32_e32 v12, v1
	v_add_nc_u32_e32 v14, 0x1000000, v1
	v_cmp_ne_u32_e64 s0, 0, v1
	s_delay_alu instid0(VALU_DEP_3) | instskip(NEXT) | instid1(VALU_DEP_1)
	v_min_u32_e32 v12, 32, v12
	v_sub_nc_u32_e64 v12, v12, 4 clamp
	s_delay_alu instid0(VALU_DEP_1) | instskip(SKIP_1) | instid1(VALU_DEP_2)
	v_lshlrev_b32_e32 v13, v12, v1
	v_lshlrev_b32_e32 v12, 23, v12
	v_lshrrev_b32_e32 v13, 4, v13
	s_delay_alu instid0(VALU_DEP_1) | instskip(SKIP_1) | instid1(VALU_DEP_2)
	v_sub_nc_u32_e32 v12, v13, v12
	v_ashrrev_i32_e32 v13, 8, v14
	v_add_nc_u32_e32 v12, 0x3c000000, v12
	s_delay_alu instid0(VALU_DEP_1) | instskip(NEXT) | instid1(VALU_DEP_1)
	v_and_or_b32 v12, 0x7f800000, v13, v12
	v_cndmask_b32_e64 v1, 0, v12, s0
	s_delay_alu instid0(VALU_DEP_1)
	v_and_or_b32 v12, 0x80000000, v0, v1
.LBB25_386:                             ;   in Loop: Header=BB25_17 Depth=1
	s_or_b32 exec_lo, exec_lo, s20
                                        ; implicit-def: $vgpr0_vgpr1
.LBB25_387:                             ;   in Loop: Header=BB25_17 Depth=1
	s_and_not1_saveexec_b32 s19, s19
	s_cbranch_execz .LBB25_389
; %bb.388:                              ;   in Loop: Header=BB25_17 Depth=1
	flat_load_u8 v0, v[0:1]
	s_waitcnt vmcnt(0) lgkmcnt(0)
	v_lshlrev_b32_e32 v1, 25, v0
	v_lshlrev_b16 v0, 8, v0
	s_delay_alu instid0(VALU_DEP_2) | instskip(NEXT) | instid1(VALU_DEP_2)
	v_lshrrev_b32_e32 v12, 4, v1
	v_and_or_b32 v13, 0x7f00, v0, 0.5
	v_cmp_gt_u32_e64 s0, 0x8000000, v1
	v_bfe_i32 v0, v0, 0, 16
	s_delay_alu instid0(VALU_DEP_4) | instskip(NEXT) | instid1(VALU_DEP_1)
	v_or_b32_e32 v12, 0x70000000, v12
	v_dual_add_f32 v13, -0.5, v13 :: v_dual_mul_f32 v12, 0x7800000, v12
	s_delay_alu instid0(VALU_DEP_1) | instskip(NEXT) | instid1(VALU_DEP_1)
	v_cndmask_b32_e64 v1, v12, v13, s0
	v_and_or_b32 v12, 0x80000000, v0, v1
.LBB25_389:                             ;   in Loop: Header=BB25_17 Depth=1
	s_or_b32 exec_lo, exec_lo, s19
	s_delay_alu instid0(SALU_CYCLE_1)
	s_or_b32 s19, s16, exec_lo
                                        ; implicit-def: $vgpr13
                                        ; implicit-def: $vgpr0_vgpr1
.LBB25_390:                             ;   in Loop: Header=BB25_17 Depth=1
	s_or_saveexec_b32 s18, s18
                                        ; implicit-def: $sgpr20
                                        ; implicit-def: $sgpr0
	s_delay_alu instid0(SALU_CYCLE_1)
	s_xor_b32 exec_lo, exec_lo, s18
	s_cbranch_execz .LBB25_400
; %bb.391:                              ;   in Loop: Header=BB25_17 Depth=1
	s_mov_b32 s21, s19
	s_mov_b32 s23, exec_lo
                                        ; implicit-def: $sgpr22
                                        ; implicit-def: $sgpr20
                                        ; implicit-def: $vgpr12
	v_cmpx_lt_i16_e32 14, v13
	s_xor_b32 s23, exec_lo, s23
	s_cbranch_execz .LBB25_395
; %bb.392:                              ;   in Loop: Header=BB25_17 Depth=1
	s_mov_b32 s21, s19
	s_mov_b32 s20, exec_lo
                                        ; implicit-def: $vgpr12
	v_cmpx_eq_u16_e32 15, v13
	s_cbranch_execz .LBB25_394
; %bb.393:                              ;   in Loop: Header=BB25_17 Depth=1
	flat_load_u16 v0, v[0:1]
	s_or_b32 s21, s19, exec_lo
	s_waitcnt vmcnt(0) lgkmcnt(0)
	v_lshlrev_b32_e32 v12, 16, v0
.LBB25_394:                             ;   in Loop: Header=BB25_17 Depth=1
	s_or_b32 exec_lo, exec_lo, s20
	s_delay_alu instid0(SALU_CYCLE_1)
	s_and_not1_b32 s0, s19, exec_lo
	s_and_b32 s21, s21, exec_lo
	s_mov_b32 s20, 0
	s_mov_b32 s22, -1
	s_or_b32 s21, s0, s21
                                        ; implicit-def: $vgpr13
                                        ; implicit-def: $vgpr0_vgpr1
.LBB25_395:                             ;   in Loop: Header=BB25_17 Depth=1
	s_and_not1_saveexec_b32 s23, s23
	s_cbranch_execz .LBB25_399
; %bb.396:                              ;   in Loop: Header=BB25_17 Depth=1
	s_mov_b32 s24, s21
	s_mov_b32 s25, exec_lo
                                        ; implicit-def: $vgpr12
	v_cmpx_eq_u16_e32 11, v13
	s_cbranch_execz .LBB25_398
; %bb.397:                              ;   in Loop: Header=BB25_17 Depth=1
	flat_load_u8 v0, v[0:1]
	s_or_b32 s24, s21, exec_lo
	s_waitcnt vmcnt(0) lgkmcnt(0)
	v_cmp_ne_u16_e64 s0, 0, v0
	s_delay_alu instid0(VALU_DEP_1)
	v_cndmask_b32_e64 v12, 0, 1.0, s0
.LBB25_398:                             ;   in Loop: Header=BB25_17 Depth=1
	s_or_b32 exec_lo, exec_lo, s25
	s_delay_alu instid0(SALU_CYCLE_1)
	s_and_not1_b32 s0, s21, exec_lo
	s_and_b32 s21, s24, exec_lo
	s_or_b32 s22, s22, exec_lo
	s_and_not1_b32 s20, s20, exec_lo
	s_or_b32 s21, s0, s21
.LBB25_399:                             ;   in Loop: Header=BB25_17 Depth=1
	s_or_b32 exec_lo, exec_lo, s23
	s_delay_alu instid0(SALU_CYCLE_1)
	s_and_not1_b32 s19, s19, exec_lo
	s_and_b32 s21, s21, exec_lo
	s_and_b32 s0, s22, exec_lo
	;; [unrolled: 1-line block ×3, first 2 shown]
	s_or_b32 s19, s19, s21
.LBB25_400:                             ;   in Loop: Header=BB25_17 Depth=1
	s_or_b32 exec_lo, exec_lo, s18
	s_delay_alu instid0(SALU_CYCLE_1)
	s_and_not1_b32 s15, s15, exec_lo
	s_and_b32 s0, s0, exec_lo
	s_and_not1_b32 s16, s16, exec_lo
	s_or_b32 s15, s15, s0
	s_and_not1_b32 s0, s17, exec_lo
	s_and_b32 s17, s20, exec_lo
	s_and_b32 s18, s19, exec_lo
	s_or_b32 s17, s0, s17
	s_or_b32 s16, s16, s18
.LBB25_401:                             ;   in Loop: Header=BB25_17 Depth=1
	s_or_b32 exec_lo, exec_lo, s14
	s_delay_alu instid0(SALU_CYCLE_1)
	s_and_b32 s15, s15, exec_lo
	s_and_b32 s14, s17, exec_lo
	;; [unrolled: 1-line block ×3, first 2 shown]
                                        ; implicit-def: $vgpr13
                                        ; implicit-def: $vgpr0_vgpr1
	s_and_not1_saveexec_b32 s13, s13
	s_cbranch_execz .LBB25_334
.LBB25_402:                             ;   in Loop: Header=BB25_17 Depth=1
	s_mov_b32 s17, exec_lo
                                        ; implicit-def: $vgpr12
	v_cmpx_lt_i16_e32 4, v13
	s_xor_b32 s17, exec_lo, s17
	s_cbranch_execz .LBB25_424
; %bb.403:                              ;   in Loop: Header=BB25_17 Depth=1
	s_mov_b32 s18, exec_lo
                                        ; implicit-def: $vgpr12
	v_cmpx_lt_i16_e32 7, v13
	s_xor_b32 s18, exec_lo, s18
	s_cbranch_execz .LBB25_413
; %bb.404:                              ;   in Loop: Header=BB25_17 Depth=1
	;; [unrolled: 6-line block ×3, first 2 shown]
	v_cmp_lt_i16_e64 s0, 9, v13
                                        ; implicit-def: $vgpr12
	s_delay_alu instid0(VALU_DEP_1) | instskip(NEXT) | instid1(SALU_CYCLE_1)
	s_and_saveexec_b32 s20, s0
	s_xor_b32 s0, exec_lo, s20
	s_cbranch_execz .LBB25_407
; %bb.406:                              ;   in Loop: Header=BB25_17 Depth=1
	flat_load_b64 v[0:1], v[0:1]
	s_waitcnt vmcnt(0) lgkmcnt(0)
	v_cvt_f32_f64_e32 v12, v[0:1]
                                        ; implicit-def: $vgpr0_vgpr1
.LBB25_407:                             ;   in Loop: Header=BB25_17 Depth=1
	s_and_not1_saveexec_b32 s0, s0
	s_cbranch_execz .LBB25_409
; %bb.408:                              ;   in Loop: Header=BB25_17 Depth=1
	flat_load_b32 v12, v[0:1]
.LBB25_409:                             ;   in Loop: Header=BB25_17 Depth=1
	s_or_b32 exec_lo, exec_lo, s0
                                        ; implicit-def: $vgpr0_vgpr1
.LBB25_410:                             ;   in Loop: Header=BB25_17 Depth=1
	s_and_not1_saveexec_b32 s0, s19
	s_cbranch_execz .LBB25_412
; %bb.411:                              ;   in Loop: Header=BB25_17 Depth=1
	flat_load_b32 v0, v[0:1]
	s_waitcnt vmcnt(0) lgkmcnt(0)
	v_cvt_f32_f16_e32 v12, v0
.LBB25_412:                             ;   in Loop: Header=BB25_17 Depth=1
	s_or_b32 exec_lo, exec_lo, s0
                                        ; implicit-def: $vgpr0_vgpr1
                                        ; implicit-def: $vgpr13
.LBB25_413:                             ;   in Loop: Header=BB25_17 Depth=1
	s_and_not1_saveexec_b32 s18, s18
	s_cbranch_execz .LBB25_423
; %bb.414:                              ;   in Loop: Header=BB25_17 Depth=1
	s_mov_b32 s19, exec_lo
                                        ; implicit-def: $vgpr12
	v_cmpx_lt_i16_e32 5, v13
	s_xor_b32 s19, exec_lo, s19
	s_cbranch_execz .LBB25_420
; %bb.415:                              ;   in Loop: Header=BB25_17 Depth=1
	v_cmp_lt_i16_e64 s0, 6, v13
                                        ; implicit-def: $vgpr12
	s_delay_alu instid0(VALU_DEP_1) | instskip(NEXT) | instid1(SALU_CYCLE_1)
	s_and_saveexec_b32 s20, s0
	s_xor_b32 s0, exec_lo, s20
	s_cbranch_execz .LBB25_417
; %bb.416:                              ;   in Loop: Header=BB25_17 Depth=1
	flat_load_b64 v[0:1], v[0:1]
	s_waitcnt vmcnt(0) lgkmcnt(0)
	v_cvt_f32_f64_e32 v12, v[0:1]
                                        ; implicit-def: $vgpr0_vgpr1
.LBB25_417:                             ;   in Loop: Header=BB25_17 Depth=1
	s_and_not1_saveexec_b32 s0, s0
	s_cbranch_execz .LBB25_419
; %bb.418:                              ;   in Loop: Header=BB25_17 Depth=1
	s_waitcnt vmcnt(0) lgkmcnt(0)
	flat_load_b32 v12, v[0:1]
.LBB25_419:                             ;   in Loop: Header=BB25_17 Depth=1
	s_or_b32 exec_lo, exec_lo, s0
                                        ; implicit-def: $vgpr0_vgpr1
.LBB25_420:                             ;   in Loop: Header=BB25_17 Depth=1
	s_and_not1_saveexec_b32 s0, s19
	s_cbranch_execz .LBB25_422
; %bb.421:                              ;   in Loop: Header=BB25_17 Depth=1
	flat_load_u16 v0, v[0:1]
	s_waitcnt vmcnt(0) lgkmcnt(0)
	v_cvt_f32_f16_e32 v12, v0
.LBB25_422:                             ;   in Loop: Header=BB25_17 Depth=1
	s_or_b32 exec_lo, exec_lo, s0
.LBB25_423:                             ;   in Loop: Header=BB25_17 Depth=1
	s_delay_alu instid0(SALU_CYCLE_1)
	s_or_b32 exec_lo, exec_lo, s18
                                        ; implicit-def: $vgpr13
                                        ; implicit-def: $vgpr0_vgpr1
.LBB25_424:                             ;   in Loop: Header=BB25_17 Depth=1
	s_and_not1_saveexec_b32 s17, s17
	s_cbranch_execz .LBB25_442
; %bb.425:                              ;   in Loop: Header=BB25_17 Depth=1
	s_mov_b32 s18, exec_lo
                                        ; implicit-def: $vgpr12
	v_cmpx_lt_i16_e32 1, v13
	s_xor_b32 s18, exec_lo, s18
	s_cbranch_execz .LBB25_435
; %bb.426:                              ;   in Loop: Header=BB25_17 Depth=1
	s_mov_b32 s19, exec_lo
                                        ; implicit-def: $vgpr12
	v_cmpx_lt_i16_e32 2, v13
	s_xor_b32 s19, exec_lo, s19
	s_cbranch_execz .LBB25_432
; %bb.427:                              ;   in Loop: Header=BB25_17 Depth=1
	v_cmp_lt_i16_e64 s0, 3, v13
                                        ; implicit-def: $vgpr12
	s_delay_alu instid0(VALU_DEP_1) | instskip(NEXT) | instid1(SALU_CYCLE_1)
	s_and_saveexec_b32 s20, s0
	s_xor_b32 s0, exec_lo, s20
	s_cbranch_execz .LBB25_429
; %bb.428:                              ;   in Loop: Header=BB25_17 Depth=1
	flat_load_b64 v[0:1], v[0:1]
	s_waitcnt vmcnt(0) lgkmcnt(0)
	v_xor_b32_e32 v12, v0, v1
	v_cls_i32_e32 v13, v1
	s_delay_alu instid0(VALU_DEP_2) | instskip(NEXT) | instid1(VALU_DEP_2)
	v_ashrrev_i32_e32 v12, 31, v12
	v_add_nc_u32_e32 v13, -1, v13
	s_delay_alu instid0(VALU_DEP_2) | instskip(NEXT) | instid1(VALU_DEP_1)
	v_add_nc_u32_e32 v12, 32, v12
	v_min_u32_e32 v12, v13, v12
	s_delay_alu instid0(VALU_DEP_1) | instskip(NEXT) | instid1(VALU_DEP_1)
	v_lshlrev_b64 v[0:1], v12, v[0:1]
	v_min_u32_e32 v0, 1, v0
	s_delay_alu instid0(VALU_DEP_1) | instskip(SKIP_1) | instid1(VALU_DEP_2)
	v_or_b32_e32 v0, v1, v0
	v_sub_nc_u32_e32 v1, 32, v12
	v_cvt_f32_i32_e32 v0, v0
	s_delay_alu instid0(VALU_DEP_1)
	v_ldexp_f32 v12, v0, v1
                                        ; implicit-def: $vgpr0_vgpr1
.LBB25_429:                             ;   in Loop: Header=BB25_17 Depth=1
	s_and_not1_saveexec_b32 s0, s0
	s_cbranch_execz .LBB25_431
; %bb.430:                              ;   in Loop: Header=BB25_17 Depth=1
	flat_load_b32 v0, v[0:1]
	s_waitcnt vmcnt(0) lgkmcnt(0)
	v_cvt_f32_i32_e32 v12, v0
.LBB25_431:                             ;   in Loop: Header=BB25_17 Depth=1
	s_or_b32 exec_lo, exec_lo, s0
                                        ; implicit-def: $vgpr0_vgpr1
.LBB25_432:                             ;   in Loop: Header=BB25_17 Depth=1
	s_and_not1_saveexec_b32 s0, s19
	s_cbranch_execz .LBB25_434
; %bb.433:                              ;   in Loop: Header=BB25_17 Depth=1
	flat_load_i16 v0, v[0:1]
	s_waitcnt vmcnt(0) lgkmcnt(0)
	v_cvt_f32_i32_e32 v12, v0
.LBB25_434:                             ;   in Loop: Header=BB25_17 Depth=1
	s_or_b32 exec_lo, exec_lo, s0
                                        ; implicit-def: $vgpr0_vgpr1
                                        ; implicit-def: $vgpr13
.LBB25_435:                             ;   in Loop: Header=BB25_17 Depth=1
	s_and_not1_saveexec_b32 s18, s18
	s_cbranch_execz .LBB25_441
; %bb.436:                              ;   in Loop: Header=BB25_17 Depth=1
	v_cmp_lt_i16_e64 s0, 0, v13
                                        ; implicit-def: $vgpr12
	s_delay_alu instid0(VALU_DEP_1) | instskip(NEXT) | instid1(SALU_CYCLE_1)
	s_and_saveexec_b32 s19, s0
	s_xor_b32 s0, exec_lo, s19
	s_cbranch_execz .LBB25_438
; %bb.437:                              ;   in Loop: Header=BB25_17 Depth=1
	flat_load_i8 v0, v[0:1]
	s_waitcnt vmcnt(0) lgkmcnt(0)
	v_cvt_f32_i32_e32 v12, v0
                                        ; implicit-def: $vgpr0_vgpr1
.LBB25_438:                             ;   in Loop: Header=BB25_17 Depth=1
	s_and_not1_saveexec_b32 s0, s0
	s_cbranch_execz .LBB25_440
; %bb.439:                              ;   in Loop: Header=BB25_17 Depth=1
	flat_load_u8 v0, v[0:1]
	s_waitcnt vmcnt(0) lgkmcnt(0)
	v_cvt_f32_ubyte0_e32 v12, v0
.LBB25_440:                             ;   in Loop: Header=BB25_17 Depth=1
	s_or_b32 exec_lo, exec_lo, s0
.LBB25_441:                             ;   in Loop: Header=BB25_17 Depth=1
	s_delay_alu instid0(SALU_CYCLE_1)
	s_or_b32 exec_lo, exec_lo, s18
.LBB25_442:                             ;   in Loop: Header=BB25_17 Depth=1
	s_delay_alu instid0(SALU_CYCLE_1) | instskip(NEXT) | instid1(SALU_CYCLE_1)
	s_or_b32 exec_lo, exec_lo, s17
	s_and_not1_b32 s15, s15, exec_lo
	s_and_not1_b32 s14, s14, exec_lo
	s_or_b32 s16, s16, exec_lo
	s_or_b32 exec_lo, exec_lo, s13
	s_mov_b32 s0, 0
	s_and_saveexec_b32 s13, s16
	s_cbranch_execnz .LBB25_335
	s_branch .LBB25_336
.LBB25_443:                             ;   in Loop: Header=BB25_17 Depth=1
	s_mov_b32 s11, exec_lo
                                        ; implicit-def: $sgpr17
                                        ; implicit-def: $sgpr12
                                        ; implicit-def: $vgpr13
	v_cmpx_lt_i16_e32 25, v2
	s_xor_b32 s11, exec_lo, s11
	s_cbranch_execz .LBB25_475
; %bb.444:                              ;   in Loop: Header=BB25_17 Depth=1
	s_mov_b32 s12, exec_lo
                                        ; implicit-def: $sgpr17
                                        ; implicit-def: $sgpr18
                                        ; implicit-def: $vgpr13
	v_cmpx_lt_i16_e32 28, v2
	s_xor_b32 s12, exec_lo, s12
	s_cbranch_execz .LBB25_460
; %bb.445:                              ;   in Loop: Header=BB25_17 Depth=1
	s_mov_b32 s19, 0
	s_mov_b32 s16, exec_lo
                                        ; implicit-def: $sgpr17
                                        ; implicit-def: $sgpr18
                                        ; implicit-def: $vgpr13
	v_cmpx_lt_i16_e32 43, v2
	s_xor_b32 s16, exec_lo, s16
	s_cbranch_execz .LBB25_455
; %bb.446:                              ;   in Loop: Header=BB25_17 Depth=1
	s_mov_b32 s18, exec_lo
                                        ; implicit-def: $sgpr17
                                        ; implicit-def: $sgpr20
                                        ; implicit-def: $vgpr13
	v_cmpx_lt_i16_e32 45, v2
	s_xor_b32 s18, exec_lo, s18
	s_cbranch_execz .LBB25_450
; %bb.447:                              ;   in Loop: Header=BB25_17 Depth=1
	s_mov_b32 s17, 0
	s_mov_b32 s20, exec_lo
                                        ; implicit-def: $vgpr13
	v_cmpx_eq_u16_e32 46, v2
	s_cbranch_execz .LBB25_449
; %bb.448:                              ;   in Loop: Header=BB25_17 Depth=1
	flat_load_b32 v0, v[0:1]
	s_mov_b32 s19, exec_lo
	s_waitcnt vmcnt(0) lgkmcnt(0)
	v_lshlrev_b32_e32 v13, 16, v0
.LBB25_449:                             ;   in Loop: Header=BB25_17 Depth=1
	s_or_b32 exec_lo, exec_lo, s20
	s_mov_b32 s20, -1
	s_and_b32 s19, s19, exec_lo
                                        ; implicit-def: $vgpr0_vgpr1
.LBB25_450:                             ;   in Loop: Header=BB25_17 Depth=1
	s_and_not1_saveexec_b32 s18, s18
	s_cbranch_execz .LBB25_454
; %bb.451:                              ;   in Loop: Header=BB25_17 Depth=1
	s_mov_b32 s22, s19
	s_mov_b32 s21, exec_lo
                                        ; implicit-def: $vgpr13
	v_cmpx_eq_u16_e32 44, v2
	s_cbranch_execz .LBB25_453
; %bb.452:                              ;   in Loop: Header=BB25_17 Depth=1
	flat_load_u8 v0, v[0:1]
	s_or_b32 s22, s19, exec_lo
	s_waitcnt vmcnt(0) lgkmcnt(0)
	v_lshlrev_b32_e32 v1, 23, v0
	v_cmp_ne_u32_e64 s0, 0xff, v0
	s_delay_alu instid0(VALU_DEP_1) | instskip(SKIP_1) | instid1(VALU_DEP_1)
	v_cndmask_b32_e64 v1, 0x7f800001, v1, s0
	v_cmp_ne_u32_e64 s0, 0, v0
	v_cndmask_b32_e64 v13, 0x400000, v1, s0
.LBB25_453:                             ;   in Loop: Header=BB25_17 Depth=1
	s_or_b32 exec_lo, exec_lo, s21
	s_delay_alu instid0(SALU_CYCLE_1)
	s_and_not1_b32 s0, s19, exec_lo
	s_and_b32 s19, s22, exec_lo
	s_and_not1_b32 s17, s17, exec_lo
	s_or_b32 s20, s20, exec_lo
	s_or_b32 s19, s0, s19
.LBB25_454:                             ;   in Loop: Header=BB25_17 Depth=1
	s_or_b32 exec_lo, exec_lo, s18
	s_delay_alu instid0(SALU_CYCLE_1)
	s_and_b32 s18, s17, exec_lo
	s_and_b32 s17, s20, exec_lo
	;; [unrolled: 1-line block ×3, first 2 shown]
                                        ; implicit-def: $vgpr0_vgpr1
.LBB25_455:                             ;   in Loop: Header=BB25_17 Depth=1
	s_and_not1_saveexec_b32 s16, s16
	s_cbranch_execz .LBB25_459
; %bb.456:                              ;   in Loop: Header=BB25_17 Depth=1
	s_mov_b32 s21, s19
	s_mov_b32 s20, exec_lo
                                        ; implicit-def: $vgpr13
	v_cmpx_eq_u16_e32 29, v2
	s_cbranch_execz .LBB25_458
; %bb.457:                              ;   in Loop: Header=BB25_17 Depth=1
	flat_load_b64 v[0:1], v[0:1]
	s_or_b32 s21, s19, exec_lo
	s_waitcnt vmcnt(0) lgkmcnt(0)
	v_clz_i32_u32_e32 v8, v1
	s_delay_alu instid0(VALU_DEP_1) | instskip(NEXT) | instid1(VALU_DEP_1)
	v_min_u32_e32 v8, 32, v8
	v_lshlrev_b64 v[0:1], v8, v[0:1]
	s_delay_alu instid0(VALU_DEP_1) | instskip(NEXT) | instid1(VALU_DEP_1)
	v_min_u32_e32 v0, 1, v0
	v_or_b32_e32 v0, v1, v0
	v_sub_nc_u32_e32 v1, 32, v8
	s_delay_alu instid0(VALU_DEP_2) | instskip(NEXT) | instid1(VALU_DEP_1)
	v_cvt_f32_u32_e32 v0, v0
	v_ldexp_f32 v13, v0, v1
.LBB25_458:                             ;   in Loop: Header=BB25_17 Depth=1
	s_or_b32 exec_lo, exec_lo, s20
	s_delay_alu instid0(SALU_CYCLE_1)
	s_and_not1_b32 s0, s19, exec_lo
	s_and_b32 s19, s21, exec_lo
	s_and_not1_b32 s18, s18, exec_lo
	s_or_b32 s17, s17, exec_lo
	s_or_b32 s19, s0, s19
.LBB25_459:                             ;   in Loop: Header=BB25_17 Depth=1
	s_or_b32 exec_lo, exec_lo, s16
	s_delay_alu instid0(SALU_CYCLE_1)
	s_and_b32 s18, s18, exec_lo
	s_and_b32 s17, s17, exec_lo
	;; [unrolled: 1-line block ×3, first 2 shown]
                                        ; implicit-def: $vgpr0_vgpr1
.LBB25_460:                             ;   in Loop: Header=BB25_17 Depth=1
	s_and_not1_saveexec_b32 s12, s12
	s_cbranch_execz .LBB25_474
; %bb.461:                              ;   in Loop: Header=BB25_17 Depth=1
	s_mov_b32 s19, exec_lo
                                        ; implicit-def: $vgpr13
	v_cmpx_lt_i16_e32 26, v2
	s_xor_b32 s19, exec_lo, s19
	s_cbranch_execz .LBB25_467
; %bb.462:                              ;   in Loop: Header=BB25_17 Depth=1
	v_cmp_lt_i16_e64 s0, 27, v2
                                        ; implicit-def: $vgpr13
	s_delay_alu instid0(VALU_DEP_1) | instskip(NEXT) | instid1(SALU_CYCLE_1)
	s_and_saveexec_b32 s20, s0
	s_xor_b32 s0, exec_lo, s20
	s_cbranch_execz .LBB25_464
; %bb.463:                              ;   in Loop: Header=BB25_17 Depth=1
	flat_load_b32 v0, v[0:1]
	s_waitcnt vmcnt(0) lgkmcnt(0)
	v_cvt_f32_u32_e32 v13, v0
                                        ; implicit-def: $vgpr0_vgpr1
.LBB25_464:                             ;   in Loop: Header=BB25_17 Depth=1
	s_and_not1_saveexec_b32 s0, s0
	s_cbranch_execz .LBB25_466
; %bb.465:                              ;   in Loop: Header=BB25_17 Depth=1
	flat_load_u16 v0, v[0:1]
	s_waitcnt vmcnt(0) lgkmcnt(0)
	v_cvt_f32_u32_e32 v13, v0
.LBB25_466:                             ;   in Loop: Header=BB25_17 Depth=1
	s_or_b32 exec_lo, exec_lo, s0
                                        ; implicit-def: $vgpr0_vgpr1
.LBB25_467:                             ;   in Loop: Header=BB25_17 Depth=1
	s_and_not1_saveexec_b32 s19, s19
	s_cbranch_execz .LBB25_473
; %bb.468:                              ;   in Loop: Header=BB25_17 Depth=1
	flat_load_u8 v0, v[0:1]
	s_mov_b32 s20, 0
	s_mov_b32 s22, exec_lo
                                        ; implicit-def: $sgpr21
	s_waitcnt vmcnt(0) lgkmcnt(0)
	v_cmpx_lt_i16_e32 0x7f, v0
	s_xor_b32 s22, exec_lo, s22
	s_cbranch_execnz .LBB25_1215
; %bb.469:                              ;   in Loop: Header=BB25_17 Depth=1
	s_or_saveexec_b32 s22, s22
	v_mov_b32_e32 v13, s21
	s_xor_b32 exec_lo, exec_lo, s22
	s_cbranch_execnz .LBB25_1218
.LBB25_470:                             ;   in Loop: Header=BB25_17 Depth=1
	s_or_b32 exec_lo, exec_lo, s22
	s_and_saveexec_b32 s21, s20
	s_cbranch_execz .LBB25_472
.LBB25_471:                             ;   in Loop: Header=BB25_17 Depth=1
	v_and_b32_e32 v1, 0xffff, v0
	v_lshlrev_b32_e32 v0, 24, v0
	s_delay_alu instid0(VALU_DEP_2) | instskip(NEXT) | instid1(VALU_DEP_2)
	v_and_b32_e32 v8, 7, v1
	v_and_b32_e32 v0, 0x80000000, v0
	s_delay_alu instid0(VALU_DEP_2) | instskip(NEXT) | instid1(VALU_DEP_1)
	v_clz_i32_u32_e32 v13, v8
	v_min_u32_e32 v13, 32, v13
	s_delay_alu instid0(VALU_DEP_1) | instskip(SKIP_1) | instid1(VALU_DEP_2)
	v_subrev_nc_u32_e32 v14, 28, v13
	v_sub_nc_u32_e32 v13, 29, v13
	v_lshlrev_b32_e32 v14, v14, v1
	v_bfe_u32 v1, v1, 3, 4
	s_delay_alu instid0(VALU_DEP_2) | instskip(NEXT) | instid1(VALU_DEP_2)
	v_and_b32_e32 v14, 7, v14
	v_cmp_eq_u32_e64 s0, 0, v1
	s_delay_alu instid0(VALU_DEP_1) | instskip(NEXT) | instid1(VALU_DEP_3)
	v_cndmask_b32_e64 v1, v1, v13, s0
	v_cndmask_b32_e64 v8, v8, v14, s0
	s_delay_alu instid0(VALU_DEP_2) | instskip(NEXT) | instid1(VALU_DEP_2)
	v_lshl_add_u32 v1, v1, 23, 0x3b800000
	v_lshlrev_b32_e32 v8, 20, v8
	s_delay_alu instid0(VALU_DEP_1)
	v_or3_b32 v13, v0, v1, v8
.LBB25_472:                             ;   in Loop: Header=BB25_17 Depth=1
	s_or_b32 exec_lo, exec_lo, s21
.LBB25_473:                             ;   in Loop: Header=BB25_17 Depth=1
	s_delay_alu instid0(SALU_CYCLE_1) | instskip(NEXT) | instid1(SALU_CYCLE_1)
	s_or_b32 exec_lo, exec_lo, s19
	s_and_not1_b32 s18, s18, exec_lo
	s_and_not1_b32 s17, s17, exec_lo
	s_or_b32 s16, s16, exec_lo
.LBB25_474:                             ;   in Loop: Header=BB25_17 Depth=1
	s_or_b32 exec_lo, exec_lo, s12
	s_delay_alu instid0(SALU_CYCLE_1)
	s_and_b32 s12, s18, exec_lo
	s_and_b32 s17, s17, exec_lo
	;; [unrolled: 1-line block ×3, first 2 shown]
                                        ; implicit-def: $vgpr0_vgpr1
.LBB25_475:                             ;   in Loop: Header=BB25_17 Depth=1
	s_and_not1_saveexec_b32 s11, s11
	s_cbranch_execz .LBB25_501
; %bb.476:                              ;   in Loop: Header=BB25_17 Depth=1
	s_mov_b32 s19, s16
	s_mov_b32 s18, exec_lo
                                        ; implicit-def: $vgpr13
	v_cmpx_lt_i16_e32 22, v2
	s_xor_b32 s18, exec_lo, s18
	s_cbranch_execz .LBB25_490
; %bb.477:                              ;   in Loop: Header=BB25_17 Depth=1
	s_mov_b32 s19, exec_lo
                                        ; implicit-def: $vgpr13
	v_cmpx_lt_i16_e32 23, v2
	s_xor_b32 s19, exec_lo, s19
	s_cbranch_execz .LBB25_487
; %bb.478:                              ;   in Loop: Header=BB25_17 Depth=1
	;; [unrolled: 6-line block ×3, first 2 shown]
	flat_load_u8 v0, v[0:1]
	s_mov_b32 s21, 0
	s_mov_b32 s23, exec_lo
                                        ; implicit-def: $sgpr22
	s_waitcnt vmcnt(0) lgkmcnt(0)
	v_cmpx_lt_i16_e32 0x7f, v0
	s_xor_b32 s23, exec_lo, s23
	s_cbranch_execnz .LBB25_1434
; %bb.480:                              ;   in Loop: Header=BB25_17 Depth=1
	s_or_saveexec_b32 s23, s23
	v_mov_b32_e32 v13, s22
	s_xor_b32 exec_lo, exec_lo, s23
	s_cbranch_execnz .LBB25_1437
.LBB25_481:                             ;   in Loop: Header=BB25_17 Depth=1
	s_or_b32 exec_lo, exec_lo, s23
	s_and_saveexec_b32 s22, s21
	s_cbranch_execz .LBB25_483
.LBB25_482:                             ;   in Loop: Header=BB25_17 Depth=1
	v_and_b32_e32 v1, 0xffff, v0
	v_lshlrev_b32_e32 v0, 24, v0
	s_delay_alu instid0(VALU_DEP_2) | instskip(NEXT) | instid1(VALU_DEP_2)
	v_and_b32_e32 v8, 3, v1
	v_and_b32_e32 v0, 0x80000000, v0
	s_delay_alu instid0(VALU_DEP_2) | instskip(NEXT) | instid1(VALU_DEP_1)
	v_clz_i32_u32_e32 v13, v8
	v_min_u32_e32 v13, 32, v13
	s_delay_alu instid0(VALU_DEP_1) | instskip(SKIP_1) | instid1(VALU_DEP_2)
	v_subrev_nc_u32_e32 v14, 29, v13
	v_sub_nc_u32_e32 v13, 30, v13
	v_lshlrev_b32_e32 v14, v14, v1
	v_bfe_u32 v1, v1, 2, 5
	s_delay_alu instid0(VALU_DEP_2) | instskip(NEXT) | instid1(VALU_DEP_2)
	v_and_b32_e32 v14, 3, v14
	v_cmp_eq_u32_e64 s0, 0, v1
	s_delay_alu instid0(VALU_DEP_1) | instskip(NEXT) | instid1(VALU_DEP_3)
	v_cndmask_b32_e64 v1, v1, v13, s0
	v_cndmask_b32_e64 v8, v8, v14, s0
	s_delay_alu instid0(VALU_DEP_2) | instskip(NEXT) | instid1(VALU_DEP_2)
	v_lshl_add_u32 v1, v1, 23, 0x37800000
	v_lshlrev_b32_e32 v8, 21, v8
	s_delay_alu instid0(VALU_DEP_1)
	v_or3_b32 v13, v0, v1, v8
.LBB25_483:                             ;   in Loop: Header=BB25_17 Depth=1
	s_or_b32 exec_lo, exec_lo, s22
                                        ; implicit-def: $vgpr0_vgpr1
.LBB25_484:                             ;   in Loop: Header=BB25_17 Depth=1
	s_and_not1_saveexec_b32 s20, s20
	s_cbranch_execz .LBB25_486
; %bb.485:                              ;   in Loop: Header=BB25_17 Depth=1
	flat_load_u8 v0, v[0:1]
	s_waitcnt vmcnt(0) lgkmcnt(0)
	v_lshlrev_b32_e32 v0, 24, v0
	s_delay_alu instid0(VALU_DEP_1) | instskip(NEXT) | instid1(VALU_DEP_1)
	v_and_b32_e32 v1, 0x7f000000, v0
	v_clz_i32_u32_e32 v8, v1
	v_add_nc_u32_e32 v14, 0x1000000, v1
	v_cmp_ne_u32_e64 s0, 0, v1
	s_delay_alu instid0(VALU_DEP_3) | instskip(NEXT) | instid1(VALU_DEP_1)
	v_min_u32_e32 v8, 32, v8
	v_sub_nc_u32_e64 v8, v8, 4 clamp
	s_delay_alu instid0(VALU_DEP_1) | instskip(SKIP_1) | instid1(VALU_DEP_2)
	v_lshlrev_b32_e32 v13, v8, v1
	v_lshlrev_b32_e32 v8, 23, v8
	v_lshrrev_b32_e32 v13, 4, v13
	s_delay_alu instid0(VALU_DEP_1) | instskip(SKIP_1) | instid1(VALU_DEP_2)
	v_sub_nc_u32_e32 v8, v13, v8
	v_ashrrev_i32_e32 v13, 8, v14
	v_add_nc_u32_e32 v8, 0x3c000000, v8
	s_delay_alu instid0(VALU_DEP_1) | instskip(NEXT) | instid1(VALU_DEP_1)
	v_and_or_b32 v8, 0x7f800000, v13, v8
	v_cndmask_b32_e64 v1, 0, v8, s0
	s_delay_alu instid0(VALU_DEP_1)
	v_and_or_b32 v13, 0x80000000, v0, v1
.LBB25_486:                             ;   in Loop: Header=BB25_17 Depth=1
	s_or_b32 exec_lo, exec_lo, s20
                                        ; implicit-def: $vgpr0_vgpr1
.LBB25_487:                             ;   in Loop: Header=BB25_17 Depth=1
	s_and_not1_saveexec_b32 s19, s19
	s_cbranch_execz .LBB25_489
; %bb.488:                              ;   in Loop: Header=BB25_17 Depth=1
	flat_load_u8 v0, v[0:1]
	s_waitcnt vmcnt(0) lgkmcnt(0)
	v_lshlrev_b32_e32 v1, 25, v0
	v_lshlrev_b16 v0, 8, v0
	s_delay_alu instid0(VALU_DEP_2) | instskip(NEXT) | instid1(VALU_DEP_2)
	v_lshrrev_b32_e32 v8, 4, v1
	v_and_or_b32 v13, 0x7f00, v0, 0.5
	v_cmp_gt_u32_e64 s0, 0x8000000, v1
	v_bfe_i32 v0, v0, 0, 16
	s_delay_alu instid0(VALU_DEP_4) | instskip(NEXT) | instid1(VALU_DEP_1)
	v_or_b32_e32 v8, 0x70000000, v8
	v_dual_add_f32 v13, -0.5, v13 :: v_dual_mul_f32 v8, 0x7800000, v8
	s_delay_alu instid0(VALU_DEP_1) | instskip(NEXT) | instid1(VALU_DEP_1)
	v_cndmask_b32_e64 v1, v8, v13, s0
	v_and_or_b32 v13, 0x80000000, v0, v1
.LBB25_489:                             ;   in Loop: Header=BB25_17 Depth=1
	s_or_b32 exec_lo, exec_lo, s19
	s_delay_alu instid0(SALU_CYCLE_1)
	s_or_b32 s19, s16, exec_lo
                                        ; implicit-def: $vgpr0_vgpr1
.LBB25_490:                             ;   in Loop: Header=BB25_17 Depth=1
	s_or_saveexec_b32 s18, s18
                                        ; implicit-def: $sgpr20
                                        ; implicit-def: $sgpr0
	s_delay_alu instid0(SALU_CYCLE_1)
	s_xor_b32 exec_lo, exec_lo, s18
	s_cbranch_execz .LBB25_500
; %bb.491:                              ;   in Loop: Header=BB25_17 Depth=1
	s_mov_b32 s21, s19
	s_mov_b32 s23, exec_lo
                                        ; implicit-def: $sgpr22
                                        ; implicit-def: $sgpr20
                                        ; implicit-def: $vgpr13
	v_cmpx_lt_i16_e32 14, v2
	s_xor_b32 s23, exec_lo, s23
	s_cbranch_execz .LBB25_495
; %bb.492:                              ;   in Loop: Header=BB25_17 Depth=1
	s_mov_b32 s21, s19
	s_mov_b32 s20, exec_lo
                                        ; implicit-def: $vgpr13
	v_cmpx_eq_u16_e32 15, v2
	s_cbranch_execz .LBB25_494
; %bb.493:                              ;   in Loop: Header=BB25_17 Depth=1
	flat_load_u16 v0, v[0:1]
	s_or_b32 s21, s19, exec_lo
	s_waitcnt vmcnt(0) lgkmcnt(0)
	v_lshlrev_b32_e32 v13, 16, v0
.LBB25_494:                             ;   in Loop: Header=BB25_17 Depth=1
	s_or_b32 exec_lo, exec_lo, s20
	s_delay_alu instid0(SALU_CYCLE_1)
	s_and_not1_b32 s0, s19, exec_lo
	s_and_b32 s21, s21, exec_lo
	s_mov_b32 s20, -1
	s_mov_b32 s22, 0
	s_or_b32 s21, s0, s21
                                        ; implicit-def: $vgpr0_vgpr1
.LBB25_495:                             ;   in Loop: Header=BB25_17 Depth=1
	s_and_not1_saveexec_b32 s23, s23
	s_cbranch_execz .LBB25_499
; %bb.496:                              ;   in Loop: Header=BB25_17 Depth=1
	s_mov_b32 s24, s21
	s_mov_b32 s25, exec_lo
                                        ; implicit-def: $vgpr13
	v_cmpx_eq_u16_e32 11, v2
	s_cbranch_execz .LBB25_498
; %bb.497:                              ;   in Loop: Header=BB25_17 Depth=1
	flat_load_u8 v0, v[0:1]
	s_or_b32 s24, s21, exec_lo
	s_waitcnt vmcnt(0) lgkmcnt(0)
	v_cmp_ne_u16_e64 s0, 0, v0
	s_delay_alu instid0(VALU_DEP_1)
	v_cndmask_b32_e64 v13, 0, 1.0, s0
.LBB25_498:                             ;   in Loop: Header=BB25_17 Depth=1
	s_or_b32 exec_lo, exec_lo, s25
	s_delay_alu instid0(SALU_CYCLE_1)
	s_and_not1_b32 s0, s21, exec_lo
	s_and_b32 s21, s24, exec_lo
	s_and_not1_b32 s22, s22, exec_lo
	s_or_b32 s20, s20, exec_lo
	s_or_b32 s21, s0, s21
.LBB25_499:                             ;   in Loop: Header=BB25_17 Depth=1
	s_or_b32 exec_lo, exec_lo, s23
	s_delay_alu instid0(SALU_CYCLE_1)
	s_and_not1_b32 s19, s19, exec_lo
	s_and_b32 s21, s21, exec_lo
	s_and_b32 s0, s22, exec_lo
	;; [unrolled: 1-line block ×3, first 2 shown]
	s_or_b32 s19, s19, s21
.LBB25_500:                             ;   in Loop: Header=BB25_17 Depth=1
	s_or_b32 exec_lo, exec_lo, s18
	s_delay_alu instid0(SALU_CYCLE_1)
	s_and_not1_b32 s12, s12, exec_lo
	s_and_b32 s0, s0, exec_lo
	s_and_not1_b32 s16, s16, exec_lo
	s_or_b32 s12, s12, s0
	s_and_not1_b32 s0, s17, exec_lo
	s_and_b32 s17, s20, exec_lo
	s_and_b32 s18, s19, exec_lo
	s_or_b32 s17, s0, s17
	s_or_b32 s16, s16, s18
.LBB25_501:                             ;   in Loop: Header=BB25_17 Depth=1
	s_or_b32 exec_lo, exec_lo, s11
	s_delay_alu instid0(SALU_CYCLE_1)
	s_and_b32 s12, s12, exec_lo
	s_and_b32 s11, s17, exec_lo
	;; [unrolled: 1-line block ×3, first 2 shown]
                                        ; implicit-def: $vgpr0_vgpr1
	s_and_not1_saveexec_b32 s15, s15
	s_cbranch_execz .LBB25_342
.LBB25_502:                             ;   in Loop: Header=BB25_17 Depth=1
	s_mov_b32 s17, exec_lo
                                        ; implicit-def: $vgpr13
	v_cmpx_lt_i16_e32 4, v2
	s_xor_b32 s17, exec_lo, s17
	s_cbranch_execz .LBB25_524
; %bb.503:                              ;   in Loop: Header=BB25_17 Depth=1
	s_mov_b32 s18, exec_lo
                                        ; implicit-def: $vgpr13
	v_cmpx_lt_i16_e32 7, v2
	s_xor_b32 s18, exec_lo, s18
	s_cbranch_execz .LBB25_513
; %bb.504:                              ;   in Loop: Header=BB25_17 Depth=1
	;; [unrolled: 6-line block ×3, first 2 shown]
	v_cmp_lt_i16_e64 s0, 9, v2
                                        ; implicit-def: $vgpr13
	s_delay_alu instid0(VALU_DEP_1) | instskip(NEXT) | instid1(SALU_CYCLE_1)
	s_and_saveexec_b32 s20, s0
	s_xor_b32 s0, exec_lo, s20
	s_cbranch_execz .LBB25_507
; %bb.506:                              ;   in Loop: Header=BB25_17 Depth=1
	flat_load_b64 v[0:1], v[0:1]
	s_waitcnt vmcnt(0) lgkmcnt(0)
	v_cvt_f32_f64_e32 v13, v[0:1]
                                        ; implicit-def: $vgpr0_vgpr1
.LBB25_507:                             ;   in Loop: Header=BB25_17 Depth=1
	s_and_not1_saveexec_b32 s0, s0
	s_cbranch_execz .LBB25_509
; %bb.508:                              ;   in Loop: Header=BB25_17 Depth=1
	flat_load_b32 v13, v[0:1]
.LBB25_509:                             ;   in Loop: Header=BB25_17 Depth=1
	s_or_b32 exec_lo, exec_lo, s0
                                        ; implicit-def: $vgpr0_vgpr1
.LBB25_510:                             ;   in Loop: Header=BB25_17 Depth=1
	s_and_not1_saveexec_b32 s0, s19
	s_cbranch_execz .LBB25_512
; %bb.511:                              ;   in Loop: Header=BB25_17 Depth=1
	flat_load_b32 v0, v[0:1]
	s_waitcnt vmcnt(0) lgkmcnt(0)
	v_cvt_f32_f16_e32 v13, v0
.LBB25_512:                             ;   in Loop: Header=BB25_17 Depth=1
	s_or_b32 exec_lo, exec_lo, s0
                                        ; implicit-def: $vgpr0_vgpr1
.LBB25_513:                             ;   in Loop: Header=BB25_17 Depth=1
	s_and_not1_saveexec_b32 s18, s18
	s_cbranch_execz .LBB25_523
; %bb.514:                              ;   in Loop: Header=BB25_17 Depth=1
	s_mov_b32 s19, exec_lo
                                        ; implicit-def: $vgpr13
	v_cmpx_lt_i16_e32 5, v2
	s_xor_b32 s19, exec_lo, s19
	s_cbranch_execz .LBB25_520
; %bb.515:                              ;   in Loop: Header=BB25_17 Depth=1
	v_cmp_lt_i16_e64 s0, 6, v2
                                        ; implicit-def: $vgpr13
	s_delay_alu instid0(VALU_DEP_1) | instskip(NEXT) | instid1(SALU_CYCLE_1)
	s_and_saveexec_b32 s20, s0
	s_xor_b32 s0, exec_lo, s20
	s_cbranch_execz .LBB25_517
; %bb.516:                              ;   in Loop: Header=BB25_17 Depth=1
	flat_load_b64 v[0:1], v[0:1]
	s_waitcnt vmcnt(0) lgkmcnt(0)
	v_cvt_f32_f64_e32 v13, v[0:1]
                                        ; implicit-def: $vgpr0_vgpr1
.LBB25_517:                             ;   in Loop: Header=BB25_17 Depth=1
	s_and_not1_saveexec_b32 s0, s0
	s_cbranch_execz .LBB25_519
; %bb.518:                              ;   in Loop: Header=BB25_17 Depth=1
	s_waitcnt vmcnt(0) lgkmcnt(0)
	flat_load_b32 v13, v[0:1]
.LBB25_519:                             ;   in Loop: Header=BB25_17 Depth=1
	s_or_b32 exec_lo, exec_lo, s0
                                        ; implicit-def: $vgpr0_vgpr1
.LBB25_520:                             ;   in Loop: Header=BB25_17 Depth=1
	s_and_not1_saveexec_b32 s0, s19
	s_cbranch_execz .LBB25_522
; %bb.521:                              ;   in Loop: Header=BB25_17 Depth=1
	flat_load_u16 v0, v[0:1]
	s_waitcnt vmcnt(0) lgkmcnt(0)
	v_cvt_f32_f16_e32 v13, v0
.LBB25_522:                             ;   in Loop: Header=BB25_17 Depth=1
	s_or_b32 exec_lo, exec_lo, s0
.LBB25_523:                             ;   in Loop: Header=BB25_17 Depth=1
	s_delay_alu instid0(SALU_CYCLE_1)
	s_or_b32 exec_lo, exec_lo, s18
                                        ; implicit-def: $vgpr0_vgpr1
.LBB25_524:                             ;   in Loop: Header=BB25_17 Depth=1
	s_and_not1_saveexec_b32 s17, s17
	s_cbranch_execz .LBB25_542
; %bb.525:                              ;   in Loop: Header=BB25_17 Depth=1
	s_mov_b32 s18, exec_lo
                                        ; implicit-def: $vgpr13
	v_cmpx_lt_i16_e32 1, v2
	s_xor_b32 s18, exec_lo, s18
	s_cbranch_execz .LBB25_535
; %bb.526:                              ;   in Loop: Header=BB25_17 Depth=1
	s_mov_b32 s19, exec_lo
                                        ; implicit-def: $vgpr13
	v_cmpx_lt_i16_e32 2, v2
	s_xor_b32 s19, exec_lo, s19
	s_cbranch_execz .LBB25_532
; %bb.527:                              ;   in Loop: Header=BB25_17 Depth=1
	v_cmp_lt_i16_e64 s0, 3, v2
                                        ; implicit-def: $vgpr13
	s_delay_alu instid0(VALU_DEP_1) | instskip(NEXT) | instid1(SALU_CYCLE_1)
	s_and_saveexec_b32 s20, s0
	s_xor_b32 s0, exec_lo, s20
	s_cbranch_execz .LBB25_529
; %bb.528:                              ;   in Loop: Header=BB25_17 Depth=1
	flat_load_b64 v[0:1], v[0:1]
	s_waitcnt vmcnt(0) lgkmcnt(0)
	v_xor_b32_e32 v8, v0, v1
	v_cls_i32_e32 v13, v1
	s_delay_alu instid0(VALU_DEP_2) | instskip(NEXT) | instid1(VALU_DEP_2)
	v_ashrrev_i32_e32 v8, 31, v8
	v_add_nc_u32_e32 v13, -1, v13
	s_delay_alu instid0(VALU_DEP_2) | instskip(NEXT) | instid1(VALU_DEP_1)
	v_add_nc_u32_e32 v8, 32, v8
	v_min_u32_e32 v8, v13, v8
	s_delay_alu instid0(VALU_DEP_1) | instskip(NEXT) | instid1(VALU_DEP_1)
	v_lshlrev_b64 v[0:1], v8, v[0:1]
	v_min_u32_e32 v0, 1, v0
	s_delay_alu instid0(VALU_DEP_1) | instskip(SKIP_1) | instid1(VALU_DEP_2)
	v_or_b32_e32 v0, v1, v0
	v_sub_nc_u32_e32 v1, 32, v8
	v_cvt_f32_i32_e32 v0, v0
	s_delay_alu instid0(VALU_DEP_1)
	v_ldexp_f32 v13, v0, v1
                                        ; implicit-def: $vgpr0_vgpr1
.LBB25_529:                             ;   in Loop: Header=BB25_17 Depth=1
	s_and_not1_saveexec_b32 s0, s0
	s_cbranch_execz .LBB25_531
; %bb.530:                              ;   in Loop: Header=BB25_17 Depth=1
	flat_load_b32 v0, v[0:1]
	s_waitcnt vmcnt(0) lgkmcnt(0)
	v_cvt_f32_i32_e32 v13, v0
.LBB25_531:                             ;   in Loop: Header=BB25_17 Depth=1
	s_or_b32 exec_lo, exec_lo, s0
                                        ; implicit-def: $vgpr0_vgpr1
.LBB25_532:                             ;   in Loop: Header=BB25_17 Depth=1
	s_and_not1_saveexec_b32 s0, s19
	s_cbranch_execz .LBB25_534
; %bb.533:                              ;   in Loop: Header=BB25_17 Depth=1
	flat_load_i16 v0, v[0:1]
	s_waitcnt vmcnt(0) lgkmcnt(0)
	v_cvt_f32_i32_e32 v13, v0
.LBB25_534:                             ;   in Loop: Header=BB25_17 Depth=1
	s_or_b32 exec_lo, exec_lo, s0
                                        ; implicit-def: $vgpr0_vgpr1
.LBB25_535:                             ;   in Loop: Header=BB25_17 Depth=1
	s_and_not1_saveexec_b32 s18, s18
	s_cbranch_execz .LBB25_541
; %bb.536:                              ;   in Loop: Header=BB25_17 Depth=1
	v_cmp_lt_i16_e64 s0, 0, v2
                                        ; implicit-def: $vgpr13
	s_delay_alu instid0(VALU_DEP_1) | instskip(NEXT) | instid1(SALU_CYCLE_1)
	s_and_saveexec_b32 s19, s0
	s_xor_b32 s0, exec_lo, s19
	s_cbranch_execz .LBB25_538
; %bb.537:                              ;   in Loop: Header=BB25_17 Depth=1
	flat_load_i8 v0, v[0:1]
	s_waitcnt vmcnt(0) lgkmcnt(0)
	v_cvt_f32_i32_e32 v13, v0
                                        ; implicit-def: $vgpr0_vgpr1
.LBB25_538:                             ;   in Loop: Header=BB25_17 Depth=1
	s_and_not1_saveexec_b32 s0, s0
	s_cbranch_execz .LBB25_540
; %bb.539:                              ;   in Loop: Header=BB25_17 Depth=1
	flat_load_u8 v0, v[0:1]
	s_waitcnt vmcnt(0) lgkmcnt(0)
	v_cvt_f32_ubyte0_e32 v13, v0
.LBB25_540:                             ;   in Loop: Header=BB25_17 Depth=1
	s_or_b32 exec_lo, exec_lo, s0
.LBB25_541:                             ;   in Loop: Header=BB25_17 Depth=1
	s_delay_alu instid0(SALU_CYCLE_1)
	s_or_b32 exec_lo, exec_lo, s18
.LBB25_542:                             ;   in Loop: Header=BB25_17 Depth=1
	s_delay_alu instid0(SALU_CYCLE_1) | instskip(NEXT) | instid1(SALU_CYCLE_1)
	s_or_b32 exec_lo, exec_lo, s17
	s_and_not1_b32 s12, s12, exec_lo
	s_and_not1_b32 s11, s11, exec_lo
	s_or_b32 s16, s16, exec_lo
	s_or_b32 exec_lo, exec_lo, s15
	s_mov_b32 s0, 0
	s_and_saveexec_b32 s15, s16
	s_cbranch_execz .LBB25_548
.LBB25_543:                             ;   in Loop: Header=BB25_17 Depth=1
	s_add_i32 s0, s33, 16
	s_mov_b32 s19, 0
	v_add_nc_u32_e64 v8, s1, s0
	s_mov_b32 s16, exec_lo
                                        ; implicit-def: $sgpr17
                                        ; implicit-def: $sgpr18
	s_delay_alu instid0(VALU_DEP_1) | instskip(SKIP_4) | instid1(VALU_DEP_2)
	v_add_nc_u32_e32 v0, 20, v8
	s_waitcnt vmcnt(0) lgkmcnt(0)
	scratch_store_b32 v0, v13, off
	v_mul_lo_u32 v0, v12, v11
	v_and_b32_e32 v13, 0xff, v9
                                        ; implicit-def: $vgpr12
	v_add_co_u32 v0, s0, v5, v0
	s_delay_alu instid0(VALU_DEP_1) | instskip(NEXT) | instid1(VALU_DEP_3)
	v_add_co_ci_u32_e64 v1, s0, 0, v6, s0
	v_cmpx_lt_i16_e32 10, v13
	s_xor_b32 s16, exec_lo, s16
	s_cbranch_execnz .LBB25_554
; %bb.544:                              ;   in Loop: Header=BB25_17 Depth=1
	s_and_not1_saveexec_b32 s16, s16
	s_cbranch_execnz .LBB25_613
.LBB25_545:                             ;   in Loop: Header=BB25_17 Depth=1
	s_or_b32 exec_lo, exec_lo, s16
	s_mov_b32 s0, 0
	s_and_saveexec_b32 s16, s19
	s_cbranch_execz .LBB25_547
.LBB25_546:                             ;   in Loop: Header=BB25_17 Depth=1
	v_add_nc_u32_e32 v0, 16, v8
	v_add_nc_u32_e32 v7, 0x200, v7
	s_mov_b32 s0, exec_lo
	s_and_not1_b32 s18, s18, exec_lo
	s_and_not1_b32 s17, s17, exec_lo
	s_waitcnt vmcnt(0) lgkmcnt(0)
	scratch_store_b32 v0, v12, off
.LBB25_547:                             ;   in Loop: Header=BB25_17 Depth=1
	s_or_b32 exec_lo, exec_lo, s16
	s_delay_alu instid0(SALU_CYCLE_1)
	s_and_not1_b32 s12, s12, exec_lo
	s_and_b32 s16, s18, exec_lo
	s_and_not1_b32 s11, s11, exec_lo
	s_and_b32 s17, s17, exec_lo
	s_or_b32 s12, s12, s16
	s_or_b32 s11, s11, s17
	s_and_b32 s0, s0, exec_lo
.LBB25_548:                             ;   in Loop: Header=BB25_17 Depth=1
	s_or_b32 exec_lo, exec_lo, s15
	s_delay_alu instid0(SALU_CYCLE_1)
	s_and_b32 s12, s12, exec_lo
	s_and_b32 s11, s11, exec_lo
	s_or_not1_b32 s15, s0, exec_lo
.LBB25_549:                             ;   in Loop: Header=BB25_17 Depth=1
	s_or_b32 exec_lo, exec_lo, s13
	s_and_saveexec_b32 s13, s15
	s_cbranch_execz .LBB25_14
; %bb.550:                              ;   in Loop: Header=BB25_17 Depth=1
	s_mov_b32 s17, -1
	s_mov_b32 s18, -1
	s_mov_b32 s16, exec_lo
                                        ; implicit-def: $sgpr14
                                        ; implicit-def: $sgpr15
	v_cmpx_lt_i32_e64 v7, v146
	s_cbranch_execz .LBB25_760
; %bb.551:                              ;   in Loop: Header=BB25_17 Depth=1
	s_waitcnt vmcnt(0) lgkmcnt(0)
	v_add_nc_u32_e32 v12, s38, v7
	s_mov_b32 s19, 0
	s_mov_b32 s18, exec_lo
                                        ; implicit-def: $sgpr14
                                        ; implicit-def: $sgpr15
                                        ; implicit-def: $vgpr13
	s_delay_alu instid0(VALU_DEP_1) | instskip(NEXT) | instid1(VALU_DEP_1)
	v_mul_lo_u32 v0, v12, v10
	v_add_co_u32 v0, s0, v3, v0
	s_delay_alu instid0(VALU_DEP_1)
	v_add_co_ci_u32_e64 v1, s0, 0, v4, s0
	v_cmpx_lt_i16_e32 10, v2
	s_xor_b32 s18, exec_lo, s18
	s_cbranch_execnz .LBB25_654
; %bb.552:                              ;   in Loop: Header=BB25_17 Depth=1
	s_and_not1_saveexec_b32 s18, s18
	s_cbranch_execnz .LBB25_713
.LBB25_553:                             ;   in Loop: Header=BB25_17 Depth=1
	s_or_b32 exec_lo, exec_lo, s18
	s_mov_b32 s0, 0
	s_and_saveexec_b32 s18, s19
	s_cbranch_execnz .LBB25_754
	s_branch .LBB25_759
.LBB25_554:                             ;   in Loop: Header=BB25_17 Depth=1
	s_mov_b32 s17, exec_lo
                                        ; implicit-def: $sgpr20
                                        ; implicit-def: $sgpr18
                                        ; implicit-def: $vgpr12
	v_cmpx_lt_i16_e32 25, v13
	s_xor_b32 s17, exec_lo, s17
	s_cbranch_execz .LBB25_586
; %bb.555:                              ;   in Loop: Header=BB25_17 Depth=1
	s_mov_b32 s18, exec_lo
                                        ; implicit-def: $sgpr20
                                        ; implicit-def: $sgpr21
                                        ; implicit-def: $vgpr12
	v_cmpx_lt_i16_e32 28, v13
	s_xor_b32 s18, exec_lo, s18
	s_cbranch_execz .LBB25_571
; %bb.556:                              ;   in Loop: Header=BB25_17 Depth=1
	s_mov_b32 s22, 0
	s_mov_b32 s19, exec_lo
                                        ; implicit-def: $sgpr20
                                        ; implicit-def: $sgpr21
                                        ; implicit-def: $vgpr12
	v_cmpx_lt_i16_e32 43, v13
	s_xor_b32 s19, exec_lo, s19
	s_cbranch_execz .LBB25_566
; %bb.557:                              ;   in Loop: Header=BB25_17 Depth=1
	s_mov_b32 s23, exec_lo
                                        ; implicit-def: $sgpr21
                                        ; implicit-def: $sgpr20
                                        ; implicit-def: $vgpr12
	v_cmpx_lt_i16_e32 45, v13
	s_xor_b32 s23, exec_lo, s23
	s_cbranch_execz .LBB25_561
; %bb.558:                              ;   in Loop: Header=BB25_17 Depth=1
	s_mov_b32 s20, 0
	s_mov_b32 s21, exec_lo
                                        ; implicit-def: $vgpr12
	v_cmpx_eq_u16_e32 46, v13
	s_cbranch_execz .LBB25_560
; %bb.559:                              ;   in Loop: Header=BB25_17 Depth=1
	flat_load_b32 v0, v[0:1]
	s_mov_b32 s22, exec_lo
	s_waitcnt vmcnt(0) lgkmcnt(0)
	v_lshlrev_b32_e32 v12, 16, v0
.LBB25_560:                             ;   in Loop: Header=BB25_17 Depth=1
	s_or_b32 exec_lo, exec_lo, s21
	s_mov_b32 s21, -1
	s_and_b32 s22, s22, exec_lo
                                        ; implicit-def: $vgpr13
                                        ; implicit-def: $vgpr0_vgpr1
.LBB25_561:                             ;   in Loop: Header=BB25_17 Depth=1
	s_and_not1_saveexec_b32 s23, s23
	s_cbranch_execz .LBB25_565
; %bb.562:                              ;   in Loop: Header=BB25_17 Depth=1
	s_mov_b32 s25, s22
	s_mov_b32 s24, exec_lo
                                        ; implicit-def: $vgpr12
	v_cmpx_eq_u16_e32 44, v13
	s_cbranch_execz .LBB25_564
; %bb.563:                              ;   in Loop: Header=BB25_17 Depth=1
	flat_load_u8 v0, v[0:1]
	s_or_b32 s25, s22, exec_lo
	s_waitcnt vmcnt(0) lgkmcnt(0)
	v_lshlrev_b32_e32 v1, 23, v0
	v_cmp_ne_u32_e64 s0, 0xff, v0
	s_delay_alu instid0(VALU_DEP_1) | instskip(SKIP_1) | instid1(VALU_DEP_1)
	v_cndmask_b32_e64 v1, 0x7f800001, v1, s0
	v_cmp_ne_u32_e64 s0, 0, v0
	v_cndmask_b32_e64 v12, 0x400000, v1, s0
.LBB25_564:                             ;   in Loop: Header=BB25_17 Depth=1
	s_or_b32 exec_lo, exec_lo, s24
	s_delay_alu instid0(SALU_CYCLE_1)
	s_and_not1_b32 s0, s22, exec_lo
	s_and_b32 s22, s25, exec_lo
	s_or_b32 s21, s21, exec_lo
	s_and_not1_b32 s20, s20, exec_lo
	s_or_b32 s22, s0, s22
.LBB25_565:                             ;   in Loop: Header=BB25_17 Depth=1
	s_or_b32 exec_lo, exec_lo, s23
	s_delay_alu instid0(SALU_CYCLE_1)
	s_and_b32 s21, s21, exec_lo
	s_and_b32 s20, s20, exec_lo
	;; [unrolled: 1-line block ×3, first 2 shown]
                                        ; implicit-def: $vgpr13
                                        ; implicit-def: $vgpr0_vgpr1
.LBB25_566:                             ;   in Loop: Header=BB25_17 Depth=1
	s_and_not1_saveexec_b32 s19, s19
	s_cbranch_execz .LBB25_570
; %bb.567:                              ;   in Loop: Header=BB25_17 Depth=1
	s_mov_b32 s24, s22
	s_mov_b32 s23, exec_lo
                                        ; implicit-def: $vgpr12
	v_cmpx_eq_u16_e32 29, v13
	s_cbranch_execz .LBB25_569
; %bb.568:                              ;   in Loop: Header=BB25_17 Depth=1
	flat_load_b64 v[0:1], v[0:1]
	s_or_b32 s24, s22, exec_lo
	s_waitcnt vmcnt(0) lgkmcnt(0)
	v_clz_i32_u32_e32 v12, v1
	s_delay_alu instid0(VALU_DEP_1) | instskip(NEXT) | instid1(VALU_DEP_1)
	v_min_u32_e32 v12, 32, v12
	v_lshlrev_b64 v[0:1], v12, v[0:1]
	s_delay_alu instid0(VALU_DEP_1) | instskip(NEXT) | instid1(VALU_DEP_1)
	v_min_u32_e32 v0, 1, v0
	v_or_b32_e32 v0, v1, v0
	v_sub_nc_u32_e32 v1, 32, v12
	s_delay_alu instid0(VALU_DEP_2) | instskip(NEXT) | instid1(VALU_DEP_1)
	v_cvt_f32_u32_e32 v0, v0
	v_ldexp_f32 v12, v0, v1
.LBB25_569:                             ;   in Loop: Header=BB25_17 Depth=1
	s_or_b32 exec_lo, exec_lo, s23
	s_delay_alu instid0(SALU_CYCLE_1)
	s_and_not1_b32 s0, s22, exec_lo
	s_and_b32 s22, s24, exec_lo
	s_or_b32 s21, s21, exec_lo
	s_and_not1_b32 s20, s20, exec_lo
	s_or_b32 s22, s0, s22
.LBB25_570:                             ;   in Loop: Header=BB25_17 Depth=1
	s_or_b32 exec_lo, exec_lo, s19
	s_delay_alu instid0(SALU_CYCLE_1)
	s_and_b32 s21, s21, exec_lo
	s_and_b32 s20, s20, exec_lo
	;; [unrolled: 1-line block ×3, first 2 shown]
                                        ; implicit-def: $vgpr13
                                        ; implicit-def: $vgpr0_vgpr1
.LBB25_571:                             ;   in Loop: Header=BB25_17 Depth=1
	s_and_not1_saveexec_b32 s18, s18
	s_cbranch_execz .LBB25_585
; %bb.572:                              ;   in Loop: Header=BB25_17 Depth=1
	s_mov_b32 s22, exec_lo
                                        ; implicit-def: $vgpr12
	v_cmpx_lt_i16_e32 26, v13
	s_xor_b32 s22, exec_lo, s22
	s_cbranch_execz .LBB25_578
; %bb.573:                              ;   in Loop: Header=BB25_17 Depth=1
	v_cmp_lt_i16_e64 s0, 27, v13
                                        ; implicit-def: $vgpr12
	s_delay_alu instid0(VALU_DEP_1) | instskip(NEXT) | instid1(SALU_CYCLE_1)
	s_and_saveexec_b32 s23, s0
	s_xor_b32 s0, exec_lo, s23
	s_cbranch_execz .LBB25_575
; %bb.574:                              ;   in Loop: Header=BB25_17 Depth=1
	flat_load_b32 v0, v[0:1]
	s_waitcnt vmcnt(0) lgkmcnt(0)
	v_cvt_f32_u32_e32 v12, v0
                                        ; implicit-def: $vgpr0_vgpr1
.LBB25_575:                             ;   in Loop: Header=BB25_17 Depth=1
	s_and_not1_saveexec_b32 s0, s0
	s_cbranch_execz .LBB25_577
; %bb.576:                              ;   in Loop: Header=BB25_17 Depth=1
	flat_load_u16 v0, v[0:1]
	s_waitcnt vmcnt(0) lgkmcnt(0)
	v_cvt_f32_u32_e32 v12, v0
.LBB25_577:                             ;   in Loop: Header=BB25_17 Depth=1
	s_or_b32 exec_lo, exec_lo, s0
                                        ; implicit-def: $vgpr0_vgpr1
.LBB25_578:                             ;   in Loop: Header=BB25_17 Depth=1
	s_and_not1_saveexec_b32 s22, s22
	s_cbranch_execz .LBB25_584
; %bb.579:                              ;   in Loop: Header=BB25_17 Depth=1
	flat_load_u8 v0, v[0:1]
	s_mov_b32 s23, 0
	s_mov_b32 s25, exec_lo
                                        ; implicit-def: $sgpr24
	s_waitcnt vmcnt(0) lgkmcnt(0)
	v_cmpx_lt_i16_e32 0x7f, v0
	s_xor_b32 s25, exec_lo, s25
	s_cbranch_execnz .LBB25_1438
; %bb.580:                              ;   in Loop: Header=BB25_17 Depth=1
	s_or_saveexec_b32 s25, s25
	v_mov_b32_e32 v12, s24
	s_xor_b32 exec_lo, exec_lo, s25
	s_cbranch_execnz .LBB25_1441
.LBB25_581:                             ;   in Loop: Header=BB25_17 Depth=1
	s_or_b32 exec_lo, exec_lo, s25
	s_and_saveexec_b32 s24, s23
	s_cbranch_execz .LBB25_583
.LBB25_582:                             ;   in Loop: Header=BB25_17 Depth=1
	v_and_b32_e32 v1, 0xffff, v0
	v_lshlrev_b32_e32 v0, 24, v0
	s_delay_alu instid0(VALU_DEP_2) | instskip(NEXT) | instid1(VALU_DEP_2)
	v_and_b32_e32 v12, 7, v1
	v_and_b32_e32 v0, 0x80000000, v0
	s_delay_alu instid0(VALU_DEP_2) | instskip(NEXT) | instid1(VALU_DEP_1)
	v_clz_i32_u32_e32 v13, v12
	v_min_u32_e32 v13, 32, v13
	s_delay_alu instid0(VALU_DEP_1) | instskip(SKIP_1) | instid1(VALU_DEP_2)
	v_subrev_nc_u32_e32 v14, 28, v13
	v_sub_nc_u32_e32 v13, 29, v13
	v_lshlrev_b32_e32 v14, v14, v1
	v_bfe_u32 v1, v1, 3, 4
	s_delay_alu instid0(VALU_DEP_2) | instskip(NEXT) | instid1(VALU_DEP_2)
	v_and_b32_e32 v14, 7, v14
	v_cmp_eq_u32_e64 s0, 0, v1
	s_delay_alu instid0(VALU_DEP_1) | instskip(NEXT) | instid1(VALU_DEP_3)
	v_cndmask_b32_e64 v1, v1, v13, s0
	v_cndmask_b32_e64 v12, v12, v14, s0
	s_delay_alu instid0(VALU_DEP_2) | instskip(NEXT) | instid1(VALU_DEP_2)
	v_lshl_add_u32 v1, v1, 23, 0x3b800000
	v_lshlrev_b32_e32 v12, 20, v12
	s_delay_alu instid0(VALU_DEP_1)
	v_or3_b32 v12, v0, v1, v12
.LBB25_583:                             ;   in Loop: Header=BB25_17 Depth=1
	s_or_b32 exec_lo, exec_lo, s24
.LBB25_584:                             ;   in Loop: Header=BB25_17 Depth=1
	s_delay_alu instid0(SALU_CYCLE_1) | instskip(NEXT) | instid1(SALU_CYCLE_1)
	s_or_b32 exec_lo, exec_lo, s22
	s_and_not1_b32 s21, s21, exec_lo
	s_and_not1_b32 s20, s20, exec_lo
	s_or_b32 s19, s19, exec_lo
.LBB25_585:                             ;   in Loop: Header=BB25_17 Depth=1
	s_or_b32 exec_lo, exec_lo, s18
	s_delay_alu instid0(SALU_CYCLE_1)
	s_and_b32 s18, s21, exec_lo
	s_and_b32 s20, s20, exec_lo
	;; [unrolled: 1-line block ×3, first 2 shown]
                                        ; implicit-def: $vgpr13
                                        ; implicit-def: $vgpr0_vgpr1
.LBB25_586:                             ;   in Loop: Header=BB25_17 Depth=1
	s_and_not1_saveexec_b32 s17, s17
	s_cbranch_execz .LBB25_612
; %bb.587:                              ;   in Loop: Header=BB25_17 Depth=1
	s_mov_b32 s22, s19
	s_mov_b32 s21, exec_lo
                                        ; implicit-def: $vgpr12
	v_cmpx_lt_i16_e32 22, v13
	s_xor_b32 s21, exec_lo, s21
	s_cbranch_execz .LBB25_601
; %bb.588:                              ;   in Loop: Header=BB25_17 Depth=1
	s_mov_b32 s22, exec_lo
                                        ; implicit-def: $vgpr12
	v_cmpx_lt_i16_e32 23, v13
	s_xor_b32 s22, exec_lo, s22
	s_cbranch_execz .LBB25_598
; %bb.589:                              ;   in Loop: Header=BB25_17 Depth=1
	;; [unrolled: 6-line block ×3, first 2 shown]
	flat_load_u8 v0, v[0:1]
	s_mov_b32 s24, 0
	s_mov_b32 s26, exec_lo
                                        ; implicit-def: $sgpr25
	s_waitcnt vmcnt(0) lgkmcnt(0)
	v_cmpx_lt_i16_e32 0x7f, v0
	s_xor_b32 s26, exec_lo, s26
	s_cbranch_execnz .LBB25_1657
; %bb.591:                              ;   in Loop: Header=BB25_17 Depth=1
	s_or_saveexec_b32 s26, s26
	v_mov_b32_e32 v12, s25
	s_xor_b32 exec_lo, exec_lo, s26
	s_cbranch_execnz .LBB25_1660
.LBB25_592:                             ;   in Loop: Header=BB25_17 Depth=1
	s_or_b32 exec_lo, exec_lo, s26
	s_and_saveexec_b32 s25, s24
	s_cbranch_execz .LBB25_594
.LBB25_593:                             ;   in Loop: Header=BB25_17 Depth=1
	v_and_b32_e32 v1, 0xffff, v0
	v_lshlrev_b32_e32 v0, 24, v0
	s_delay_alu instid0(VALU_DEP_2) | instskip(NEXT) | instid1(VALU_DEP_2)
	v_and_b32_e32 v12, 3, v1
	v_and_b32_e32 v0, 0x80000000, v0
	s_delay_alu instid0(VALU_DEP_2) | instskip(NEXT) | instid1(VALU_DEP_1)
	v_clz_i32_u32_e32 v13, v12
	v_min_u32_e32 v13, 32, v13
	s_delay_alu instid0(VALU_DEP_1) | instskip(SKIP_1) | instid1(VALU_DEP_2)
	v_subrev_nc_u32_e32 v14, 29, v13
	v_sub_nc_u32_e32 v13, 30, v13
	v_lshlrev_b32_e32 v14, v14, v1
	v_bfe_u32 v1, v1, 2, 5
	s_delay_alu instid0(VALU_DEP_2) | instskip(NEXT) | instid1(VALU_DEP_2)
	v_and_b32_e32 v14, 3, v14
	v_cmp_eq_u32_e64 s0, 0, v1
	s_delay_alu instid0(VALU_DEP_1) | instskip(NEXT) | instid1(VALU_DEP_3)
	v_cndmask_b32_e64 v1, v1, v13, s0
	v_cndmask_b32_e64 v12, v12, v14, s0
	s_delay_alu instid0(VALU_DEP_2) | instskip(NEXT) | instid1(VALU_DEP_2)
	v_lshl_add_u32 v1, v1, 23, 0x37800000
	v_lshlrev_b32_e32 v12, 21, v12
	s_delay_alu instid0(VALU_DEP_1)
	v_or3_b32 v12, v0, v1, v12
.LBB25_594:                             ;   in Loop: Header=BB25_17 Depth=1
	s_or_b32 exec_lo, exec_lo, s25
                                        ; implicit-def: $vgpr0_vgpr1
.LBB25_595:                             ;   in Loop: Header=BB25_17 Depth=1
	s_and_not1_saveexec_b32 s23, s23
	s_cbranch_execz .LBB25_597
; %bb.596:                              ;   in Loop: Header=BB25_17 Depth=1
	flat_load_u8 v0, v[0:1]
	s_waitcnt vmcnt(0) lgkmcnt(0)
	v_lshlrev_b32_e32 v0, 24, v0
	s_delay_alu instid0(VALU_DEP_1) | instskip(NEXT) | instid1(VALU_DEP_1)
	v_and_b32_e32 v1, 0x7f000000, v0
	v_clz_i32_u32_e32 v12, v1
	v_add_nc_u32_e32 v14, 0x1000000, v1
	v_cmp_ne_u32_e64 s0, 0, v1
	s_delay_alu instid0(VALU_DEP_3) | instskip(NEXT) | instid1(VALU_DEP_1)
	v_min_u32_e32 v12, 32, v12
	v_sub_nc_u32_e64 v12, v12, 4 clamp
	s_delay_alu instid0(VALU_DEP_1) | instskip(SKIP_1) | instid1(VALU_DEP_2)
	v_lshlrev_b32_e32 v13, v12, v1
	v_lshlrev_b32_e32 v12, 23, v12
	v_lshrrev_b32_e32 v13, 4, v13
	s_delay_alu instid0(VALU_DEP_1) | instskip(SKIP_1) | instid1(VALU_DEP_2)
	v_sub_nc_u32_e32 v12, v13, v12
	v_ashrrev_i32_e32 v13, 8, v14
	v_add_nc_u32_e32 v12, 0x3c000000, v12
	s_delay_alu instid0(VALU_DEP_1) | instskip(NEXT) | instid1(VALU_DEP_1)
	v_and_or_b32 v12, 0x7f800000, v13, v12
	v_cndmask_b32_e64 v1, 0, v12, s0
	s_delay_alu instid0(VALU_DEP_1)
	v_and_or_b32 v12, 0x80000000, v0, v1
.LBB25_597:                             ;   in Loop: Header=BB25_17 Depth=1
	s_or_b32 exec_lo, exec_lo, s23
                                        ; implicit-def: $vgpr0_vgpr1
.LBB25_598:                             ;   in Loop: Header=BB25_17 Depth=1
	s_and_not1_saveexec_b32 s22, s22
	s_cbranch_execz .LBB25_600
; %bb.599:                              ;   in Loop: Header=BB25_17 Depth=1
	flat_load_u8 v0, v[0:1]
	s_waitcnt vmcnt(0) lgkmcnt(0)
	v_lshlrev_b32_e32 v1, 25, v0
	v_lshlrev_b16 v0, 8, v0
	s_delay_alu instid0(VALU_DEP_2) | instskip(NEXT) | instid1(VALU_DEP_2)
	v_lshrrev_b32_e32 v12, 4, v1
	v_and_or_b32 v13, 0x7f00, v0, 0.5
	v_cmp_gt_u32_e64 s0, 0x8000000, v1
	v_bfe_i32 v0, v0, 0, 16
	s_delay_alu instid0(VALU_DEP_4) | instskip(NEXT) | instid1(VALU_DEP_1)
	v_or_b32_e32 v12, 0x70000000, v12
	v_dual_add_f32 v13, -0.5, v13 :: v_dual_mul_f32 v12, 0x7800000, v12
	s_delay_alu instid0(VALU_DEP_1) | instskip(NEXT) | instid1(VALU_DEP_1)
	v_cndmask_b32_e64 v1, v12, v13, s0
	v_and_or_b32 v12, 0x80000000, v0, v1
.LBB25_600:                             ;   in Loop: Header=BB25_17 Depth=1
	s_or_b32 exec_lo, exec_lo, s22
	s_delay_alu instid0(SALU_CYCLE_1)
	s_or_b32 s22, s19, exec_lo
                                        ; implicit-def: $vgpr13
                                        ; implicit-def: $vgpr0_vgpr1
.LBB25_601:                             ;   in Loop: Header=BB25_17 Depth=1
	s_or_saveexec_b32 s21, s21
                                        ; implicit-def: $sgpr23
                                        ; implicit-def: $sgpr0
	s_delay_alu instid0(SALU_CYCLE_1)
	s_xor_b32 exec_lo, exec_lo, s21
	s_cbranch_execz .LBB25_611
; %bb.602:                              ;   in Loop: Header=BB25_17 Depth=1
	s_mov_b32 s24, s22
	s_mov_b32 s26, exec_lo
                                        ; implicit-def: $sgpr25
                                        ; implicit-def: $sgpr23
                                        ; implicit-def: $vgpr12
	v_cmpx_lt_i16_e32 14, v13
	s_xor_b32 s26, exec_lo, s26
	s_cbranch_execz .LBB25_606
; %bb.603:                              ;   in Loop: Header=BB25_17 Depth=1
	s_mov_b32 s24, s22
	s_mov_b32 s23, exec_lo
                                        ; implicit-def: $vgpr12
	v_cmpx_eq_u16_e32 15, v13
	s_cbranch_execz .LBB25_605
; %bb.604:                              ;   in Loop: Header=BB25_17 Depth=1
	flat_load_u16 v0, v[0:1]
	s_or_b32 s24, s22, exec_lo
	s_waitcnt vmcnt(0) lgkmcnt(0)
	v_lshlrev_b32_e32 v12, 16, v0
.LBB25_605:                             ;   in Loop: Header=BB25_17 Depth=1
	s_or_b32 exec_lo, exec_lo, s23
	s_delay_alu instid0(SALU_CYCLE_1)
	s_and_not1_b32 s0, s22, exec_lo
	s_and_b32 s24, s24, exec_lo
	s_mov_b32 s23, 0
	s_mov_b32 s25, -1
	s_or_b32 s24, s0, s24
                                        ; implicit-def: $vgpr13
                                        ; implicit-def: $vgpr0_vgpr1
.LBB25_606:                             ;   in Loop: Header=BB25_17 Depth=1
	s_and_not1_saveexec_b32 s26, s26
	s_cbranch_execz .LBB25_610
; %bb.607:                              ;   in Loop: Header=BB25_17 Depth=1
	s_mov_b32 s27, s24
	s_mov_b32 s28, exec_lo
                                        ; implicit-def: $vgpr12
	v_cmpx_eq_u16_e32 11, v13
	s_cbranch_execz .LBB25_609
; %bb.608:                              ;   in Loop: Header=BB25_17 Depth=1
	flat_load_u8 v0, v[0:1]
	s_or_b32 s27, s24, exec_lo
	s_waitcnt vmcnt(0) lgkmcnt(0)
	v_cmp_ne_u16_e64 s0, 0, v0
	s_delay_alu instid0(VALU_DEP_1)
	v_cndmask_b32_e64 v12, 0, 1.0, s0
.LBB25_609:                             ;   in Loop: Header=BB25_17 Depth=1
	s_or_b32 exec_lo, exec_lo, s28
	s_delay_alu instid0(SALU_CYCLE_1)
	s_and_not1_b32 s0, s24, exec_lo
	s_and_b32 s24, s27, exec_lo
	s_or_b32 s25, s25, exec_lo
	s_and_not1_b32 s23, s23, exec_lo
	s_or_b32 s24, s0, s24
.LBB25_610:                             ;   in Loop: Header=BB25_17 Depth=1
	s_or_b32 exec_lo, exec_lo, s26
	s_delay_alu instid0(SALU_CYCLE_1)
	s_and_not1_b32 s22, s22, exec_lo
	s_and_b32 s24, s24, exec_lo
	s_and_b32 s0, s25, exec_lo
	;; [unrolled: 1-line block ×3, first 2 shown]
	s_or_b32 s22, s22, s24
.LBB25_611:                             ;   in Loop: Header=BB25_17 Depth=1
	s_or_b32 exec_lo, exec_lo, s21
	s_delay_alu instid0(SALU_CYCLE_1)
	s_and_not1_b32 s18, s18, exec_lo
	s_and_b32 s0, s0, exec_lo
	s_and_not1_b32 s19, s19, exec_lo
	s_or_b32 s18, s18, s0
	s_and_not1_b32 s0, s20, exec_lo
	s_and_b32 s20, s23, exec_lo
	s_and_b32 s21, s22, exec_lo
	s_or_b32 s20, s0, s20
	s_or_b32 s19, s19, s21
.LBB25_612:                             ;   in Loop: Header=BB25_17 Depth=1
	s_or_b32 exec_lo, exec_lo, s17
	s_delay_alu instid0(SALU_CYCLE_1)
	s_and_b32 s18, s18, exec_lo
	s_and_b32 s17, s20, exec_lo
	;; [unrolled: 1-line block ×3, first 2 shown]
                                        ; implicit-def: $vgpr13
                                        ; implicit-def: $vgpr0_vgpr1
	s_and_not1_saveexec_b32 s16, s16
	s_cbranch_execz .LBB25_545
.LBB25_613:                             ;   in Loop: Header=BB25_17 Depth=1
	s_mov_b32 s20, exec_lo
                                        ; implicit-def: $vgpr12
	v_cmpx_lt_i16_e32 4, v13
	s_xor_b32 s20, exec_lo, s20
	s_cbranch_execz .LBB25_635
; %bb.614:                              ;   in Loop: Header=BB25_17 Depth=1
	s_mov_b32 s21, exec_lo
                                        ; implicit-def: $vgpr12
	v_cmpx_lt_i16_e32 7, v13
	s_xor_b32 s21, exec_lo, s21
	s_cbranch_execz .LBB25_624
; %bb.615:                              ;   in Loop: Header=BB25_17 Depth=1
	;; [unrolled: 6-line block ×3, first 2 shown]
	v_cmp_lt_i16_e64 s0, 9, v13
                                        ; implicit-def: $vgpr12
	s_delay_alu instid0(VALU_DEP_1) | instskip(NEXT) | instid1(SALU_CYCLE_1)
	s_and_saveexec_b32 s23, s0
	s_xor_b32 s0, exec_lo, s23
	s_cbranch_execz .LBB25_618
; %bb.617:                              ;   in Loop: Header=BB25_17 Depth=1
	flat_load_b64 v[0:1], v[0:1]
	s_waitcnt vmcnt(0) lgkmcnt(0)
	v_cvt_f32_f64_e32 v12, v[0:1]
                                        ; implicit-def: $vgpr0_vgpr1
.LBB25_618:                             ;   in Loop: Header=BB25_17 Depth=1
	s_and_not1_saveexec_b32 s0, s0
	s_cbranch_execz .LBB25_620
; %bb.619:                              ;   in Loop: Header=BB25_17 Depth=1
	flat_load_b32 v12, v[0:1]
.LBB25_620:                             ;   in Loop: Header=BB25_17 Depth=1
	s_or_b32 exec_lo, exec_lo, s0
                                        ; implicit-def: $vgpr0_vgpr1
.LBB25_621:                             ;   in Loop: Header=BB25_17 Depth=1
	s_and_not1_saveexec_b32 s0, s22
	s_cbranch_execz .LBB25_623
; %bb.622:                              ;   in Loop: Header=BB25_17 Depth=1
	flat_load_b32 v0, v[0:1]
	s_waitcnt vmcnt(0) lgkmcnt(0)
	v_cvt_f32_f16_e32 v12, v0
.LBB25_623:                             ;   in Loop: Header=BB25_17 Depth=1
	s_or_b32 exec_lo, exec_lo, s0
                                        ; implicit-def: $vgpr0_vgpr1
                                        ; implicit-def: $vgpr13
.LBB25_624:                             ;   in Loop: Header=BB25_17 Depth=1
	s_and_not1_saveexec_b32 s21, s21
	s_cbranch_execz .LBB25_634
; %bb.625:                              ;   in Loop: Header=BB25_17 Depth=1
	s_mov_b32 s22, exec_lo
                                        ; implicit-def: $vgpr12
	v_cmpx_lt_i16_e32 5, v13
	s_xor_b32 s22, exec_lo, s22
	s_cbranch_execz .LBB25_631
; %bb.626:                              ;   in Loop: Header=BB25_17 Depth=1
	v_cmp_lt_i16_e64 s0, 6, v13
                                        ; implicit-def: $vgpr12
	s_delay_alu instid0(VALU_DEP_1) | instskip(NEXT) | instid1(SALU_CYCLE_1)
	s_and_saveexec_b32 s23, s0
	s_xor_b32 s0, exec_lo, s23
	s_cbranch_execz .LBB25_628
; %bb.627:                              ;   in Loop: Header=BB25_17 Depth=1
	flat_load_b64 v[0:1], v[0:1]
	s_waitcnt vmcnt(0) lgkmcnt(0)
	v_cvt_f32_f64_e32 v12, v[0:1]
                                        ; implicit-def: $vgpr0_vgpr1
.LBB25_628:                             ;   in Loop: Header=BB25_17 Depth=1
	s_and_not1_saveexec_b32 s0, s0
	s_cbranch_execz .LBB25_630
; %bb.629:                              ;   in Loop: Header=BB25_17 Depth=1
	s_waitcnt vmcnt(0) lgkmcnt(0)
	flat_load_b32 v12, v[0:1]
.LBB25_630:                             ;   in Loop: Header=BB25_17 Depth=1
	s_or_b32 exec_lo, exec_lo, s0
                                        ; implicit-def: $vgpr0_vgpr1
.LBB25_631:                             ;   in Loop: Header=BB25_17 Depth=1
	s_and_not1_saveexec_b32 s0, s22
	s_cbranch_execz .LBB25_633
; %bb.632:                              ;   in Loop: Header=BB25_17 Depth=1
	flat_load_u16 v0, v[0:1]
	s_waitcnt vmcnt(0) lgkmcnt(0)
	v_cvt_f32_f16_e32 v12, v0
.LBB25_633:                             ;   in Loop: Header=BB25_17 Depth=1
	s_or_b32 exec_lo, exec_lo, s0
.LBB25_634:                             ;   in Loop: Header=BB25_17 Depth=1
	s_delay_alu instid0(SALU_CYCLE_1)
	s_or_b32 exec_lo, exec_lo, s21
                                        ; implicit-def: $vgpr13
                                        ; implicit-def: $vgpr0_vgpr1
.LBB25_635:                             ;   in Loop: Header=BB25_17 Depth=1
	s_and_not1_saveexec_b32 s20, s20
	s_cbranch_execz .LBB25_653
; %bb.636:                              ;   in Loop: Header=BB25_17 Depth=1
	s_mov_b32 s21, exec_lo
                                        ; implicit-def: $vgpr12
	v_cmpx_lt_i16_e32 1, v13
	s_xor_b32 s21, exec_lo, s21
	s_cbranch_execz .LBB25_646
; %bb.637:                              ;   in Loop: Header=BB25_17 Depth=1
	s_mov_b32 s22, exec_lo
                                        ; implicit-def: $vgpr12
	v_cmpx_lt_i16_e32 2, v13
	s_xor_b32 s22, exec_lo, s22
	s_cbranch_execz .LBB25_643
; %bb.638:                              ;   in Loop: Header=BB25_17 Depth=1
	v_cmp_lt_i16_e64 s0, 3, v13
                                        ; implicit-def: $vgpr12
	s_delay_alu instid0(VALU_DEP_1) | instskip(NEXT) | instid1(SALU_CYCLE_1)
	s_and_saveexec_b32 s23, s0
	s_xor_b32 s0, exec_lo, s23
	s_cbranch_execz .LBB25_640
; %bb.639:                              ;   in Loop: Header=BB25_17 Depth=1
	flat_load_b64 v[0:1], v[0:1]
	s_waitcnt vmcnt(0) lgkmcnt(0)
	v_xor_b32_e32 v12, v0, v1
	v_cls_i32_e32 v13, v1
	s_delay_alu instid0(VALU_DEP_2) | instskip(NEXT) | instid1(VALU_DEP_2)
	v_ashrrev_i32_e32 v12, 31, v12
	v_add_nc_u32_e32 v13, -1, v13
	s_delay_alu instid0(VALU_DEP_2) | instskip(NEXT) | instid1(VALU_DEP_1)
	v_add_nc_u32_e32 v12, 32, v12
	v_min_u32_e32 v12, v13, v12
	s_delay_alu instid0(VALU_DEP_1) | instskip(NEXT) | instid1(VALU_DEP_1)
	v_lshlrev_b64 v[0:1], v12, v[0:1]
	v_min_u32_e32 v0, 1, v0
	s_delay_alu instid0(VALU_DEP_1) | instskip(SKIP_1) | instid1(VALU_DEP_2)
	v_or_b32_e32 v0, v1, v0
	v_sub_nc_u32_e32 v1, 32, v12
	v_cvt_f32_i32_e32 v0, v0
	s_delay_alu instid0(VALU_DEP_1)
	v_ldexp_f32 v12, v0, v1
                                        ; implicit-def: $vgpr0_vgpr1
.LBB25_640:                             ;   in Loop: Header=BB25_17 Depth=1
	s_and_not1_saveexec_b32 s0, s0
	s_cbranch_execz .LBB25_642
; %bb.641:                              ;   in Loop: Header=BB25_17 Depth=1
	flat_load_b32 v0, v[0:1]
	s_waitcnt vmcnt(0) lgkmcnt(0)
	v_cvt_f32_i32_e32 v12, v0
.LBB25_642:                             ;   in Loop: Header=BB25_17 Depth=1
	s_or_b32 exec_lo, exec_lo, s0
                                        ; implicit-def: $vgpr0_vgpr1
.LBB25_643:                             ;   in Loop: Header=BB25_17 Depth=1
	s_and_not1_saveexec_b32 s0, s22
	s_cbranch_execz .LBB25_645
; %bb.644:                              ;   in Loop: Header=BB25_17 Depth=1
	flat_load_i16 v0, v[0:1]
	s_waitcnt vmcnt(0) lgkmcnt(0)
	v_cvt_f32_i32_e32 v12, v0
.LBB25_645:                             ;   in Loop: Header=BB25_17 Depth=1
	s_or_b32 exec_lo, exec_lo, s0
                                        ; implicit-def: $vgpr0_vgpr1
                                        ; implicit-def: $vgpr13
.LBB25_646:                             ;   in Loop: Header=BB25_17 Depth=1
	s_and_not1_saveexec_b32 s21, s21
	s_cbranch_execz .LBB25_652
; %bb.647:                              ;   in Loop: Header=BB25_17 Depth=1
	v_cmp_lt_i16_e64 s0, 0, v13
                                        ; implicit-def: $vgpr12
	s_delay_alu instid0(VALU_DEP_1) | instskip(NEXT) | instid1(SALU_CYCLE_1)
	s_and_saveexec_b32 s22, s0
	s_xor_b32 s0, exec_lo, s22
	s_cbranch_execz .LBB25_649
; %bb.648:                              ;   in Loop: Header=BB25_17 Depth=1
	flat_load_i8 v0, v[0:1]
	s_waitcnt vmcnt(0) lgkmcnt(0)
	v_cvt_f32_i32_e32 v12, v0
                                        ; implicit-def: $vgpr0_vgpr1
.LBB25_649:                             ;   in Loop: Header=BB25_17 Depth=1
	s_and_not1_saveexec_b32 s0, s0
	s_cbranch_execz .LBB25_651
; %bb.650:                              ;   in Loop: Header=BB25_17 Depth=1
	flat_load_u8 v0, v[0:1]
	s_waitcnt vmcnt(0) lgkmcnt(0)
	v_cvt_f32_ubyte0_e32 v12, v0
.LBB25_651:                             ;   in Loop: Header=BB25_17 Depth=1
	s_or_b32 exec_lo, exec_lo, s0
.LBB25_652:                             ;   in Loop: Header=BB25_17 Depth=1
	s_delay_alu instid0(SALU_CYCLE_1)
	s_or_b32 exec_lo, exec_lo, s21
.LBB25_653:                             ;   in Loop: Header=BB25_17 Depth=1
	s_delay_alu instid0(SALU_CYCLE_1) | instskip(NEXT) | instid1(SALU_CYCLE_1)
	s_or_b32 exec_lo, exec_lo, s20
	s_and_not1_b32 s18, s18, exec_lo
	s_and_not1_b32 s17, s17, exec_lo
	s_or_b32 s19, s19, exec_lo
	s_or_b32 exec_lo, exec_lo, s16
	s_mov_b32 s0, 0
	s_and_saveexec_b32 s16, s19
	s_cbranch_execnz .LBB25_546
	s_branch .LBB25_547
.LBB25_654:                             ;   in Loop: Header=BB25_17 Depth=1
	s_mov_b32 s14, exec_lo
                                        ; implicit-def: $sgpr20
                                        ; implicit-def: $sgpr15
                                        ; implicit-def: $vgpr13
	v_cmpx_lt_i16_e32 25, v2
	s_xor_b32 s14, exec_lo, s14
	s_cbranch_execz .LBB25_686
; %bb.655:                              ;   in Loop: Header=BB25_17 Depth=1
	s_mov_b32 s15, exec_lo
                                        ; implicit-def: $sgpr20
                                        ; implicit-def: $sgpr21
                                        ; implicit-def: $vgpr13
	v_cmpx_lt_i16_e32 28, v2
	s_xor_b32 s15, exec_lo, s15
	s_cbranch_execz .LBB25_671
; %bb.656:                              ;   in Loop: Header=BB25_17 Depth=1
	s_mov_b32 s22, 0
	s_mov_b32 s19, exec_lo
                                        ; implicit-def: $sgpr20
                                        ; implicit-def: $sgpr21
                                        ; implicit-def: $vgpr13
	v_cmpx_lt_i16_e32 43, v2
	s_xor_b32 s19, exec_lo, s19
	s_cbranch_execz .LBB25_666
; %bb.657:                              ;   in Loop: Header=BB25_17 Depth=1
	s_mov_b32 s21, exec_lo
                                        ; implicit-def: $sgpr20
                                        ; implicit-def: $sgpr23
                                        ; implicit-def: $vgpr13
	v_cmpx_lt_i16_e32 45, v2
	s_xor_b32 s21, exec_lo, s21
	s_cbranch_execz .LBB25_661
; %bb.658:                              ;   in Loop: Header=BB25_17 Depth=1
	s_mov_b32 s20, 0
	s_mov_b32 s23, exec_lo
                                        ; implicit-def: $vgpr13
	v_cmpx_eq_u16_e32 46, v2
	s_cbranch_execz .LBB25_660
; %bb.659:                              ;   in Loop: Header=BB25_17 Depth=1
	flat_load_b32 v0, v[0:1]
	s_mov_b32 s22, exec_lo
	s_waitcnt vmcnt(0) lgkmcnt(0)
	v_lshlrev_b32_e32 v13, 16, v0
.LBB25_660:                             ;   in Loop: Header=BB25_17 Depth=1
	s_or_b32 exec_lo, exec_lo, s23
	s_mov_b32 s23, -1
	s_and_b32 s22, s22, exec_lo
                                        ; implicit-def: $vgpr0_vgpr1
.LBB25_661:                             ;   in Loop: Header=BB25_17 Depth=1
	s_and_not1_saveexec_b32 s21, s21
	s_cbranch_execz .LBB25_665
; %bb.662:                              ;   in Loop: Header=BB25_17 Depth=1
	s_mov_b32 s25, s22
	s_mov_b32 s24, exec_lo
                                        ; implicit-def: $vgpr13
	v_cmpx_eq_u16_e32 44, v2
	s_cbranch_execz .LBB25_664
; %bb.663:                              ;   in Loop: Header=BB25_17 Depth=1
	flat_load_u8 v0, v[0:1]
	s_or_b32 s25, s22, exec_lo
	s_waitcnt vmcnt(0) lgkmcnt(0)
	v_lshlrev_b32_e32 v1, 23, v0
	v_cmp_ne_u32_e64 s0, 0xff, v0
	s_delay_alu instid0(VALU_DEP_1) | instskip(SKIP_1) | instid1(VALU_DEP_1)
	v_cndmask_b32_e64 v1, 0x7f800001, v1, s0
	v_cmp_ne_u32_e64 s0, 0, v0
	v_cndmask_b32_e64 v13, 0x400000, v1, s0
.LBB25_664:                             ;   in Loop: Header=BB25_17 Depth=1
	s_or_b32 exec_lo, exec_lo, s24
	s_delay_alu instid0(SALU_CYCLE_1)
	s_and_not1_b32 s0, s22, exec_lo
	s_and_b32 s22, s25, exec_lo
	s_and_not1_b32 s20, s20, exec_lo
	s_or_b32 s23, s23, exec_lo
	s_or_b32 s22, s0, s22
.LBB25_665:                             ;   in Loop: Header=BB25_17 Depth=1
	s_or_b32 exec_lo, exec_lo, s21
	s_delay_alu instid0(SALU_CYCLE_1)
	s_and_b32 s21, s20, exec_lo
	s_and_b32 s20, s23, exec_lo
	;; [unrolled: 1-line block ×3, first 2 shown]
                                        ; implicit-def: $vgpr0_vgpr1
.LBB25_666:                             ;   in Loop: Header=BB25_17 Depth=1
	s_and_not1_saveexec_b32 s19, s19
	s_cbranch_execz .LBB25_670
; %bb.667:                              ;   in Loop: Header=BB25_17 Depth=1
	s_mov_b32 s24, s22
	s_mov_b32 s23, exec_lo
                                        ; implicit-def: $vgpr13
	v_cmpx_eq_u16_e32 29, v2
	s_cbranch_execz .LBB25_669
; %bb.668:                              ;   in Loop: Header=BB25_17 Depth=1
	flat_load_b64 v[0:1], v[0:1]
	s_or_b32 s24, s22, exec_lo
	s_waitcnt vmcnt(0) lgkmcnt(0)
	v_clz_i32_u32_e32 v8, v1
	s_delay_alu instid0(VALU_DEP_1) | instskip(NEXT) | instid1(VALU_DEP_1)
	v_min_u32_e32 v8, 32, v8
	v_lshlrev_b64 v[0:1], v8, v[0:1]
	s_delay_alu instid0(VALU_DEP_1) | instskip(NEXT) | instid1(VALU_DEP_1)
	v_min_u32_e32 v0, 1, v0
	v_or_b32_e32 v0, v1, v0
	v_sub_nc_u32_e32 v1, 32, v8
	s_delay_alu instid0(VALU_DEP_2) | instskip(NEXT) | instid1(VALU_DEP_1)
	v_cvt_f32_u32_e32 v0, v0
	v_ldexp_f32 v13, v0, v1
.LBB25_669:                             ;   in Loop: Header=BB25_17 Depth=1
	s_or_b32 exec_lo, exec_lo, s23
	s_delay_alu instid0(SALU_CYCLE_1)
	s_and_not1_b32 s0, s22, exec_lo
	s_and_b32 s22, s24, exec_lo
	s_and_not1_b32 s21, s21, exec_lo
	s_or_b32 s20, s20, exec_lo
	s_or_b32 s22, s0, s22
.LBB25_670:                             ;   in Loop: Header=BB25_17 Depth=1
	s_or_b32 exec_lo, exec_lo, s19
	s_delay_alu instid0(SALU_CYCLE_1)
	s_and_b32 s21, s21, exec_lo
	s_and_b32 s20, s20, exec_lo
	s_and_b32 s19, s22, exec_lo
                                        ; implicit-def: $vgpr0_vgpr1
.LBB25_671:                             ;   in Loop: Header=BB25_17 Depth=1
	s_and_not1_saveexec_b32 s15, s15
	s_cbranch_execz .LBB25_685
; %bb.672:                              ;   in Loop: Header=BB25_17 Depth=1
	s_mov_b32 s22, exec_lo
                                        ; implicit-def: $vgpr13
	v_cmpx_lt_i16_e32 26, v2
	s_xor_b32 s22, exec_lo, s22
	s_cbranch_execz .LBB25_678
; %bb.673:                              ;   in Loop: Header=BB25_17 Depth=1
	v_cmp_lt_i16_e64 s0, 27, v2
                                        ; implicit-def: $vgpr13
	s_delay_alu instid0(VALU_DEP_1) | instskip(NEXT) | instid1(SALU_CYCLE_1)
	s_and_saveexec_b32 s23, s0
	s_xor_b32 s0, exec_lo, s23
	s_cbranch_execz .LBB25_675
; %bb.674:                              ;   in Loop: Header=BB25_17 Depth=1
	flat_load_b32 v0, v[0:1]
	s_waitcnt vmcnt(0) lgkmcnt(0)
	v_cvt_f32_u32_e32 v13, v0
                                        ; implicit-def: $vgpr0_vgpr1
.LBB25_675:                             ;   in Loop: Header=BB25_17 Depth=1
	s_and_not1_saveexec_b32 s0, s0
	s_cbranch_execz .LBB25_677
; %bb.676:                              ;   in Loop: Header=BB25_17 Depth=1
	flat_load_u16 v0, v[0:1]
	s_waitcnt vmcnt(0) lgkmcnt(0)
	v_cvt_f32_u32_e32 v13, v0
.LBB25_677:                             ;   in Loop: Header=BB25_17 Depth=1
	s_or_b32 exec_lo, exec_lo, s0
                                        ; implicit-def: $vgpr0_vgpr1
.LBB25_678:                             ;   in Loop: Header=BB25_17 Depth=1
	s_and_not1_saveexec_b32 s22, s22
	s_cbranch_execz .LBB25_684
; %bb.679:                              ;   in Loop: Header=BB25_17 Depth=1
	flat_load_u8 v0, v[0:1]
	s_mov_b32 s23, 0
	s_mov_b32 s25, exec_lo
                                        ; implicit-def: $sgpr24
	s_waitcnt vmcnt(0) lgkmcnt(0)
	v_cmpx_lt_i16_e32 0x7f, v0
	s_xor_b32 s25, exec_lo, s25
	s_cbranch_execnz .LBB25_1442
; %bb.680:                              ;   in Loop: Header=BB25_17 Depth=1
	s_or_saveexec_b32 s25, s25
	v_mov_b32_e32 v13, s24
	s_xor_b32 exec_lo, exec_lo, s25
	s_cbranch_execnz .LBB25_1445
.LBB25_681:                             ;   in Loop: Header=BB25_17 Depth=1
	s_or_b32 exec_lo, exec_lo, s25
	s_and_saveexec_b32 s24, s23
	s_cbranch_execz .LBB25_683
.LBB25_682:                             ;   in Loop: Header=BB25_17 Depth=1
	v_and_b32_e32 v1, 0xffff, v0
	v_lshlrev_b32_e32 v0, 24, v0
	s_delay_alu instid0(VALU_DEP_2) | instskip(NEXT) | instid1(VALU_DEP_2)
	v_and_b32_e32 v8, 7, v1
	v_and_b32_e32 v0, 0x80000000, v0
	s_delay_alu instid0(VALU_DEP_2) | instskip(NEXT) | instid1(VALU_DEP_1)
	v_clz_i32_u32_e32 v13, v8
	v_min_u32_e32 v13, 32, v13
	s_delay_alu instid0(VALU_DEP_1) | instskip(SKIP_1) | instid1(VALU_DEP_2)
	v_subrev_nc_u32_e32 v14, 28, v13
	v_sub_nc_u32_e32 v13, 29, v13
	v_lshlrev_b32_e32 v14, v14, v1
	v_bfe_u32 v1, v1, 3, 4
	s_delay_alu instid0(VALU_DEP_2) | instskip(NEXT) | instid1(VALU_DEP_2)
	v_and_b32_e32 v14, 7, v14
	v_cmp_eq_u32_e64 s0, 0, v1
	s_delay_alu instid0(VALU_DEP_1) | instskip(NEXT) | instid1(VALU_DEP_3)
	v_cndmask_b32_e64 v1, v1, v13, s0
	v_cndmask_b32_e64 v8, v8, v14, s0
	s_delay_alu instid0(VALU_DEP_2) | instskip(NEXT) | instid1(VALU_DEP_2)
	v_lshl_add_u32 v1, v1, 23, 0x3b800000
	v_lshlrev_b32_e32 v8, 20, v8
	s_delay_alu instid0(VALU_DEP_1)
	v_or3_b32 v13, v0, v1, v8
.LBB25_683:                             ;   in Loop: Header=BB25_17 Depth=1
	s_or_b32 exec_lo, exec_lo, s24
.LBB25_684:                             ;   in Loop: Header=BB25_17 Depth=1
	s_delay_alu instid0(SALU_CYCLE_1) | instskip(NEXT) | instid1(SALU_CYCLE_1)
	s_or_b32 exec_lo, exec_lo, s22
	s_and_not1_b32 s21, s21, exec_lo
	s_and_not1_b32 s20, s20, exec_lo
	s_or_b32 s19, s19, exec_lo
.LBB25_685:                             ;   in Loop: Header=BB25_17 Depth=1
	s_or_b32 exec_lo, exec_lo, s15
	s_delay_alu instid0(SALU_CYCLE_1)
	s_and_b32 s15, s21, exec_lo
	s_and_b32 s20, s20, exec_lo
	;; [unrolled: 1-line block ×3, first 2 shown]
                                        ; implicit-def: $vgpr0_vgpr1
.LBB25_686:                             ;   in Loop: Header=BB25_17 Depth=1
	s_and_not1_saveexec_b32 s14, s14
	s_cbranch_execz .LBB25_712
; %bb.687:                              ;   in Loop: Header=BB25_17 Depth=1
	s_mov_b32 s22, s19
	s_mov_b32 s21, exec_lo
                                        ; implicit-def: $vgpr13
	v_cmpx_lt_i16_e32 22, v2
	s_xor_b32 s21, exec_lo, s21
	s_cbranch_execz .LBB25_701
; %bb.688:                              ;   in Loop: Header=BB25_17 Depth=1
	s_mov_b32 s22, exec_lo
                                        ; implicit-def: $vgpr13
	v_cmpx_lt_i16_e32 23, v2
	s_xor_b32 s22, exec_lo, s22
	s_cbranch_execz .LBB25_698
; %bb.689:                              ;   in Loop: Header=BB25_17 Depth=1
	;; [unrolled: 6-line block ×3, first 2 shown]
	flat_load_u8 v0, v[0:1]
	s_mov_b32 s24, 0
	s_mov_b32 s26, exec_lo
                                        ; implicit-def: $sgpr25
	s_waitcnt vmcnt(0) lgkmcnt(0)
	v_cmpx_lt_i16_e32 0x7f, v0
	s_xor_b32 s26, exec_lo, s26
	s_cbranch_execnz .LBB25_1661
; %bb.691:                              ;   in Loop: Header=BB25_17 Depth=1
	s_or_saveexec_b32 s26, s26
	v_mov_b32_e32 v13, s25
	s_xor_b32 exec_lo, exec_lo, s26
	s_cbranch_execnz .LBB25_1664
.LBB25_692:                             ;   in Loop: Header=BB25_17 Depth=1
	s_or_b32 exec_lo, exec_lo, s26
	s_and_saveexec_b32 s25, s24
	s_cbranch_execz .LBB25_694
.LBB25_693:                             ;   in Loop: Header=BB25_17 Depth=1
	v_and_b32_e32 v1, 0xffff, v0
	v_lshlrev_b32_e32 v0, 24, v0
	s_delay_alu instid0(VALU_DEP_2) | instskip(NEXT) | instid1(VALU_DEP_2)
	v_and_b32_e32 v8, 3, v1
	v_and_b32_e32 v0, 0x80000000, v0
	s_delay_alu instid0(VALU_DEP_2) | instskip(NEXT) | instid1(VALU_DEP_1)
	v_clz_i32_u32_e32 v13, v8
	v_min_u32_e32 v13, 32, v13
	s_delay_alu instid0(VALU_DEP_1) | instskip(SKIP_1) | instid1(VALU_DEP_2)
	v_subrev_nc_u32_e32 v14, 29, v13
	v_sub_nc_u32_e32 v13, 30, v13
	v_lshlrev_b32_e32 v14, v14, v1
	v_bfe_u32 v1, v1, 2, 5
	s_delay_alu instid0(VALU_DEP_2) | instskip(NEXT) | instid1(VALU_DEP_2)
	v_and_b32_e32 v14, 3, v14
	v_cmp_eq_u32_e64 s0, 0, v1
	s_delay_alu instid0(VALU_DEP_1) | instskip(NEXT) | instid1(VALU_DEP_3)
	v_cndmask_b32_e64 v1, v1, v13, s0
	v_cndmask_b32_e64 v8, v8, v14, s0
	s_delay_alu instid0(VALU_DEP_2) | instskip(NEXT) | instid1(VALU_DEP_2)
	v_lshl_add_u32 v1, v1, 23, 0x37800000
	v_lshlrev_b32_e32 v8, 21, v8
	s_delay_alu instid0(VALU_DEP_1)
	v_or3_b32 v13, v0, v1, v8
.LBB25_694:                             ;   in Loop: Header=BB25_17 Depth=1
	s_or_b32 exec_lo, exec_lo, s25
                                        ; implicit-def: $vgpr0_vgpr1
.LBB25_695:                             ;   in Loop: Header=BB25_17 Depth=1
	s_and_not1_saveexec_b32 s23, s23
	s_cbranch_execz .LBB25_697
; %bb.696:                              ;   in Loop: Header=BB25_17 Depth=1
	flat_load_u8 v0, v[0:1]
	s_waitcnt vmcnt(0) lgkmcnt(0)
	v_lshlrev_b32_e32 v0, 24, v0
	s_delay_alu instid0(VALU_DEP_1) | instskip(NEXT) | instid1(VALU_DEP_1)
	v_and_b32_e32 v1, 0x7f000000, v0
	v_clz_i32_u32_e32 v8, v1
	v_add_nc_u32_e32 v14, 0x1000000, v1
	v_cmp_ne_u32_e64 s0, 0, v1
	s_delay_alu instid0(VALU_DEP_3) | instskip(NEXT) | instid1(VALU_DEP_1)
	v_min_u32_e32 v8, 32, v8
	v_sub_nc_u32_e64 v8, v8, 4 clamp
	s_delay_alu instid0(VALU_DEP_1) | instskip(SKIP_1) | instid1(VALU_DEP_2)
	v_lshlrev_b32_e32 v13, v8, v1
	v_lshlrev_b32_e32 v8, 23, v8
	v_lshrrev_b32_e32 v13, 4, v13
	s_delay_alu instid0(VALU_DEP_1) | instskip(SKIP_1) | instid1(VALU_DEP_2)
	v_sub_nc_u32_e32 v8, v13, v8
	v_ashrrev_i32_e32 v13, 8, v14
	v_add_nc_u32_e32 v8, 0x3c000000, v8
	s_delay_alu instid0(VALU_DEP_1) | instskip(NEXT) | instid1(VALU_DEP_1)
	v_and_or_b32 v8, 0x7f800000, v13, v8
	v_cndmask_b32_e64 v1, 0, v8, s0
	s_delay_alu instid0(VALU_DEP_1)
	v_and_or_b32 v13, 0x80000000, v0, v1
.LBB25_697:                             ;   in Loop: Header=BB25_17 Depth=1
	s_or_b32 exec_lo, exec_lo, s23
                                        ; implicit-def: $vgpr0_vgpr1
.LBB25_698:                             ;   in Loop: Header=BB25_17 Depth=1
	s_and_not1_saveexec_b32 s22, s22
	s_cbranch_execz .LBB25_700
; %bb.699:                              ;   in Loop: Header=BB25_17 Depth=1
	flat_load_u8 v0, v[0:1]
	s_waitcnt vmcnt(0) lgkmcnt(0)
	v_lshlrev_b32_e32 v1, 25, v0
	v_lshlrev_b16 v0, 8, v0
	s_delay_alu instid0(VALU_DEP_2) | instskip(NEXT) | instid1(VALU_DEP_2)
	v_lshrrev_b32_e32 v8, 4, v1
	v_and_or_b32 v13, 0x7f00, v0, 0.5
	v_cmp_gt_u32_e64 s0, 0x8000000, v1
	v_bfe_i32 v0, v0, 0, 16
	s_delay_alu instid0(VALU_DEP_4) | instskip(NEXT) | instid1(VALU_DEP_1)
	v_or_b32_e32 v8, 0x70000000, v8
	v_dual_add_f32 v13, -0.5, v13 :: v_dual_mul_f32 v8, 0x7800000, v8
	s_delay_alu instid0(VALU_DEP_1) | instskip(NEXT) | instid1(VALU_DEP_1)
	v_cndmask_b32_e64 v1, v8, v13, s0
	v_and_or_b32 v13, 0x80000000, v0, v1
.LBB25_700:                             ;   in Loop: Header=BB25_17 Depth=1
	s_or_b32 exec_lo, exec_lo, s22
	s_delay_alu instid0(SALU_CYCLE_1)
	s_or_b32 s22, s19, exec_lo
                                        ; implicit-def: $vgpr0_vgpr1
.LBB25_701:                             ;   in Loop: Header=BB25_17 Depth=1
	s_or_saveexec_b32 s21, s21
                                        ; implicit-def: $sgpr23
                                        ; implicit-def: $sgpr0
	s_delay_alu instid0(SALU_CYCLE_1)
	s_xor_b32 exec_lo, exec_lo, s21
	s_cbranch_execz .LBB25_711
; %bb.702:                              ;   in Loop: Header=BB25_17 Depth=1
	s_mov_b32 s24, s22
	s_mov_b32 s26, exec_lo
                                        ; implicit-def: $sgpr25
                                        ; implicit-def: $sgpr23
                                        ; implicit-def: $vgpr13
	v_cmpx_lt_i16_e32 14, v2
	s_xor_b32 s26, exec_lo, s26
	s_cbranch_execz .LBB25_706
; %bb.703:                              ;   in Loop: Header=BB25_17 Depth=1
	s_mov_b32 s24, s22
	s_mov_b32 s23, exec_lo
                                        ; implicit-def: $vgpr13
	v_cmpx_eq_u16_e32 15, v2
	s_cbranch_execz .LBB25_705
; %bb.704:                              ;   in Loop: Header=BB25_17 Depth=1
	flat_load_u16 v0, v[0:1]
	s_or_b32 s24, s22, exec_lo
	s_waitcnt vmcnt(0) lgkmcnt(0)
	v_lshlrev_b32_e32 v13, 16, v0
.LBB25_705:                             ;   in Loop: Header=BB25_17 Depth=1
	s_or_b32 exec_lo, exec_lo, s23
	s_delay_alu instid0(SALU_CYCLE_1)
	s_and_not1_b32 s0, s22, exec_lo
	s_and_b32 s24, s24, exec_lo
	s_mov_b32 s23, -1
	s_mov_b32 s25, 0
	s_or_b32 s24, s0, s24
                                        ; implicit-def: $vgpr0_vgpr1
.LBB25_706:                             ;   in Loop: Header=BB25_17 Depth=1
	s_and_not1_saveexec_b32 s26, s26
	s_cbranch_execz .LBB25_710
; %bb.707:                              ;   in Loop: Header=BB25_17 Depth=1
	s_mov_b32 s27, s24
	s_mov_b32 s28, exec_lo
                                        ; implicit-def: $vgpr13
	v_cmpx_eq_u16_e32 11, v2
	s_cbranch_execz .LBB25_709
; %bb.708:                              ;   in Loop: Header=BB25_17 Depth=1
	flat_load_u8 v0, v[0:1]
	s_or_b32 s27, s24, exec_lo
	s_waitcnt vmcnt(0) lgkmcnt(0)
	v_cmp_ne_u16_e64 s0, 0, v0
	s_delay_alu instid0(VALU_DEP_1)
	v_cndmask_b32_e64 v13, 0, 1.0, s0
.LBB25_709:                             ;   in Loop: Header=BB25_17 Depth=1
	s_or_b32 exec_lo, exec_lo, s28
	s_delay_alu instid0(SALU_CYCLE_1)
	s_and_not1_b32 s0, s24, exec_lo
	s_and_b32 s24, s27, exec_lo
	s_and_not1_b32 s25, s25, exec_lo
	s_or_b32 s23, s23, exec_lo
	s_or_b32 s24, s0, s24
.LBB25_710:                             ;   in Loop: Header=BB25_17 Depth=1
	s_or_b32 exec_lo, exec_lo, s26
	s_delay_alu instid0(SALU_CYCLE_1)
	s_and_not1_b32 s22, s22, exec_lo
	s_and_b32 s24, s24, exec_lo
	s_and_b32 s0, s25, exec_lo
	;; [unrolled: 1-line block ×3, first 2 shown]
	s_or_b32 s22, s22, s24
.LBB25_711:                             ;   in Loop: Header=BB25_17 Depth=1
	s_or_b32 exec_lo, exec_lo, s21
	s_delay_alu instid0(SALU_CYCLE_1)
	s_and_not1_b32 s15, s15, exec_lo
	s_and_b32 s0, s0, exec_lo
	s_and_not1_b32 s19, s19, exec_lo
	s_or_b32 s15, s15, s0
	s_and_not1_b32 s0, s20, exec_lo
	s_and_b32 s20, s23, exec_lo
	s_and_b32 s21, s22, exec_lo
	s_or_b32 s20, s0, s20
	s_or_b32 s19, s19, s21
.LBB25_712:                             ;   in Loop: Header=BB25_17 Depth=1
	s_or_b32 exec_lo, exec_lo, s14
	s_delay_alu instid0(SALU_CYCLE_1)
	s_and_b32 s15, s15, exec_lo
	s_and_b32 s14, s20, exec_lo
	;; [unrolled: 1-line block ×3, first 2 shown]
                                        ; implicit-def: $vgpr0_vgpr1
	s_and_not1_saveexec_b32 s18, s18
	s_cbranch_execz .LBB25_553
.LBB25_713:                             ;   in Loop: Header=BB25_17 Depth=1
	s_mov_b32 s20, exec_lo
                                        ; implicit-def: $vgpr13
	v_cmpx_lt_i16_e32 4, v2
	s_xor_b32 s20, exec_lo, s20
	s_cbranch_execz .LBB25_735
; %bb.714:                              ;   in Loop: Header=BB25_17 Depth=1
	s_mov_b32 s21, exec_lo
                                        ; implicit-def: $vgpr13
	v_cmpx_lt_i16_e32 7, v2
	s_xor_b32 s21, exec_lo, s21
	s_cbranch_execz .LBB25_724
; %bb.715:                              ;   in Loop: Header=BB25_17 Depth=1
	;; [unrolled: 6-line block ×3, first 2 shown]
	v_cmp_lt_i16_e64 s0, 9, v2
                                        ; implicit-def: $vgpr13
	s_delay_alu instid0(VALU_DEP_1) | instskip(NEXT) | instid1(SALU_CYCLE_1)
	s_and_saveexec_b32 s23, s0
	s_xor_b32 s0, exec_lo, s23
	s_cbranch_execz .LBB25_718
; %bb.717:                              ;   in Loop: Header=BB25_17 Depth=1
	flat_load_b64 v[0:1], v[0:1]
	s_waitcnt vmcnt(0) lgkmcnt(0)
	v_cvt_f32_f64_e32 v13, v[0:1]
                                        ; implicit-def: $vgpr0_vgpr1
.LBB25_718:                             ;   in Loop: Header=BB25_17 Depth=1
	s_and_not1_saveexec_b32 s0, s0
	s_cbranch_execz .LBB25_720
; %bb.719:                              ;   in Loop: Header=BB25_17 Depth=1
	flat_load_b32 v13, v[0:1]
.LBB25_720:                             ;   in Loop: Header=BB25_17 Depth=1
	s_or_b32 exec_lo, exec_lo, s0
                                        ; implicit-def: $vgpr0_vgpr1
.LBB25_721:                             ;   in Loop: Header=BB25_17 Depth=1
	s_and_not1_saveexec_b32 s0, s22
	s_cbranch_execz .LBB25_723
; %bb.722:                              ;   in Loop: Header=BB25_17 Depth=1
	flat_load_b32 v0, v[0:1]
	s_waitcnt vmcnt(0) lgkmcnt(0)
	v_cvt_f32_f16_e32 v13, v0
.LBB25_723:                             ;   in Loop: Header=BB25_17 Depth=1
	s_or_b32 exec_lo, exec_lo, s0
                                        ; implicit-def: $vgpr0_vgpr1
.LBB25_724:                             ;   in Loop: Header=BB25_17 Depth=1
	s_and_not1_saveexec_b32 s21, s21
	s_cbranch_execz .LBB25_734
; %bb.725:                              ;   in Loop: Header=BB25_17 Depth=1
	s_mov_b32 s22, exec_lo
                                        ; implicit-def: $vgpr13
	v_cmpx_lt_i16_e32 5, v2
	s_xor_b32 s22, exec_lo, s22
	s_cbranch_execz .LBB25_731
; %bb.726:                              ;   in Loop: Header=BB25_17 Depth=1
	v_cmp_lt_i16_e64 s0, 6, v2
                                        ; implicit-def: $vgpr13
	s_delay_alu instid0(VALU_DEP_1) | instskip(NEXT) | instid1(SALU_CYCLE_1)
	s_and_saveexec_b32 s23, s0
	s_xor_b32 s0, exec_lo, s23
	s_cbranch_execz .LBB25_728
; %bb.727:                              ;   in Loop: Header=BB25_17 Depth=1
	flat_load_b64 v[0:1], v[0:1]
	s_waitcnt vmcnt(0) lgkmcnt(0)
	v_cvt_f32_f64_e32 v13, v[0:1]
                                        ; implicit-def: $vgpr0_vgpr1
.LBB25_728:                             ;   in Loop: Header=BB25_17 Depth=1
	s_and_not1_saveexec_b32 s0, s0
	s_cbranch_execz .LBB25_730
; %bb.729:                              ;   in Loop: Header=BB25_17 Depth=1
	s_waitcnt vmcnt(0) lgkmcnt(0)
	flat_load_b32 v13, v[0:1]
.LBB25_730:                             ;   in Loop: Header=BB25_17 Depth=1
	s_or_b32 exec_lo, exec_lo, s0
                                        ; implicit-def: $vgpr0_vgpr1
.LBB25_731:                             ;   in Loop: Header=BB25_17 Depth=1
	s_and_not1_saveexec_b32 s0, s22
	s_cbranch_execz .LBB25_733
; %bb.732:                              ;   in Loop: Header=BB25_17 Depth=1
	flat_load_u16 v0, v[0:1]
	s_waitcnt vmcnt(0) lgkmcnt(0)
	v_cvt_f32_f16_e32 v13, v0
.LBB25_733:                             ;   in Loop: Header=BB25_17 Depth=1
	s_or_b32 exec_lo, exec_lo, s0
.LBB25_734:                             ;   in Loop: Header=BB25_17 Depth=1
	s_delay_alu instid0(SALU_CYCLE_1)
	s_or_b32 exec_lo, exec_lo, s21
                                        ; implicit-def: $vgpr0_vgpr1
.LBB25_735:                             ;   in Loop: Header=BB25_17 Depth=1
	s_and_not1_saveexec_b32 s20, s20
	s_cbranch_execz .LBB25_753
; %bb.736:                              ;   in Loop: Header=BB25_17 Depth=1
	s_mov_b32 s21, exec_lo
                                        ; implicit-def: $vgpr13
	v_cmpx_lt_i16_e32 1, v2
	s_xor_b32 s21, exec_lo, s21
	s_cbranch_execz .LBB25_746
; %bb.737:                              ;   in Loop: Header=BB25_17 Depth=1
	s_mov_b32 s22, exec_lo
                                        ; implicit-def: $vgpr13
	v_cmpx_lt_i16_e32 2, v2
	s_xor_b32 s22, exec_lo, s22
	s_cbranch_execz .LBB25_743
; %bb.738:                              ;   in Loop: Header=BB25_17 Depth=1
	v_cmp_lt_i16_e64 s0, 3, v2
                                        ; implicit-def: $vgpr13
	s_delay_alu instid0(VALU_DEP_1) | instskip(NEXT) | instid1(SALU_CYCLE_1)
	s_and_saveexec_b32 s23, s0
	s_xor_b32 s0, exec_lo, s23
	s_cbranch_execz .LBB25_740
; %bb.739:                              ;   in Loop: Header=BB25_17 Depth=1
	flat_load_b64 v[0:1], v[0:1]
	s_waitcnt vmcnt(0) lgkmcnt(0)
	v_xor_b32_e32 v8, v0, v1
	v_cls_i32_e32 v13, v1
	s_delay_alu instid0(VALU_DEP_2) | instskip(NEXT) | instid1(VALU_DEP_2)
	v_ashrrev_i32_e32 v8, 31, v8
	v_add_nc_u32_e32 v13, -1, v13
	s_delay_alu instid0(VALU_DEP_2) | instskip(NEXT) | instid1(VALU_DEP_1)
	v_add_nc_u32_e32 v8, 32, v8
	v_min_u32_e32 v8, v13, v8
	s_delay_alu instid0(VALU_DEP_1) | instskip(NEXT) | instid1(VALU_DEP_1)
	v_lshlrev_b64 v[0:1], v8, v[0:1]
	v_min_u32_e32 v0, 1, v0
	s_delay_alu instid0(VALU_DEP_1) | instskip(SKIP_1) | instid1(VALU_DEP_2)
	v_or_b32_e32 v0, v1, v0
	v_sub_nc_u32_e32 v1, 32, v8
	v_cvt_f32_i32_e32 v0, v0
	s_delay_alu instid0(VALU_DEP_1)
	v_ldexp_f32 v13, v0, v1
                                        ; implicit-def: $vgpr0_vgpr1
.LBB25_740:                             ;   in Loop: Header=BB25_17 Depth=1
	s_and_not1_saveexec_b32 s0, s0
	s_cbranch_execz .LBB25_742
; %bb.741:                              ;   in Loop: Header=BB25_17 Depth=1
	flat_load_b32 v0, v[0:1]
	s_waitcnt vmcnt(0) lgkmcnt(0)
	v_cvt_f32_i32_e32 v13, v0
.LBB25_742:                             ;   in Loop: Header=BB25_17 Depth=1
	s_or_b32 exec_lo, exec_lo, s0
                                        ; implicit-def: $vgpr0_vgpr1
.LBB25_743:                             ;   in Loop: Header=BB25_17 Depth=1
	s_and_not1_saveexec_b32 s0, s22
	s_cbranch_execz .LBB25_745
; %bb.744:                              ;   in Loop: Header=BB25_17 Depth=1
	flat_load_i16 v0, v[0:1]
	s_waitcnt vmcnt(0) lgkmcnt(0)
	v_cvt_f32_i32_e32 v13, v0
.LBB25_745:                             ;   in Loop: Header=BB25_17 Depth=1
	s_or_b32 exec_lo, exec_lo, s0
                                        ; implicit-def: $vgpr0_vgpr1
.LBB25_746:                             ;   in Loop: Header=BB25_17 Depth=1
	s_and_not1_saveexec_b32 s21, s21
	s_cbranch_execz .LBB25_752
; %bb.747:                              ;   in Loop: Header=BB25_17 Depth=1
	v_cmp_lt_i16_e64 s0, 0, v2
                                        ; implicit-def: $vgpr13
	s_delay_alu instid0(VALU_DEP_1) | instskip(NEXT) | instid1(SALU_CYCLE_1)
	s_and_saveexec_b32 s22, s0
	s_xor_b32 s0, exec_lo, s22
	s_cbranch_execz .LBB25_749
; %bb.748:                              ;   in Loop: Header=BB25_17 Depth=1
	flat_load_i8 v0, v[0:1]
	s_waitcnt vmcnt(0) lgkmcnt(0)
	v_cvt_f32_i32_e32 v13, v0
                                        ; implicit-def: $vgpr0_vgpr1
.LBB25_749:                             ;   in Loop: Header=BB25_17 Depth=1
	s_and_not1_saveexec_b32 s0, s0
	s_cbranch_execz .LBB25_751
; %bb.750:                              ;   in Loop: Header=BB25_17 Depth=1
	flat_load_u8 v0, v[0:1]
	s_waitcnt vmcnt(0) lgkmcnt(0)
	v_cvt_f32_ubyte0_e32 v13, v0
.LBB25_751:                             ;   in Loop: Header=BB25_17 Depth=1
	s_or_b32 exec_lo, exec_lo, s0
.LBB25_752:                             ;   in Loop: Header=BB25_17 Depth=1
	s_delay_alu instid0(SALU_CYCLE_1)
	s_or_b32 exec_lo, exec_lo, s21
.LBB25_753:                             ;   in Loop: Header=BB25_17 Depth=1
	s_delay_alu instid0(SALU_CYCLE_1) | instskip(NEXT) | instid1(SALU_CYCLE_1)
	s_or_b32 exec_lo, exec_lo, s20
	s_and_not1_b32 s15, s15, exec_lo
	s_and_not1_b32 s14, s14, exec_lo
	s_or_b32 s19, s19, exec_lo
	s_or_b32 exec_lo, exec_lo, s18
	s_mov_b32 s0, 0
	s_and_saveexec_b32 s18, s19
	s_cbranch_execz .LBB25_759
.LBB25_754:                             ;   in Loop: Header=BB25_17 Depth=1
	s_add_i32 s0, s33, 16
	s_mov_b32 s22, 0
	v_add_nc_u32_e64 v8, s1, s0
	s_mov_b32 s19, exec_lo
                                        ; implicit-def: $sgpr20
                                        ; implicit-def: $sgpr21
	s_delay_alu instid0(VALU_DEP_1) | instskip(SKIP_4) | instid1(VALU_DEP_2)
	v_add_nc_u32_e32 v0, 28, v8
	s_waitcnt vmcnt(0) lgkmcnt(0)
	scratch_store_b32 v0, v13, off
	v_mul_lo_u32 v0, v12, v11
	v_and_b32_e32 v13, 0xff, v9
                                        ; implicit-def: $vgpr12
	v_add_co_u32 v0, s0, v5, v0
	s_delay_alu instid0(VALU_DEP_1) | instskip(NEXT) | instid1(VALU_DEP_3)
	v_add_co_ci_u32_e64 v1, s0, 0, v6, s0
	v_cmpx_lt_i16_e32 10, v13
	s_xor_b32 s19, exec_lo, s19
	s_cbranch_execnz .LBB25_769
; %bb.755:                              ;   in Loop: Header=BB25_17 Depth=1
	s_and_not1_saveexec_b32 s19, s19
	s_cbranch_execnz .LBB25_828
.LBB25_756:                             ;   in Loop: Header=BB25_17 Depth=1
	s_or_b32 exec_lo, exec_lo, s19
	s_mov_b32 s0, 0
	s_and_saveexec_b32 s19, s22
	s_cbranch_execz .LBB25_758
.LBB25_757:                             ;   in Loop: Header=BB25_17 Depth=1
	v_add_nc_u32_e32 v0, 24, v8
	v_add_nc_u32_e32 v7, 0x200, v7
	s_mov_b32 s0, exec_lo
	s_and_not1_b32 s21, s21, exec_lo
	s_and_not1_b32 s20, s20, exec_lo
	s_waitcnt vmcnt(0) lgkmcnt(0)
	scratch_store_b32 v0, v12, off
.LBB25_758:                             ;   in Loop: Header=BB25_17 Depth=1
	s_or_b32 exec_lo, exec_lo, s19
	s_delay_alu instid0(SALU_CYCLE_1)
	s_and_not1_b32 s15, s15, exec_lo
	s_and_b32 s19, s21, exec_lo
	s_and_not1_b32 s14, s14, exec_lo
	s_and_b32 s20, s20, exec_lo
	s_or_b32 s15, s15, s19
	s_or_b32 s14, s14, s20
	s_and_b32 s0, s0, exec_lo
.LBB25_759:                             ;   in Loop: Header=BB25_17 Depth=1
	s_or_b32 exec_lo, exec_lo, s18
	s_delay_alu instid0(SALU_CYCLE_1)
	s_and_b32 s15, s15, exec_lo
	s_and_b32 s14, s14, exec_lo
	s_or_not1_b32 s18, s0, exec_lo
.LBB25_760:                             ;   in Loop: Header=BB25_17 Depth=1
	s_or_b32 exec_lo, exec_lo, s16
	s_and_saveexec_b32 s16, s18
	s_cbranch_execz .LBB25_13
; %bb.761:                              ;   in Loop: Header=BB25_17 Depth=1
	s_mov_b32 s20, -1
	s_mov_b32 s21, -1
	s_mov_b32 s19, exec_lo
                                        ; implicit-def: $sgpr17
                                        ; implicit-def: $sgpr18
	v_cmpx_lt_i32_e64 v7, v146
	s_cbranch_execz .LBB25_975
; %bb.762:                              ;   in Loop: Header=BB25_17 Depth=1
	s_waitcnt vmcnt(0) lgkmcnt(0)
	v_add_nc_u32_e32 v12, s38, v7
	s_mov_b32 s22, 0
	s_mov_b32 s21, exec_lo
                                        ; implicit-def: $sgpr17
                                        ; implicit-def: $sgpr18
                                        ; implicit-def: $vgpr13
	s_delay_alu instid0(VALU_DEP_1) | instskip(NEXT) | instid1(VALU_DEP_1)
	v_mul_lo_u32 v0, v12, v10
	v_add_co_u32 v0, s0, v3, v0
	s_delay_alu instid0(VALU_DEP_1)
	v_add_co_ci_u32_e64 v1, s0, 0, v4, s0
	v_cmpx_lt_i16_e32 10, v2
	s_xor_b32 s21, exec_lo, s21
	s_cbranch_execnz .LBB25_869
; %bb.763:                              ;   in Loop: Header=BB25_17 Depth=1
	s_and_not1_saveexec_b32 s21, s21
	s_cbranch_execnz .LBB25_928
.LBB25_764:                             ;   in Loop: Header=BB25_17 Depth=1
	s_or_b32 exec_lo, exec_lo, s21
	s_mov_b32 s0, 0
	s_and_saveexec_b32 s21, s22
	s_cbranch_execnz .LBB25_969
	s_branch .LBB25_974
.LBB25_765:                             ;   in Loop: Header=BB25_17 Depth=1
	s_mov_b32 s15, -1
	s_mov_b32 s18, exec_lo
                                        ; implicit-def: $sgpr16
	v_cmpx_eq_u16_e32 0x80, v0
; %bb.766:                              ;   in Loop: Header=BB25_17 Depth=1
	s_mov_b32 s16, 0x7f800001
	s_xor_b32 s15, exec_lo, -1
; %bb.767:                              ;   in Loop: Header=BB25_17 Depth=1
	s_or_b32 exec_lo, exec_lo, s18
	s_delay_alu instid0(SALU_CYCLE_1)
	s_and_b32 s15, s15, exec_lo
	s_or_saveexec_b32 s17, s17
	v_mov_b32_e32 v13, s16
	s_xor_b32 exec_lo, exec_lo, s17
	s_cbranch_execz .LBB25_48
.LBB25_768:                             ;   in Loop: Header=BB25_17 Depth=1
	v_cmp_ne_u16_e64 s0, 0, v0
	v_mov_b32_e32 v13, 0
	s_and_not1_b32 s15, s15, exec_lo
	s_delay_alu instid0(VALU_DEP_2) | instskip(NEXT) | instid1(SALU_CYCLE_1)
	s_and_b32 s0, s0, exec_lo
	s_or_b32 s15, s15, s0
	s_or_b32 exec_lo, exec_lo, s17
	s_and_saveexec_b32 s16, s15
	s_cbranch_execnz .LBB25_49
	s_branch .LBB25_50
.LBB25_769:                             ;   in Loop: Header=BB25_17 Depth=1
	s_mov_b32 s20, exec_lo
                                        ; implicit-def: $sgpr23
                                        ; implicit-def: $sgpr21
                                        ; implicit-def: $vgpr12
	v_cmpx_lt_i16_e32 25, v13
	s_xor_b32 s20, exec_lo, s20
	s_cbranch_execz .LBB25_801
; %bb.770:                              ;   in Loop: Header=BB25_17 Depth=1
	s_mov_b32 s21, exec_lo
                                        ; implicit-def: $sgpr23
                                        ; implicit-def: $sgpr24
                                        ; implicit-def: $vgpr12
	v_cmpx_lt_i16_e32 28, v13
	s_xor_b32 s21, exec_lo, s21
	s_cbranch_execz .LBB25_786
; %bb.771:                              ;   in Loop: Header=BB25_17 Depth=1
	s_mov_b32 s25, 0
	s_mov_b32 s22, exec_lo
                                        ; implicit-def: $sgpr23
                                        ; implicit-def: $sgpr24
                                        ; implicit-def: $vgpr12
	v_cmpx_lt_i16_e32 43, v13
	s_xor_b32 s22, exec_lo, s22
	s_cbranch_execz .LBB25_781
; %bb.772:                              ;   in Loop: Header=BB25_17 Depth=1
	s_mov_b32 s26, exec_lo
                                        ; implicit-def: $sgpr24
                                        ; implicit-def: $sgpr23
                                        ; implicit-def: $vgpr12
	v_cmpx_lt_i16_e32 45, v13
	s_xor_b32 s26, exec_lo, s26
	s_cbranch_execz .LBB25_776
; %bb.773:                              ;   in Loop: Header=BB25_17 Depth=1
	s_mov_b32 s23, 0
	s_mov_b32 s24, exec_lo
                                        ; implicit-def: $vgpr12
	v_cmpx_eq_u16_e32 46, v13
	s_cbranch_execz .LBB25_775
; %bb.774:                              ;   in Loop: Header=BB25_17 Depth=1
	flat_load_b32 v0, v[0:1]
	s_mov_b32 s25, exec_lo
	s_waitcnt vmcnt(0) lgkmcnt(0)
	v_lshlrev_b32_e32 v12, 16, v0
.LBB25_775:                             ;   in Loop: Header=BB25_17 Depth=1
	s_or_b32 exec_lo, exec_lo, s24
	s_mov_b32 s24, -1
	s_and_b32 s25, s25, exec_lo
                                        ; implicit-def: $vgpr13
                                        ; implicit-def: $vgpr0_vgpr1
.LBB25_776:                             ;   in Loop: Header=BB25_17 Depth=1
	s_and_not1_saveexec_b32 s26, s26
	s_cbranch_execz .LBB25_780
; %bb.777:                              ;   in Loop: Header=BB25_17 Depth=1
	s_mov_b32 s28, s25
	s_mov_b32 s27, exec_lo
                                        ; implicit-def: $vgpr12
	v_cmpx_eq_u16_e32 44, v13
	s_cbranch_execz .LBB25_779
; %bb.778:                              ;   in Loop: Header=BB25_17 Depth=1
	flat_load_u8 v0, v[0:1]
	s_or_b32 s28, s25, exec_lo
	s_waitcnt vmcnt(0) lgkmcnt(0)
	v_lshlrev_b32_e32 v1, 23, v0
	v_cmp_ne_u32_e64 s0, 0xff, v0
	s_delay_alu instid0(VALU_DEP_1) | instskip(SKIP_1) | instid1(VALU_DEP_1)
	v_cndmask_b32_e64 v1, 0x7f800001, v1, s0
	v_cmp_ne_u32_e64 s0, 0, v0
	v_cndmask_b32_e64 v12, 0x400000, v1, s0
.LBB25_779:                             ;   in Loop: Header=BB25_17 Depth=1
	s_or_b32 exec_lo, exec_lo, s27
	s_delay_alu instid0(SALU_CYCLE_1)
	s_and_not1_b32 s0, s25, exec_lo
	s_and_b32 s25, s28, exec_lo
	s_or_b32 s24, s24, exec_lo
	s_and_not1_b32 s23, s23, exec_lo
	s_or_b32 s25, s0, s25
.LBB25_780:                             ;   in Loop: Header=BB25_17 Depth=1
	s_or_b32 exec_lo, exec_lo, s26
	s_delay_alu instid0(SALU_CYCLE_1)
	s_and_b32 s24, s24, exec_lo
	s_and_b32 s23, s23, exec_lo
	;; [unrolled: 1-line block ×3, first 2 shown]
                                        ; implicit-def: $vgpr13
                                        ; implicit-def: $vgpr0_vgpr1
.LBB25_781:                             ;   in Loop: Header=BB25_17 Depth=1
	s_and_not1_saveexec_b32 s22, s22
	s_cbranch_execz .LBB25_785
; %bb.782:                              ;   in Loop: Header=BB25_17 Depth=1
	s_mov_b32 s27, s25
	s_mov_b32 s26, exec_lo
                                        ; implicit-def: $vgpr12
	v_cmpx_eq_u16_e32 29, v13
	s_cbranch_execz .LBB25_784
; %bb.783:                              ;   in Loop: Header=BB25_17 Depth=1
	flat_load_b64 v[0:1], v[0:1]
	s_or_b32 s27, s25, exec_lo
	s_waitcnt vmcnt(0) lgkmcnt(0)
	v_clz_i32_u32_e32 v12, v1
	s_delay_alu instid0(VALU_DEP_1) | instskip(NEXT) | instid1(VALU_DEP_1)
	v_min_u32_e32 v12, 32, v12
	v_lshlrev_b64 v[0:1], v12, v[0:1]
	s_delay_alu instid0(VALU_DEP_1) | instskip(NEXT) | instid1(VALU_DEP_1)
	v_min_u32_e32 v0, 1, v0
	v_or_b32_e32 v0, v1, v0
	v_sub_nc_u32_e32 v1, 32, v12
	s_delay_alu instid0(VALU_DEP_2) | instskip(NEXT) | instid1(VALU_DEP_1)
	v_cvt_f32_u32_e32 v0, v0
	v_ldexp_f32 v12, v0, v1
.LBB25_784:                             ;   in Loop: Header=BB25_17 Depth=1
	s_or_b32 exec_lo, exec_lo, s26
	s_delay_alu instid0(SALU_CYCLE_1)
	s_and_not1_b32 s0, s25, exec_lo
	s_and_b32 s25, s27, exec_lo
	s_or_b32 s24, s24, exec_lo
	s_and_not1_b32 s23, s23, exec_lo
	s_or_b32 s25, s0, s25
.LBB25_785:                             ;   in Loop: Header=BB25_17 Depth=1
	s_or_b32 exec_lo, exec_lo, s22
	s_delay_alu instid0(SALU_CYCLE_1)
	s_and_b32 s24, s24, exec_lo
	s_and_b32 s23, s23, exec_lo
	;; [unrolled: 1-line block ×3, first 2 shown]
                                        ; implicit-def: $vgpr13
                                        ; implicit-def: $vgpr0_vgpr1
.LBB25_786:                             ;   in Loop: Header=BB25_17 Depth=1
	s_and_not1_saveexec_b32 s21, s21
	s_cbranch_execz .LBB25_800
; %bb.787:                              ;   in Loop: Header=BB25_17 Depth=1
	s_mov_b32 s25, exec_lo
                                        ; implicit-def: $vgpr12
	v_cmpx_lt_i16_e32 26, v13
	s_xor_b32 s25, exec_lo, s25
	s_cbranch_execz .LBB25_793
; %bb.788:                              ;   in Loop: Header=BB25_17 Depth=1
	v_cmp_lt_i16_e64 s0, 27, v13
                                        ; implicit-def: $vgpr12
	s_delay_alu instid0(VALU_DEP_1) | instskip(NEXT) | instid1(SALU_CYCLE_1)
	s_and_saveexec_b32 s26, s0
	s_xor_b32 s0, exec_lo, s26
	s_cbranch_execz .LBB25_790
; %bb.789:                              ;   in Loop: Header=BB25_17 Depth=1
	flat_load_b32 v0, v[0:1]
	s_waitcnt vmcnt(0) lgkmcnt(0)
	v_cvt_f32_u32_e32 v12, v0
                                        ; implicit-def: $vgpr0_vgpr1
.LBB25_790:                             ;   in Loop: Header=BB25_17 Depth=1
	s_and_not1_saveexec_b32 s0, s0
	s_cbranch_execz .LBB25_792
; %bb.791:                              ;   in Loop: Header=BB25_17 Depth=1
	flat_load_u16 v0, v[0:1]
	s_waitcnt vmcnt(0) lgkmcnt(0)
	v_cvt_f32_u32_e32 v12, v0
.LBB25_792:                             ;   in Loop: Header=BB25_17 Depth=1
	s_or_b32 exec_lo, exec_lo, s0
                                        ; implicit-def: $vgpr0_vgpr1
.LBB25_793:                             ;   in Loop: Header=BB25_17 Depth=1
	s_and_not1_saveexec_b32 s25, s25
	s_cbranch_execz .LBB25_799
; %bb.794:                              ;   in Loop: Header=BB25_17 Depth=1
	flat_load_u8 v0, v[0:1]
	s_mov_b32 s26, 0
	s_mov_b32 s28, exec_lo
                                        ; implicit-def: $sgpr27
	s_waitcnt vmcnt(0) lgkmcnt(0)
	v_cmpx_lt_i16_e32 0x7f, v0
	s_xor_b32 s28, exec_lo, s28
	s_cbranch_execnz .LBB25_1665
; %bb.795:                              ;   in Loop: Header=BB25_17 Depth=1
	s_or_saveexec_b32 s28, s28
	v_mov_b32_e32 v12, s27
	s_xor_b32 exec_lo, exec_lo, s28
	s_cbranch_execnz .LBB25_1668
.LBB25_796:                             ;   in Loop: Header=BB25_17 Depth=1
	s_or_b32 exec_lo, exec_lo, s28
	s_and_saveexec_b32 s27, s26
	s_cbranch_execz .LBB25_798
.LBB25_797:                             ;   in Loop: Header=BB25_17 Depth=1
	v_and_b32_e32 v1, 0xffff, v0
	v_lshlrev_b32_e32 v0, 24, v0
	s_delay_alu instid0(VALU_DEP_2) | instskip(NEXT) | instid1(VALU_DEP_2)
	v_and_b32_e32 v12, 7, v1
	v_and_b32_e32 v0, 0x80000000, v0
	s_delay_alu instid0(VALU_DEP_2) | instskip(NEXT) | instid1(VALU_DEP_1)
	v_clz_i32_u32_e32 v13, v12
	v_min_u32_e32 v13, 32, v13
	s_delay_alu instid0(VALU_DEP_1) | instskip(SKIP_1) | instid1(VALU_DEP_2)
	v_subrev_nc_u32_e32 v14, 28, v13
	v_sub_nc_u32_e32 v13, 29, v13
	v_lshlrev_b32_e32 v14, v14, v1
	v_bfe_u32 v1, v1, 3, 4
	s_delay_alu instid0(VALU_DEP_2) | instskip(NEXT) | instid1(VALU_DEP_2)
	v_and_b32_e32 v14, 7, v14
	v_cmp_eq_u32_e64 s0, 0, v1
	s_delay_alu instid0(VALU_DEP_1) | instskip(NEXT) | instid1(VALU_DEP_3)
	v_cndmask_b32_e64 v1, v1, v13, s0
	v_cndmask_b32_e64 v12, v12, v14, s0
	s_delay_alu instid0(VALU_DEP_2) | instskip(NEXT) | instid1(VALU_DEP_2)
	v_lshl_add_u32 v1, v1, 23, 0x3b800000
	v_lshlrev_b32_e32 v12, 20, v12
	s_delay_alu instid0(VALU_DEP_1)
	v_or3_b32 v12, v0, v1, v12
.LBB25_798:                             ;   in Loop: Header=BB25_17 Depth=1
	s_or_b32 exec_lo, exec_lo, s27
.LBB25_799:                             ;   in Loop: Header=BB25_17 Depth=1
	s_delay_alu instid0(SALU_CYCLE_1) | instskip(NEXT) | instid1(SALU_CYCLE_1)
	s_or_b32 exec_lo, exec_lo, s25
	s_and_not1_b32 s24, s24, exec_lo
	s_and_not1_b32 s23, s23, exec_lo
	s_or_b32 s22, s22, exec_lo
.LBB25_800:                             ;   in Loop: Header=BB25_17 Depth=1
	s_or_b32 exec_lo, exec_lo, s21
	s_delay_alu instid0(SALU_CYCLE_1)
	s_and_b32 s21, s24, exec_lo
	s_and_b32 s23, s23, exec_lo
	;; [unrolled: 1-line block ×3, first 2 shown]
                                        ; implicit-def: $vgpr13
                                        ; implicit-def: $vgpr0_vgpr1
.LBB25_801:                             ;   in Loop: Header=BB25_17 Depth=1
	s_and_not1_saveexec_b32 s20, s20
	s_cbranch_execz .LBB25_827
; %bb.802:                              ;   in Loop: Header=BB25_17 Depth=1
	s_mov_b32 s25, s22
	s_mov_b32 s24, exec_lo
                                        ; implicit-def: $vgpr12
	v_cmpx_lt_i16_e32 22, v13
	s_xor_b32 s24, exec_lo, s24
	s_cbranch_execz .LBB25_816
; %bb.803:                              ;   in Loop: Header=BB25_17 Depth=1
	s_mov_b32 s25, exec_lo
                                        ; implicit-def: $vgpr12
	v_cmpx_lt_i16_e32 23, v13
	s_xor_b32 s25, exec_lo, s25
	s_cbranch_execz .LBB25_813
; %bb.804:                              ;   in Loop: Header=BB25_17 Depth=1
	;; [unrolled: 6-line block ×3, first 2 shown]
	flat_load_u8 v0, v[0:1]
	s_mov_b32 s27, 0
	s_mov_b32 s29, exec_lo
                                        ; implicit-def: $sgpr28
	s_waitcnt vmcnt(0) lgkmcnt(0)
	v_cmpx_lt_i16_e32 0x7f, v0
	s_xor_b32 s29, exec_lo, s29
	s_cbranch_execnz .LBB25_1884
; %bb.806:                              ;   in Loop: Header=BB25_17 Depth=1
	s_or_saveexec_b32 s29, s29
	v_mov_b32_e32 v12, s28
	s_xor_b32 exec_lo, exec_lo, s29
	s_cbranch_execnz .LBB25_1887
.LBB25_807:                             ;   in Loop: Header=BB25_17 Depth=1
	s_or_b32 exec_lo, exec_lo, s29
	s_and_saveexec_b32 s28, s27
	s_cbranch_execz .LBB25_809
.LBB25_808:                             ;   in Loop: Header=BB25_17 Depth=1
	v_and_b32_e32 v1, 0xffff, v0
	v_lshlrev_b32_e32 v0, 24, v0
	s_delay_alu instid0(VALU_DEP_2) | instskip(NEXT) | instid1(VALU_DEP_2)
	v_and_b32_e32 v12, 3, v1
	v_and_b32_e32 v0, 0x80000000, v0
	s_delay_alu instid0(VALU_DEP_2) | instskip(NEXT) | instid1(VALU_DEP_1)
	v_clz_i32_u32_e32 v13, v12
	v_min_u32_e32 v13, 32, v13
	s_delay_alu instid0(VALU_DEP_1) | instskip(SKIP_1) | instid1(VALU_DEP_2)
	v_subrev_nc_u32_e32 v14, 29, v13
	v_sub_nc_u32_e32 v13, 30, v13
	v_lshlrev_b32_e32 v14, v14, v1
	v_bfe_u32 v1, v1, 2, 5
	s_delay_alu instid0(VALU_DEP_2) | instskip(NEXT) | instid1(VALU_DEP_2)
	v_and_b32_e32 v14, 3, v14
	v_cmp_eq_u32_e64 s0, 0, v1
	s_delay_alu instid0(VALU_DEP_1) | instskip(NEXT) | instid1(VALU_DEP_3)
	v_cndmask_b32_e64 v1, v1, v13, s0
	v_cndmask_b32_e64 v12, v12, v14, s0
	s_delay_alu instid0(VALU_DEP_2) | instskip(NEXT) | instid1(VALU_DEP_2)
	v_lshl_add_u32 v1, v1, 23, 0x37800000
	v_lshlrev_b32_e32 v12, 21, v12
	s_delay_alu instid0(VALU_DEP_1)
	v_or3_b32 v12, v0, v1, v12
.LBB25_809:                             ;   in Loop: Header=BB25_17 Depth=1
	s_or_b32 exec_lo, exec_lo, s28
                                        ; implicit-def: $vgpr0_vgpr1
.LBB25_810:                             ;   in Loop: Header=BB25_17 Depth=1
	s_and_not1_saveexec_b32 s26, s26
	s_cbranch_execz .LBB25_812
; %bb.811:                              ;   in Loop: Header=BB25_17 Depth=1
	flat_load_u8 v0, v[0:1]
	s_waitcnt vmcnt(0) lgkmcnt(0)
	v_lshlrev_b32_e32 v0, 24, v0
	s_delay_alu instid0(VALU_DEP_1) | instskip(NEXT) | instid1(VALU_DEP_1)
	v_and_b32_e32 v1, 0x7f000000, v0
	v_clz_i32_u32_e32 v12, v1
	v_add_nc_u32_e32 v14, 0x1000000, v1
	v_cmp_ne_u32_e64 s0, 0, v1
	s_delay_alu instid0(VALU_DEP_3) | instskip(NEXT) | instid1(VALU_DEP_1)
	v_min_u32_e32 v12, 32, v12
	v_sub_nc_u32_e64 v12, v12, 4 clamp
	s_delay_alu instid0(VALU_DEP_1) | instskip(SKIP_1) | instid1(VALU_DEP_2)
	v_lshlrev_b32_e32 v13, v12, v1
	v_lshlrev_b32_e32 v12, 23, v12
	v_lshrrev_b32_e32 v13, 4, v13
	s_delay_alu instid0(VALU_DEP_1) | instskip(SKIP_1) | instid1(VALU_DEP_2)
	v_sub_nc_u32_e32 v12, v13, v12
	v_ashrrev_i32_e32 v13, 8, v14
	v_add_nc_u32_e32 v12, 0x3c000000, v12
	s_delay_alu instid0(VALU_DEP_1) | instskip(NEXT) | instid1(VALU_DEP_1)
	v_and_or_b32 v12, 0x7f800000, v13, v12
	v_cndmask_b32_e64 v1, 0, v12, s0
	s_delay_alu instid0(VALU_DEP_1)
	v_and_or_b32 v12, 0x80000000, v0, v1
.LBB25_812:                             ;   in Loop: Header=BB25_17 Depth=1
	s_or_b32 exec_lo, exec_lo, s26
                                        ; implicit-def: $vgpr0_vgpr1
.LBB25_813:                             ;   in Loop: Header=BB25_17 Depth=1
	s_and_not1_saveexec_b32 s25, s25
	s_cbranch_execz .LBB25_815
; %bb.814:                              ;   in Loop: Header=BB25_17 Depth=1
	flat_load_u8 v0, v[0:1]
	s_waitcnt vmcnt(0) lgkmcnt(0)
	v_lshlrev_b32_e32 v1, 25, v0
	v_lshlrev_b16 v0, 8, v0
	s_delay_alu instid0(VALU_DEP_2) | instskip(NEXT) | instid1(VALU_DEP_2)
	v_lshrrev_b32_e32 v12, 4, v1
	v_and_or_b32 v13, 0x7f00, v0, 0.5
	v_cmp_gt_u32_e64 s0, 0x8000000, v1
	v_bfe_i32 v0, v0, 0, 16
	s_delay_alu instid0(VALU_DEP_4) | instskip(NEXT) | instid1(VALU_DEP_1)
	v_or_b32_e32 v12, 0x70000000, v12
	v_dual_add_f32 v13, -0.5, v13 :: v_dual_mul_f32 v12, 0x7800000, v12
	s_delay_alu instid0(VALU_DEP_1) | instskip(NEXT) | instid1(VALU_DEP_1)
	v_cndmask_b32_e64 v1, v12, v13, s0
	v_and_or_b32 v12, 0x80000000, v0, v1
.LBB25_815:                             ;   in Loop: Header=BB25_17 Depth=1
	s_or_b32 exec_lo, exec_lo, s25
	s_delay_alu instid0(SALU_CYCLE_1)
	s_or_b32 s25, s22, exec_lo
                                        ; implicit-def: $vgpr13
                                        ; implicit-def: $vgpr0_vgpr1
.LBB25_816:                             ;   in Loop: Header=BB25_17 Depth=1
	s_or_saveexec_b32 s24, s24
                                        ; implicit-def: $sgpr26
                                        ; implicit-def: $sgpr0
	s_delay_alu instid0(SALU_CYCLE_1)
	s_xor_b32 exec_lo, exec_lo, s24
	s_cbranch_execz .LBB25_826
; %bb.817:                              ;   in Loop: Header=BB25_17 Depth=1
	s_mov_b32 s27, s25
	s_mov_b32 s29, exec_lo
                                        ; implicit-def: $sgpr28
                                        ; implicit-def: $sgpr26
                                        ; implicit-def: $vgpr12
	v_cmpx_lt_i16_e32 14, v13
	s_xor_b32 s29, exec_lo, s29
	s_cbranch_execz .LBB25_821
; %bb.818:                              ;   in Loop: Header=BB25_17 Depth=1
	s_mov_b32 s27, s25
	s_mov_b32 s26, exec_lo
                                        ; implicit-def: $vgpr12
	v_cmpx_eq_u16_e32 15, v13
	s_cbranch_execz .LBB25_820
; %bb.819:                              ;   in Loop: Header=BB25_17 Depth=1
	flat_load_u16 v0, v[0:1]
	s_or_b32 s27, s25, exec_lo
	s_waitcnt vmcnt(0) lgkmcnt(0)
	v_lshlrev_b32_e32 v12, 16, v0
.LBB25_820:                             ;   in Loop: Header=BB25_17 Depth=1
	s_or_b32 exec_lo, exec_lo, s26
	s_delay_alu instid0(SALU_CYCLE_1)
	s_and_not1_b32 s0, s25, exec_lo
	s_and_b32 s27, s27, exec_lo
	s_mov_b32 s26, 0
	s_mov_b32 s28, -1
	s_or_b32 s27, s0, s27
                                        ; implicit-def: $vgpr13
                                        ; implicit-def: $vgpr0_vgpr1
.LBB25_821:                             ;   in Loop: Header=BB25_17 Depth=1
	s_and_not1_saveexec_b32 s29, s29
	s_cbranch_execz .LBB25_825
; %bb.822:                              ;   in Loop: Header=BB25_17 Depth=1
	s_mov_b32 vcc_hi, s27
	s_mov_b32 s30, exec_lo
                                        ; implicit-def: $vgpr12
	v_cmpx_eq_u16_e32 11, v13
	s_cbranch_execz .LBB25_824
; %bb.823:                              ;   in Loop: Header=BB25_17 Depth=1
	flat_load_u8 v0, v[0:1]
	s_or_b32 vcc_hi, s27, exec_lo
	s_waitcnt vmcnt(0) lgkmcnt(0)
	v_cmp_ne_u16_e64 s0, 0, v0
	s_delay_alu instid0(VALU_DEP_1)
	v_cndmask_b32_e64 v12, 0, 1.0, s0
.LBB25_824:                             ;   in Loop: Header=BB25_17 Depth=1
	s_or_b32 exec_lo, exec_lo, s30
	s_delay_alu instid0(SALU_CYCLE_1)
	s_and_not1_b32 s0, s27, exec_lo
	s_and_b32 s27, vcc_hi, exec_lo
	s_or_b32 s28, s28, exec_lo
	s_and_not1_b32 s26, s26, exec_lo
	s_or_b32 s27, s0, s27
.LBB25_825:                             ;   in Loop: Header=BB25_17 Depth=1
	s_or_b32 exec_lo, exec_lo, s29
	s_delay_alu instid0(SALU_CYCLE_1)
	s_and_not1_b32 s25, s25, exec_lo
	s_and_b32 s27, s27, exec_lo
	s_and_b32 s0, s28, exec_lo
	;; [unrolled: 1-line block ×3, first 2 shown]
	s_or_b32 s25, s25, s27
.LBB25_826:                             ;   in Loop: Header=BB25_17 Depth=1
	s_or_b32 exec_lo, exec_lo, s24
	s_delay_alu instid0(SALU_CYCLE_1)
	s_and_not1_b32 s21, s21, exec_lo
	s_and_b32 s0, s0, exec_lo
	s_and_not1_b32 s22, s22, exec_lo
	s_or_b32 s21, s21, s0
	s_and_not1_b32 s0, s23, exec_lo
	s_and_b32 s23, s26, exec_lo
	s_and_b32 s24, s25, exec_lo
	s_or_b32 s23, s0, s23
	s_or_b32 s22, s22, s24
.LBB25_827:                             ;   in Loop: Header=BB25_17 Depth=1
	s_or_b32 exec_lo, exec_lo, s20
	s_delay_alu instid0(SALU_CYCLE_1)
	s_and_b32 s21, s21, exec_lo
	s_and_b32 s20, s23, exec_lo
	;; [unrolled: 1-line block ×3, first 2 shown]
                                        ; implicit-def: $vgpr13
                                        ; implicit-def: $vgpr0_vgpr1
	s_and_not1_saveexec_b32 s19, s19
	s_cbranch_execz .LBB25_756
.LBB25_828:                             ;   in Loop: Header=BB25_17 Depth=1
	s_mov_b32 s23, exec_lo
                                        ; implicit-def: $vgpr12
	v_cmpx_lt_i16_e32 4, v13
	s_xor_b32 s23, exec_lo, s23
	s_cbranch_execz .LBB25_850
; %bb.829:                              ;   in Loop: Header=BB25_17 Depth=1
	s_mov_b32 s24, exec_lo
                                        ; implicit-def: $vgpr12
	v_cmpx_lt_i16_e32 7, v13
	s_xor_b32 s24, exec_lo, s24
	s_cbranch_execz .LBB25_839
; %bb.830:                              ;   in Loop: Header=BB25_17 Depth=1
	s_mov_b32 s25, exec_lo
                                        ; implicit-def: $vgpr12
	v_cmpx_lt_i16_e32 8, v13
	s_xor_b32 s25, exec_lo, s25
	s_cbranch_execz .LBB25_836
; %bb.831:                              ;   in Loop: Header=BB25_17 Depth=1
	v_cmp_lt_i16_e64 s0, 9, v13
                                        ; implicit-def: $vgpr12
	s_delay_alu instid0(VALU_DEP_1) | instskip(NEXT) | instid1(SALU_CYCLE_1)
	s_and_saveexec_b32 s26, s0
	s_xor_b32 s0, exec_lo, s26
	s_cbranch_execz .LBB25_833
; %bb.832:                              ;   in Loop: Header=BB25_17 Depth=1
	flat_load_b64 v[0:1], v[0:1]
	s_waitcnt vmcnt(0) lgkmcnt(0)
	v_cvt_f32_f64_e32 v12, v[0:1]
                                        ; implicit-def: $vgpr0_vgpr1
.LBB25_833:                             ;   in Loop: Header=BB25_17 Depth=1
	s_and_not1_saveexec_b32 s0, s0
	s_cbranch_execz .LBB25_835
; %bb.834:                              ;   in Loop: Header=BB25_17 Depth=1
	flat_load_b32 v12, v[0:1]
.LBB25_835:                             ;   in Loop: Header=BB25_17 Depth=1
	s_or_b32 exec_lo, exec_lo, s0
                                        ; implicit-def: $vgpr0_vgpr1
.LBB25_836:                             ;   in Loop: Header=BB25_17 Depth=1
	s_and_not1_saveexec_b32 s0, s25
	s_cbranch_execz .LBB25_838
; %bb.837:                              ;   in Loop: Header=BB25_17 Depth=1
	flat_load_b32 v0, v[0:1]
	s_waitcnt vmcnt(0) lgkmcnt(0)
	v_cvt_f32_f16_e32 v12, v0
.LBB25_838:                             ;   in Loop: Header=BB25_17 Depth=1
	s_or_b32 exec_lo, exec_lo, s0
                                        ; implicit-def: $vgpr0_vgpr1
                                        ; implicit-def: $vgpr13
.LBB25_839:                             ;   in Loop: Header=BB25_17 Depth=1
	s_and_not1_saveexec_b32 s24, s24
	s_cbranch_execz .LBB25_849
; %bb.840:                              ;   in Loop: Header=BB25_17 Depth=1
	s_mov_b32 s25, exec_lo
                                        ; implicit-def: $vgpr12
	v_cmpx_lt_i16_e32 5, v13
	s_xor_b32 s25, exec_lo, s25
	s_cbranch_execz .LBB25_846
; %bb.841:                              ;   in Loop: Header=BB25_17 Depth=1
	v_cmp_lt_i16_e64 s0, 6, v13
                                        ; implicit-def: $vgpr12
	s_delay_alu instid0(VALU_DEP_1) | instskip(NEXT) | instid1(SALU_CYCLE_1)
	s_and_saveexec_b32 s26, s0
	s_xor_b32 s0, exec_lo, s26
	s_cbranch_execz .LBB25_843
; %bb.842:                              ;   in Loop: Header=BB25_17 Depth=1
	flat_load_b64 v[0:1], v[0:1]
	s_waitcnt vmcnt(0) lgkmcnt(0)
	v_cvt_f32_f64_e32 v12, v[0:1]
                                        ; implicit-def: $vgpr0_vgpr1
.LBB25_843:                             ;   in Loop: Header=BB25_17 Depth=1
	s_and_not1_saveexec_b32 s0, s0
	s_cbranch_execz .LBB25_845
; %bb.844:                              ;   in Loop: Header=BB25_17 Depth=1
	s_waitcnt vmcnt(0) lgkmcnt(0)
	flat_load_b32 v12, v[0:1]
.LBB25_845:                             ;   in Loop: Header=BB25_17 Depth=1
	s_or_b32 exec_lo, exec_lo, s0
                                        ; implicit-def: $vgpr0_vgpr1
.LBB25_846:                             ;   in Loop: Header=BB25_17 Depth=1
	s_and_not1_saveexec_b32 s0, s25
	s_cbranch_execz .LBB25_848
; %bb.847:                              ;   in Loop: Header=BB25_17 Depth=1
	flat_load_u16 v0, v[0:1]
	s_waitcnt vmcnt(0) lgkmcnt(0)
	v_cvt_f32_f16_e32 v12, v0
.LBB25_848:                             ;   in Loop: Header=BB25_17 Depth=1
	s_or_b32 exec_lo, exec_lo, s0
.LBB25_849:                             ;   in Loop: Header=BB25_17 Depth=1
	s_delay_alu instid0(SALU_CYCLE_1)
	s_or_b32 exec_lo, exec_lo, s24
                                        ; implicit-def: $vgpr13
                                        ; implicit-def: $vgpr0_vgpr1
.LBB25_850:                             ;   in Loop: Header=BB25_17 Depth=1
	s_and_not1_saveexec_b32 s23, s23
	s_cbranch_execz .LBB25_868
; %bb.851:                              ;   in Loop: Header=BB25_17 Depth=1
	s_mov_b32 s24, exec_lo
                                        ; implicit-def: $vgpr12
	v_cmpx_lt_i16_e32 1, v13
	s_xor_b32 s24, exec_lo, s24
	s_cbranch_execz .LBB25_861
; %bb.852:                              ;   in Loop: Header=BB25_17 Depth=1
	s_mov_b32 s25, exec_lo
                                        ; implicit-def: $vgpr12
	v_cmpx_lt_i16_e32 2, v13
	s_xor_b32 s25, exec_lo, s25
	s_cbranch_execz .LBB25_858
; %bb.853:                              ;   in Loop: Header=BB25_17 Depth=1
	v_cmp_lt_i16_e64 s0, 3, v13
                                        ; implicit-def: $vgpr12
	s_delay_alu instid0(VALU_DEP_1) | instskip(NEXT) | instid1(SALU_CYCLE_1)
	s_and_saveexec_b32 s26, s0
	s_xor_b32 s0, exec_lo, s26
	s_cbranch_execz .LBB25_855
; %bb.854:                              ;   in Loop: Header=BB25_17 Depth=1
	flat_load_b64 v[0:1], v[0:1]
	s_waitcnt vmcnt(0) lgkmcnt(0)
	v_xor_b32_e32 v12, v0, v1
	v_cls_i32_e32 v13, v1
	s_delay_alu instid0(VALU_DEP_2) | instskip(NEXT) | instid1(VALU_DEP_2)
	v_ashrrev_i32_e32 v12, 31, v12
	v_add_nc_u32_e32 v13, -1, v13
	s_delay_alu instid0(VALU_DEP_2) | instskip(NEXT) | instid1(VALU_DEP_1)
	v_add_nc_u32_e32 v12, 32, v12
	v_min_u32_e32 v12, v13, v12
	s_delay_alu instid0(VALU_DEP_1) | instskip(NEXT) | instid1(VALU_DEP_1)
	v_lshlrev_b64 v[0:1], v12, v[0:1]
	v_min_u32_e32 v0, 1, v0
	s_delay_alu instid0(VALU_DEP_1) | instskip(SKIP_1) | instid1(VALU_DEP_2)
	v_or_b32_e32 v0, v1, v0
	v_sub_nc_u32_e32 v1, 32, v12
	v_cvt_f32_i32_e32 v0, v0
	s_delay_alu instid0(VALU_DEP_1)
	v_ldexp_f32 v12, v0, v1
                                        ; implicit-def: $vgpr0_vgpr1
.LBB25_855:                             ;   in Loop: Header=BB25_17 Depth=1
	s_and_not1_saveexec_b32 s0, s0
	s_cbranch_execz .LBB25_857
; %bb.856:                              ;   in Loop: Header=BB25_17 Depth=1
	flat_load_b32 v0, v[0:1]
	s_waitcnt vmcnt(0) lgkmcnt(0)
	v_cvt_f32_i32_e32 v12, v0
.LBB25_857:                             ;   in Loop: Header=BB25_17 Depth=1
	s_or_b32 exec_lo, exec_lo, s0
                                        ; implicit-def: $vgpr0_vgpr1
.LBB25_858:                             ;   in Loop: Header=BB25_17 Depth=1
	s_and_not1_saveexec_b32 s0, s25
	s_cbranch_execz .LBB25_860
; %bb.859:                              ;   in Loop: Header=BB25_17 Depth=1
	flat_load_i16 v0, v[0:1]
	s_waitcnt vmcnt(0) lgkmcnt(0)
	v_cvt_f32_i32_e32 v12, v0
.LBB25_860:                             ;   in Loop: Header=BB25_17 Depth=1
	s_or_b32 exec_lo, exec_lo, s0
                                        ; implicit-def: $vgpr0_vgpr1
                                        ; implicit-def: $vgpr13
.LBB25_861:                             ;   in Loop: Header=BB25_17 Depth=1
	s_and_not1_saveexec_b32 s24, s24
	s_cbranch_execz .LBB25_867
; %bb.862:                              ;   in Loop: Header=BB25_17 Depth=1
	v_cmp_lt_i16_e64 s0, 0, v13
                                        ; implicit-def: $vgpr12
	s_delay_alu instid0(VALU_DEP_1) | instskip(NEXT) | instid1(SALU_CYCLE_1)
	s_and_saveexec_b32 s25, s0
	s_xor_b32 s0, exec_lo, s25
	s_cbranch_execz .LBB25_864
; %bb.863:                              ;   in Loop: Header=BB25_17 Depth=1
	flat_load_i8 v0, v[0:1]
	s_waitcnt vmcnt(0) lgkmcnt(0)
	v_cvt_f32_i32_e32 v12, v0
                                        ; implicit-def: $vgpr0_vgpr1
.LBB25_864:                             ;   in Loop: Header=BB25_17 Depth=1
	s_and_not1_saveexec_b32 s0, s0
	s_cbranch_execz .LBB25_866
; %bb.865:                              ;   in Loop: Header=BB25_17 Depth=1
	flat_load_u8 v0, v[0:1]
	s_waitcnt vmcnt(0) lgkmcnt(0)
	v_cvt_f32_ubyte0_e32 v12, v0
.LBB25_866:                             ;   in Loop: Header=BB25_17 Depth=1
	s_or_b32 exec_lo, exec_lo, s0
.LBB25_867:                             ;   in Loop: Header=BB25_17 Depth=1
	s_delay_alu instid0(SALU_CYCLE_1)
	s_or_b32 exec_lo, exec_lo, s24
.LBB25_868:                             ;   in Loop: Header=BB25_17 Depth=1
	s_delay_alu instid0(SALU_CYCLE_1) | instskip(NEXT) | instid1(SALU_CYCLE_1)
	s_or_b32 exec_lo, exec_lo, s23
	s_and_not1_b32 s21, s21, exec_lo
	s_and_not1_b32 s20, s20, exec_lo
	s_or_b32 s22, s22, exec_lo
	s_or_b32 exec_lo, exec_lo, s19
	s_mov_b32 s0, 0
	s_and_saveexec_b32 s19, s22
	s_cbranch_execnz .LBB25_757
	s_branch .LBB25_758
.LBB25_869:                             ;   in Loop: Header=BB25_17 Depth=1
	s_mov_b32 s17, exec_lo
                                        ; implicit-def: $sgpr23
                                        ; implicit-def: $sgpr18
                                        ; implicit-def: $vgpr13
	v_cmpx_lt_i16_e32 25, v2
	s_xor_b32 s17, exec_lo, s17
	s_cbranch_execz .LBB25_901
; %bb.870:                              ;   in Loop: Header=BB25_17 Depth=1
	s_mov_b32 s18, exec_lo
                                        ; implicit-def: $sgpr23
                                        ; implicit-def: $sgpr24
                                        ; implicit-def: $vgpr13
	v_cmpx_lt_i16_e32 28, v2
	s_xor_b32 s18, exec_lo, s18
	s_cbranch_execz .LBB25_886
; %bb.871:                              ;   in Loop: Header=BB25_17 Depth=1
	s_mov_b32 s25, 0
	s_mov_b32 s22, exec_lo
                                        ; implicit-def: $sgpr23
                                        ; implicit-def: $sgpr24
                                        ; implicit-def: $vgpr13
	v_cmpx_lt_i16_e32 43, v2
	s_xor_b32 s22, exec_lo, s22
	s_cbranch_execz .LBB25_881
; %bb.872:                              ;   in Loop: Header=BB25_17 Depth=1
	s_mov_b32 s24, exec_lo
                                        ; implicit-def: $sgpr23
                                        ; implicit-def: $sgpr26
                                        ; implicit-def: $vgpr13
	v_cmpx_lt_i16_e32 45, v2
	s_xor_b32 s24, exec_lo, s24
	s_cbranch_execz .LBB25_876
; %bb.873:                              ;   in Loop: Header=BB25_17 Depth=1
	s_mov_b32 s23, 0
	s_mov_b32 s26, exec_lo
                                        ; implicit-def: $vgpr13
	v_cmpx_eq_u16_e32 46, v2
	s_cbranch_execz .LBB25_875
; %bb.874:                              ;   in Loop: Header=BB25_17 Depth=1
	flat_load_b32 v0, v[0:1]
	s_mov_b32 s25, exec_lo
	s_waitcnt vmcnt(0) lgkmcnt(0)
	v_lshlrev_b32_e32 v13, 16, v0
.LBB25_875:                             ;   in Loop: Header=BB25_17 Depth=1
	s_or_b32 exec_lo, exec_lo, s26
	s_mov_b32 s26, -1
	s_and_b32 s25, s25, exec_lo
                                        ; implicit-def: $vgpr0_vgpr1
.LBB25_876:                             ;   in Loop: Header=BB25_17 Depth=1
	s_and_not1_saveexec_b32 s24, s24
	s_cbranch_execz .LBB25_880
; %bb.877:                              ;   in Loop: Header=BB25_17 Depth=1
	s_mov_b32 s28, s25
	s_mov_b32 s27, exec_lo
                                        ; implicit-def: $vgpr13
	v_cmpx_eq_u16_e32 44, v2
	s_cbranch_execz .LBB25_879
; %bb.878:                              ;   in Loop: Header=BB25_17 Depth=1
	flat_load_u8 v0, v[0:1]
	s_or_b32 s28, s25, exec_lo
	s_waitcnt vmcnt(0) lgkmcnt(0)
	v_lshlrev_b32_e32 v1, 23, v0
	v_cmp_ne_u32_e64 s0, 0xff, v0
	s_delay_alu instid0(VALU_DEP_1) | instskip(SKIP_1) | instid1(VALU_DEP_1)
	v_cndmask_b32_e64 v1, 0x7f800001, v1, s0
	v_cmp_ne_u32_e64 s0, 0, v0
	v_cndmask_b32_e64 v13, 0x400000, v1, s0
.LBB25_879:                             ;   in Loop: Header=BB25_17 Depth=1
	s_or_b32 exec_lo, exec_lo, s27
	s_delay_alu instid0(SALU_CYCLE_1)
	s_and_not1_b32 s0, s25, exec_lo
	s_and_b32 s25, s28, exec_lo
	s_and_not1_b32 s23, s23, exec_lo
	s_or_b32 s26, s26, exec_lo
	s_or_b32 s25, s0, s25
.LBB25_880:                             ;   in Loop: Header=BB25_17 Depth=1
	s_or_b32 exec_lo, exec_lo, s24
	s_delay_alu instid0(SALU_CYCLE_1)
	s_and_b32 s24, s23, exec_lo
	s_and_b32 s23, s26, exec_lo
	;; [unrolled: 1-line block ×3, first 2 shown]
                                        ; implicit-def: $vgpr0_vgpr1
.LBB25_881:                             ;   in Loop: Header=BB25_17 Depth=1
	s_and_not1_saveexec_b32 s22, s22
	s_cbranch_execz .LBB25_885
; %bb.882:                              ;   in Loop: Header=BB25_17 Depth=1
	s_mov_b32 s27, s25
	s_mov_b32 s26, exec_lo
                                        ; implicit-def: $vgpr13
	v_cmpx_eq_u16_e32 29, v2
	s_cbranch_execz .LBB25_884
; %bb.883:                              ;   in Loop: Header=BB25_17 Depth=1
	flat_load_b64 v[0:1], v[0:1]
	s_or_b32 s27, s25, exec_lo
	s_waitcnt vmcnt(0) lgkmcnt(0)
	v_clz_i32_u32_e32 v8, v1
	s_delay_alu instid0(VALU_DEP_1) | instskip(NEXT) | instid1(VALU_DEP_1)
	v_min_u32_e32 v8, 32, v8
	v_lshlrev_b64 v[0:1], v8, v[0:1]
	s_delay_alu instid0(VALU_DEP_1) | instskip(NEXT) | instid1(VALU_DEP_1)
	v_min_u32_e32 v0, 1, v0
	v_or_b32_e32 v0, v1, v0
	v_sub_nc_u32_e32 v1, 32, v8
	s_delay_alu instid0(VALU_DEP_2) | instskip(NEXT) | instid1(VALU_DEP_1)
	v_cvt_f32_u32_e32 v0, v0
	v_ldexp_f32 v13, v0, v1
.LBB25_884:                             ;   in Loop: Header=BB25_17 Depth=1
	s_or_b32 exec_lo, exec_lo, s26
	s_delay_alu instid0(SALU_CYCLE_1)
	s_and_not1_b32 s0, s25, exec_lo
	s_and_b32 s25, s27, exec_lo
	s_and_not1_b32 s24, s24, exec_lo
	s_or_b32 s23, s23, exec_lo
	s_or_b32 s25, s0, s25
.LBB25_885:                             ;   in Loop: Header=BB25_17 Depth=1
	s_or_b32 exec_lo, exec_lo, s22
	s_delay_alu instid0(SALU_CYCLE_1)
	s_and_b32 s24, s24, exec_lo
	s_and_b32 s23, s23, exec_lo
	;; [unrolled: 1-line block ×3, first 2 shown]
                                        ; implicit-def: $vgpr0_vgpr1
.LBB25_886:                             ;   in Loop: Header=BB25_17 Depth=1
	s_and_not1_saveexec_b32 s18, s18
	s_cbranch_execz .LBB25_900
; %bb.887:                              ;   in Loop: Header=BB25_17 Depth=1
	s_mov_b32 s25, exec_lo
                                        ; implicit-def: $vgpr13
	v_cmpx_lt_i16_e32 26, v2
	s_xor_b32 s25, exec_lo, s25
	s_cbranch_execz .LBB25_893
; %bb.888:                              ;   in Loop: Header=BB25_17 Depth=1
	v_cmp_lt_i16_e64 s0, 27, v2
                                        ; implicit-def: $vgpr13
	s_delay_alu instid0(VALU_DEP_1) | instskip(NEXT) | instid1(SALU_CYCLE_1)
	s_and_saveexec_b32 s26, s0
	s_xor_b32 s0, exec_lo, s26
	s_cbranch_execz .LBB25_890
; %bb.889:                              ;   in Loop: Header=BB25_17 Depth=1
	flat_load_b32 v0, v[0:1]
	s_waitcnt vmcnt(0) lgkmcnt(0)
	v_cvt_f32_u32_e32 v13, v0
                                        ; implicit-def: $vgpr0_vgpr1
.LBB25_890:                             ;   in Loop: Header=BB25_17 Depth=1
	s_and_not1_saveexec_b32 s0, s0
	s_cbranch_execz .LBB25_892
; %bb.891:                              ;   in Loop: Header=BB25_17 Depth=1
	flat_load_u16 v0, v[0:1]
	s_waitcnt vmcnt(0) lgkmcnt(0)
	v_cvt_f32_u32_e32 v13, v0
.LBB25_892:                             ;   in Loop: Header=BB25_17 Depth=1
	s_or_b32 exec_lo, exec_lo, s0
                                        ; implicit-def: $vgpr0_vgpr1
.LBB25_893:                             ;   in Loop: Header=BB25_17 Depth=1
	s_and_not1_saveexec_b32 s25, s25
	s_cbranch_execz .LBB25_899
; %bb.894:                              ;   in Loop: Header=BB25_17 Depth=1
	flat_load_u8 v0, v[0:1]
	s_mov_b32 s26, 0
	s_mov_b32 s28, exec_lo
                                        ; implicit-def: $sgpr27
	s_waitcnt vmcnt(0) lgkmcnt(0)
	v_cmpx_lt_i16_e32 0x7f, v0
	s_xor_b32 s28, exec_lo, s28
	s_cbranch_execnz .LBB25_1669
; %bb.895:                              ;   in Loop: Header=BB25_17 Depth=1
	s_or_saveexec_b32 s28, s28
	v_mov_b32_e32 v13, s27
	s_xor_b32 exec_lo, exec_lo, s28
	s_cbranch_execnz .LBB25_1672
.LBB25_896:                             ;   in Loop: Header=BB25_17 Depth=1
	s_or_b32 exec_lo, exec_lo, s28
	s_and_saveexec_b32 s27, s26
	s_cbranch_execz .LBB25_898
.LBB25_897:                             ;   in Loop: Header=BB25_17 Depth=1
	v_and_b32_e32 v1, 0xffff, v0
	v_lshlrev_b32_e32 v0, 24, v0
	s_delay_alu instid0(VALU_DEP_2) | instskip(NEXT) | instid1(VALU_DEP_2)
	v_and_b32_e32 v8, 7, v1
	v_and_b32_e32 v0, 0x80000000, v0
	s_delay_alu instid0(VALU_DEP_2) | instskip(NEXT) | instid1(VALU_DEP_1)
	v_clz_i32_u32_e32 v13, v8
	v_min_u32_e32 v13, 32, v13
	s_delay_alu instid0(VALU_DEP_1) | instskip(SKIP_1) | instid1(VALU_DEP_2)
	v_subrev_nc_u32_e32 v14, 28, v13
	v_sub_nc_u32_e32 v13, 29, v13
	v_lshlrev_b32_e32 v14, v14, v1
	v_bfe_u32 v1, v1, 3, 4
	s_delay_alu instid0(VALU_DEP_2) | instskip(NEXT) | instid1(VALU_DEP_2)
	v_and_b32_e32 v14, 7, v14
	v_cmp_eq_u32_e64 s0, 0, v1
	s_delay_alu instid0(VALU_DEP_1) | instskip(NEXT) | instid1(VALU_DEP_3)
	v_cndmask_b32_e64 v1, v1, v13, s0
	v_cndmask_b32_e64 v8, v8, v14, s0
	s_delay_alu instid0(VALU_DEP_2) | instskip(NEXT) | instid1(VALU_DEP_2)
	v_lshl_add_u32 v1, v1, 23, 0x3b800000
	v_lshlrev_b32_e32 v8, 20, v8
	s_delay_alu instid0(VALU_DEP_1)
	v_or3_b32 v13, v0, v1, v8
.LBB25_898:                             ;   in Loop: Header=BB25_17 Depth=1
	s_or_b32 exec_lo, exec_lo, s27
.LBB25_899:                             ;   in Loop: Header=BB25_17 Depth=1
	s_delay_alu instid0(SALU_CYCLE_1) | instskip(NEXT) | instid1(SALU_CYCLE_1)
	s_or_b32 exec_lo, exec_lo, s25
	s_and_not1_b32 s24, s24, exec_lo
	s_and_not1_b32 s23, s23, exec_lo
	s_or_b32 s22, s22, exec_lo
.LBB25_900:                             ;   in Loop: Header=BB25_17 Depth=1
	s_or_b32 exec_lo, exec_lo, s18
	s_delay_alu instid0(SALU_CYCLE_1)
	s_and_b32 s18, s24, exec_lo
	s_and_b32 s23, s23, exec_lo
	;; [unrolled: 1-line block ×3, first 2 shown]
                                        ; implicit-def: $vgpr0_vgpr1
.LBB25_901:                             ;   in Loop: Header=BB25_17 Depth=1
	s_and_not1_saveexec_b32 s17, s17
	s_cbranch_execz .LBB25_927
; %bb.902:                              ;   in Loop: Header=BB25_17 Depth=1
	s_mov_b32 s25, s22
	s_mov_b32 s24, exec_lo
                                        ; implicit-def: $vgpr13
	v_cmpx_lt_i16_e32 22, v2
	s_xor_b32 s24, exec_lo, s24
	s_cbranch_execz .LBB25_916
; %bb.903:                              ;   in Loop: Header=BB25_17 Depth=1
	s_mov_b32 s25, exec_lo
                                        ; implicit-def: $vgpr13
	v_cmpx_lt_i16_e32 23, v2
	s_xor_b32 s25, exec_lo, s25
	s_cbranch_execz .LBB25_913
; %bb.904:                              ;   in Loop: Header=BB25_17 Depth=1
	;; [unrolled: 6-line block ×3, first 2 shown]
	flat_load_u8 v0, v[0:1]
	s_mov_b32 s27, 0
	s_mov_b32 s29, exec_lo
                                        ; implicit-def: $sgpr28
	s_waitcnt vmcnt(0) lgkmcnt(0)
	v_cmpx_lt_i16_e32 0x7f, v0
	s_xor_b32 s29, exec_lo, s29
	s_cbranch_execnz .LBB25_1888
; %bb.906:                              ;   in Loop: Header=BB25_17 Depth=1
	s_or_saveexec_b32 s29, s29
	v_mov_b32_e32 v13, s28
	s_xor_b32 exec_lo, exec_lo, s29
	s_cbranch_execnz .LBB25_1891
.LBB25_907:                             ;   in Loop: Header=BB25_17 Depth=1
	s_or_b32 exec_lo, exec_lo, s29
	s_and_saveexec_b32 s28, s27
	s_cbranch_execz .LBB25_909
.LBB25_908:                             ;   in Loop: Header=BB25_17 Depth=1
	v_and_b32_e32 v1, 0xffff, v0
	v_lshlrev_b32_e32 v0, 24, v0
	s_delay_alu instid0(VALU_DEP_2) | instskip(NEXT) | instid1(VALU_DEP_2)
	v_and_b32_e32 v8, 3, v1
	v_and_b32_e32 v0, 0x80000000, v0
	s_delay_alu instid0(VALU_DEP_2) | instskip(NEXT) | instid1(VALU_DEP_1)
	v_clz_i32_u32_e32 v13, v8
	v_min_u32_e32 v13, 32, v13
	s_delay_alu instid0(VALU_DEP_1) | instskip(SKIP_1) | instid1(VALU_DEP_2)
	v_subrev_nc_u32_e32 v14, 29, v13
	v_sub_nc_u32_e32 v13, 30, v13
	v_lshlrev_b32_e32 v14, v14, v1
	v_bfe_u32 v1, v1, 2, 5
	s_delay_alu instid0(VALU_DEP_2) | instskip(NEXT) | instid1(VALU_DEP_2)
	v_and_b32_e32 v14, 3, v14
	v_cmp_eq_u32_e64 s0, 0, v1
	s_delay_alu instid0(VALU_DEP_1) | instskip(NEXT) | instid1(VALU_DEP_3)
	v_cndmask_b32_e64 v1, v1, v13, s0
	v_cndmask_b32_e64 v8, v8, v14, s0
	s_delay_alu instid0(VALU_DEP_2) | instskip(NEXT) | instid1(VALU_DEP_2)
	v_lshl_add_u32 v1, v1, 23, 0x37800000
	v_lshlrev_b32_e32 v8, 21, v8
	s_delay_alu instid0(VALU_DEP_1)
	v_or3_b32 v13, v0, v1, v8
.LBB25_909:                             ;   in Loop: Header=BB25_17 Depth=1
	s_or_b32 exec_lo, exec_lo, s28
                                        ; implicit-def: $vgpr0_vgpr1
.LBB25_910:                             ;   in Loop: Header=BB25_17 Depth=1
	s_and_not1_saveexec_b32 s26, s26
	s_cbranch_execz .LBB25_912
; %bb.911:                              ;   in Loop: Header=BB25_17 Depth=1
	flat_load_u8 v0, v[0:1]
	s_waitcnt vmcnt(0) lgkmcnt(0)
	v_lshlrev_b32_e32 v0, 24, v0
	s_delay_alu instid0(VALU_DEP_1) | instskip(NEXT) | instid1(VALU_DEP_1)
	v_and_b32_e32 v1, 0x7f000000, v0
	v_clz_i32_u32_e32 v8, v1
	v_add_nc_u32_e32 v14, 0x1000000, v1
	v_cmp_ne_u32_e64 s0, 0, v1
	s_delay_alu instid0(VALU_DEP_3) | instskip(NEXT) | instid1(VALU_DEP_1)
	v_min_u32_e32 v8, 32, v8
	v_sub_nc_u32_e64 v8, v8, 4 clamp
	s_delay_alu instid0(VALU_DEP_1) | instskip(SKIP_1) | instid1(VALU_DEP_2)
	v_lshlrev_b32_e32 v13, v8, v1
	v_lshlrev_b32_e32 v8, 23, v8
	v_lshrrev_b32_e32 v13, 4, v13
	s_delay_alu instid0(VALU_DEP_1) | instskip(SKIP_1) | instid1(VALU_DEP_2)
	v_sub_nc_u32_e32 v8, v13, v8
	v_ashrrev_i32_e32 v13, 8, v14
	v_add_nc_u32_e32 v8, 0x3c000000, v8
	s_delay_alu instid0(VALU_DEP_1) | instskip(NEXT) | instid1(VALU_DEP_1)
	v_and_or_b32 v8, 0x7f800000, v13, v8
	v_cndmask_b32_e64 v1, 0, v8, s0
	s_delay_alu instid0(VALU_DEP_1)
	v_and_or_b32 v13, 0x80000000, v0, v1
.LBB25_912:                             ;   in Loop: Header=BB25_17 Depth=1
	s_or_b32 exec_lo, exec_lo, s26
                                        ; implicit-def: $vgpr0_vgpr1
.LBB25_913:                             ;   in Loop: Header=BB25_17 Depth=1
	s_and_not1_saveexec_b32 s25, s25
	s_cbranch_execz .LBB25_915
; %bb.914:                              ;   in Loop: Header=BB25_17 Depth=1
	flat_load_u8 v0, v[0:1]
	s_waitcnt vmcnt(0) lgkmcnt(0)
	v_lshlrev_b32_e32 v1, 25, v0
	v_lshlrev_b16 v0, 8, v0
	s_delay_alu instid0(VALU_DEP_2) | instskip(NEXT) | instid1(VALU_DEP_2)
	v_lshrrev_b32_e32 v8, 4, v1
	v_and_or_b32 v13, 0x7f00, v0, 0.5
	v_cmp_gt_u32_e64 s0, 0x8000000, v1
	v_bfe_i32 v0, v0, 0, 16
	s_delay_alu instid0(VALU_DEP_4) | instskip(NEXT) | instid1(VALU_DEP_1)
	v_or_b32_e32 v8, 0x70000000, v8
	v_dual_add_f32 v13, -0.5, v13 :: v_dual_mul_f32 v8, 0x7800000, v8
	s_delay_alu instid0(VALU_DEP_1) | instskip(NEXT) | instid1(VALU_DEP_1)
	v_cndmask_b32_e64 v1, v8, v13, s0
	v_and_or_b32 v13, 0x80000000, v0, v1
.LBB25_915:                             ;   in Loop: Header=BB25_17 Depth=1
	s_or_b32 exec_lo, exec_lo, s25
	s_delay_alu instid0(SALU_CYCLE_1)
	s_or_b32 s25, s22, exec_lo
                                        ; implicit-def: $vgpr0_vgpr1
.LBB25_916:                             ;   in Loop: Header=BB25_17 Depth=1
	s_or_saveexec_b32 s24, s24
                                        ; implicit-def: $sgpr26
                                        ; implicit-def: $sgpr0
	s_delay_alu instid0(SALU_CYCLE_1)
	s_xor_b32 exec_lo, exec_lo, s24
	s_cbranch_execz .LBB25_926
; %bb.917:                              ;   in Loop: Header=BB25_17 Depth=1
	s_mov_b32 s27, s25
	s_mov_b32 s29, exec_lo
                                        ; implicit-def: $sgpr28
                                        ; implicit-def: $sgpr26
                                        ; implicit-def: $vgpr13
	v_cmpx_lt_i16_e32 14, v2
	s_xor_b32 s29, exec_lo, s29
	s_cbranch_execz .LBB25_921
; %bb.918:                              ;   in Loop: Header=BB25_17 Depth=1
	s_mov_b32 s27, s25
	s_mov_b32 s26, exec_lo
                                        ; implicit-def: $vgpr13
	v_cmpx_eq_u16_e32 15, v2
	s_cbranch_execz .LBB25_920
; %bb.919:                              ;   in Loop: Header=BB25_17 Depth=1
	flat_load_u16 v0, v[0:1]
	s_or_b32 s27, s25, exec_lo
	s_waitcnt vmcnt(0) lgkmcnt(0)
	v_lshlrev_b32_e32 v13, 16, v0
.LBB25_920:                             ;   in Loop: Header=BB25_17 Depth=1
	s_or_b32 exec_lo, exec_lo, s26
	s_delay_alu instid0(SALU_CYCLE_1)
	s_and_not1_b32 s0, s25, exec_lo
	s_and_b32 s27, s27, exec_lo
	s_mov_b32 s26, -1
	s_mov_b32 s28, 0
	s_or_b32 s27, s0, s27
                                        ; implicit-def: $vgpr0_vgpr1
.LBB25_921:                             ;   in Loop: Header=BB25_17 Depth=1
	s_and_not1_saveexec_b32 s29, s29
	s_cbranch_execz .LBB25_925
; %bb.922:                              ;   in Loop: Header=BB25_17 Depth=1
	s_mov_b32 vcc_hi, s27
	s_mov_b32 s30, exec_lo
                                        ; implicit-def: $vgpr13
	v_cmpx_eq_u16_e32 11, v2
	s_cbranch_execz .LBB25_924
; %bb.923:                              ;   in Loop: Header=BB25_17 Depth=1
	flat_load_u8 v0, v[0:1]
	s_or_b32 vcc_hi, s27, exec_lo
	s_waitcnt vmcnt(0) lgkmcnt(0)
	v_cmp_ne_u16_e64 s0, 0, v0
	s_delay_alu instid0(VALU_DEP_1)
	v_cndmask_b32_e64 v13, 0, 1.0, s0
.LBB25_924:                             ;   in Loop: Header=BB25_17 Depth=1
	s_or_b32 exec_lo, exec_lo, s30
	s_delay_alu instid0(SALU_CYCLE_1)
	s_and_not1_b32 s0, s27, exec_lo
	s_and_b32 s27, vcc_hi, exec_lo
	s_and_not1_b32 s28, s28, exec_lo
	s_or_b32 s26, s26, exec_lo
	s_or_b32 s27, s0, s27
.LBB25_925:                             ;   in Loop: Header=BB25_17 Depth=1
	s_or_b32 exec_lo, exec_lo, s29
	s_delay_alu instid0(SALU_CYCLE_1)
	s_and_not1_b32 s25, s25, exec_lo
	s_and_b32 s27, s27, exec_lo
	s_and_b32 s0, s28, exec_lo
	;; [unrolled: 1-line block ×3, first 2 shown]
	s_or_b32 s25, s25, s27
.LBB25_926:                             ;   in Loop: Header=BB25_17 Depth=1
	s_or_b32 exec_lo, exec_lo, s24
	s_delay_alu instid0(SALU_CYCLE_1)
	s_and_not1_b32 s18, s18, exec_lo
	s_and_b32 s0, s0, exec_lo
	s_and_not1_b32 s22, s22, exec_lo
	s_or_b32 s18, s18, s0
	s_and_not1_b32 s0, s23, exec_lo
	s_and_b32 s23, s26, exec_lo
	s_and_b32 s24, s25, exec_lo
	s_or_b32 s23, s0, s23
	s_or_b32 s22, s22, s24
.LBB25_927:                             ;   in Loop: Header=BB25_17 Depth=1
	s_or_b32 exec_lo, exec_lo, s17
	s_delay_alu instid0(SALU_CYCLE_1)
	s_and_b32 s18, s18, exec_lo
	s_and_b32 s17, s23, exec_lo
	;; [unrolled: 1-line block ×3, first 2 shown]
                                        ; implicit-def: $vgpr0_vgpr1
	s_and_not1_saveexec_b32 s21, s21
	s_cbranch_execz .LBB25_764
.LBB25_928:                             ;   in Loop: Header=BB25_17 Depth=1
	s_mov_b32 s23, exec_lo
                                        ; implicit-def: $vgpr13
	v_cmpx_lt_i16_e32 4, v2
	s_xor_b32 s23, exec_lo, s23
	s_cbranch_execz .LBB25_950
; %bb.929:                              ;   in Loop: Header=BB25_17 Depth=1
	s_mov_b32 s24, exec_lo
                                        ; implicit-def: $vgpr13
	v_cmpx_lt_i16_e32 7, v2
	s_xor_b32 s24, exec_lo, s24
	s_cbranch_execz .LBB25_939
; %bb.930:                              ;   in Loop: Header=BB25_17 Depth=1
	;; [unrolled: 6-line block ×3, first 2 shown]
	v_cmp_lt_i16_e64 s0, 9, v2
                                        ; implicit-def: $vgpr13
	s_delay_alu instid0(VALU_DEP_1) | instskip(NEXT) | instid1(SALU_CYCLE_1)
	s_and_saveexec_b32 s26, s0
	s_xor_b32 s0, exec_lo, s26
	s_cbranch_execz .LBB25_933
; %bb.932:                              ;   in Loop: Header=BB25_17 Depth=1
	flat_load_b64 v[0:1], v[0:1]
	s_waitcnt vmcnt(0) lgkmcnt(0)
	v_cvt_f32_f64_e32 v13, v[0:1]
                                        ; implicit-def: $vgpr0_vgpr1
.LBB25_933:                             ;   in Loop: Header=BB25_17 Depth=1
	s_and_not1_saveexec_b32 s0, s0
	s_cbranch_execz .LBB25_935
; %bb.934:                              ;   in Loop: Header=BB25_17 Depth=1
	flat_load_b32 v13, v[0:1]
.LBB25_935:                             ;   in Loop: Header=BB25_17 Depth=1
	s_or_b32 exec_lo, exec_lo, s0
                                        ; implicit-def: $vgpr0_vgpr1
.LBB25_936:                             ;   in Loop: Header=BB25_17 Depth=1
	s_and_not1_saveexec_b32 s0, s25
	s_cbranch_execz .LBB25_938
; %bb.937:                              ;   in Loop: Header=BB25_17 Depth=1
	flat_load_b32 v0, v[0:1]
	s_waitcnt vmcnt(0) lgkmcnt(0)
	v_cvt_f32_f16_e32 v13, v0
.LBB25_938:                             ;   in Loop: Header=BB25_17 Depth=1
	s_or_b32 exec_lo, exec_lo, s0
                                        ; implicit-def: $vgpr0_vgpr1
.LBB25_939:                             ;   in Loop: Header=BB25_17 Depth=1
	s_and_not1_saveexec_b32 s24, s24
	s_cbranch_execz .LBB25_949
; %bb.940:                              ;   in Loop: Header=BB25_17 Depth=1
	s_mov_b32 s25, exec_lo
                                        ; implicit-def: $vgpr13
	v_cmpx_lt_i16_e32 5, v2
	s_xor_b32 s25, exec_lo, s25
	s_cbranch_execz .LBB25_946
; %bb.941:                              ;   in Loop: Header=BB25_17 Depth=1
	v_cmp_lt_i16_e64 s0, 6, v2
                                        ; implicit-def: $vgpr13
	s_delay_alu instid0(VALU_DEP_1) | instskip(NEXT) | instid1(SALU_CYCLE_1)
	s_and_saveexec_b32 s26, s0
	s_xor_b32 s0, exec_lo, s26
	s_cbranch_execz .LBB25_943
; %bb.942:                              ;   in Loop: Header=BB25_17 Depth=1
	flat_load_b64 v[0:1], v[0:1]
	s_waitcnt vmcnt(0) lgkmcnt(0)
	v_cvt_f32_f64_e32 v13, v[0:1]
                                        ; implicit-def: $vgpr0_vgpr1
.LBB25_943:                             ;   in Loop: Header=BB25_17 Depth=1
	s_and_not1_saveexec_b32 s0, s0
	s_cbranch_execz .LBB25_945
; %bb.944:                              ;   in Loop: Header=BB25_17 Depth=1
	s_waitcnt vmcnt(0) lgkmcnt(0)
	flat_load_b32 v13, v[0:1]
.LBB25_945:                             ;   in Loop: Header=BB25_17 Depth=1
	s_or_b32 exec_lo, exec_lo, s0
                                        ; implicit-def: $vgpr0_vgpr1
.LBB25_946:                             ;   in Loop: Header=BB25_17 Depth=1
	s_and_not1_saveexec_b32 s0, s25
	s_cbranch_execz .LBB25_948
; %bb.947:                              ;   in Loop: Header=BB25_17 Depth=1
	flat_load_u16 v0, v[0:1]
	s_waitcnt vmcnt(0) lgkmcnt(0)
	v_cvt_f32_f16_e32 v13, v0
.LBB25_948:                             ;   in Loop: Header=BB25_17 Depth=1
	s_or_b32 exec_lo, exec_lo, s0
.LBB25_949:                             ;   in Loop: Header=BB25_17 Depth=1
	s_delay_alu instid0(SALU_CYCLE_1)
	s_or_b32 exec_lo, exec_lo, s24
                                        ; implicit-def: $vgpr0_vgpr1
.LBB25_950:                             ;   in Loop: Header=BB25_17 Depth=1
	s_and_not1_saveexec_b32 s23, s23
	s_cbranch_execz .LBB25_968
; %bb.951:                              ;   in Loop: Header=BB25_17 Depth=1
	s_mov_b32 s24, exec_lo
                                        ; implicit-def: $vgpr13
	v_cmpx_lt_i16_e32 1, v2
	s_xor_b32 s24, exec_lo, s24
	s_cbranch_execz .LBB25_961
; %bb.952:                              ;   in Loop: Header=BB25_17 Depth=1
	s_mov_b32 s25, exec_lo
                                        ; implicit-def: $vgpr13
	v_cmpx_lt_i16_e32 2, v2
	s_xor_b32 s25, exec_lo, s25
	s_cbranch_execz .LBB25_958
; %bb.953:                              ;   in Loop: Header=BB25_17 Depth=1
	v_cmp_lt_i16_e64 s0, 3, v2
                                        ; implicit-def: $vgpr13
	s_delay_alu instid0(VALU_DEP_1) | instskip(NEXT) | instid1(SALU_CYCLE_1)
	s_and_saveexec_b32 s26, s0
	s_xor_b32 s0, exec_lo, s26
	s_cbranch_execz .LBB25_955
; %bb.954:                              ;   in Loop: Header=BB25_17 Depth=1
	flat_load_b64 v[0:1], v[0:1]
	s_waitcnt vmcnt(0) lgkmcnt(0)
	v_xor_b32_e32 v8, v0, v1
	v_cls_i32_e32 v13, v1
	s_delay_alu instid0(VALU_DEP_2) | instskip(NEXT) | instid1(VALU_DEP_2)
	v_ashrrev_i32_e32 v8, 31, v8
	v_add_nc_u32_e32 v13, -1, v13
	s_delay_alu instid0(VALU_DEP_2) | instskip(NEXT) | instid1(VALU_DEP_1)
	v_add_nc_u32_e32 v8, 32, v8
	v_min_u32_e32 v8, v13, v8
	s_delay_alu instid0(VALU_DEP_1) | instskip(NEXT) | instid1(VALU_DEP_1)
	v_lshlrev_b64 v[0:1], v8, v[0:1]
	v_min_u32_e32 v0, 1, v0
	s_delay_alu instid0(VALU_DEP_1) | instskip(SKIP_1) | instid1(VALU_DEP_2)
	v_or_b32_e32 v0, v1, v0
	v_sub_nc_u32_e32 v1, 32, v8
	v_cvt_f32_i32_e32 v0, v0
	s_delay_alu instid0(VALU_DEP_1)
	v_ldexp_f32 v13, v0, v1
                                        ; implicit-def: $vgpr0_vgpr1
.LBB25_955:                             ;   in Loop: Header=BB25_17 Depth=1
	s_and_not1_saveexec_b32 s0, s0
	s_cbranch_execz .LBB25_957
; %bb.956:                              ;   in Loop: Header=BB25_17 Depth=1
	flat_load_b32 v0, v[0:1]
	s_waitcnt vmcnt(0) lgkmcnt(0)
	v_cvt_f32_i32_e32 v13, v0
.LBB25_957:                             ;   in Loop: Header=BB25_17 Depth=1
	s_or_b32 exec_lo, exec_lo, s0
                                        ; implicit-def: $vgpr0_vgpr1
.LBB25_958:                             ;   in Loop: Header=BB25_17 Depth=1
	s_and_not1_saveexec_b32 s0, s25
	s_cbranch_execz .LBB25_960
; %bb.959:                              ;   in Loop: Header=BB25_17 Depth=1
	flat_load_i16 v0, v[0:1]
	s_waitcnt vmcnt(0) lgkmcnt(0)
	v_cvt_f32_i32_e32 v13, v0
.LBB25_960:                             ;   in Loop: Header=BB25_17 Depth=1
	s_or_b32 exec_lo, exec_lo, s0
                                        ; implicit-def: $vgpr0_vgpr1
.LBB25_961:                             ;   in Loop: Header=BB25_17 Depth=1
	s_and_not1_saveexec_b32 s24, s24
	s_cbranch_execz .LBB25_967
; %bb.962:                              ;   in Loop: Header=BB25_17 Depth=1
	v_cmp_lt_i16_e64 s0, 0, v2
                                        ; implicit-def: $vgpr13
	s_delay_alu instid0(VALU_DEP_1) | instskip(NEXT) | instid1(SALU_CYCLE_1)
	s_and_saveexec_b32 s25, s0
	s_xor_b32 s0, exec_lo, s25
	s_cbranch_execz .LBB25_964
; %bb.963:                              ;   in Loop: Header=BB25_17 Depth=1
	flat_load_i8 v0, v[0:1]
	s_waitcnt vmcnt(0) lgkmcnt(0)
	v_cvt_f32_i32_e32 v13, v0
                                        ; implicit-def: $vgpr0_vgpr1
.LBB25_964:                             ;   in Loop: Header=BB25_17 Depth=1
	s_and_not1_saveexec_b32 s0, s0
	s_cbranch_execz .LBB25_966
; %bb.965:                              ;   in Loop: Header=BB25_17 Depth=1
	flat_load_u8 v0, v[0:1]
	s_waitcnt vmcnt(0) lgkmcnt(0)
	v_cvt_f32_ubyte0_e32 v13, v0
.LBB25_966:                             ;   in Loop: Header=BB25_17 Depth=1
	s_or_b32 exec_lo, exec_lo, s0
.LBB25_967:                             ;   in Loop: Header=BB25_17 Depth=1
	s_delay_alu instid0(SALU_CYCLE_1)
	s_or_b32 exec_lo, exec_lo, s24
.LBB25_968:                             ;   in Loop: Header=BB25_17 Depth=1
	s_delay_alu instid0(SALU_CYCLE_1) | instskip(NEXT) | instid1(SALU_CYCLE_1)
	s_or_b32 exec_lo, exec_lo, s23
	s_and_not1_b32 s18, s18, exec_lo
	s_and_not1_b32 s17, s17, exec_lo
	s_or_b32 s22, s22, exec_lo
	s_or_b32 exec_lo, exec_lo, s21
	s_mov_b32 s0, 0
	s_and_saveexec_b32 s21, s22
	s_cbranch_execz .LBB25_974
.LBB25_969:                             ;   in Loop: Header=BB25_17 Depth=1
	s_add_i32 s0, s33, 16
	s_mov_b32 s25, 0
	v_add_nc_u32_e64 v8, s1, s0
	s_mov_b32 s22, exec_lo
                                        ; implicit-def: $sgpr23
                                        ; implicit-def: $sgpr24
	s_delay_alu instid0(VALU_DEP_1) | instskip(SKIP_4) | instid1(VALU_DEP_2)
	v_add_nc_u32_e32 v0, 36, v8
	s_waitcnt vmcnt(0) lgkmcnt(0)
	scratch_store_b32 v0, v13, off
	v_mul_lo_u32 v0, v12, v11
	v_and_b32_e32 v13, 0xff, v9
                                        ; implicit-def: $vgpr12
	v_add_co_u32 v0, s0, v5, v0
	s_delay_alu instid0(VALU_DEP_1) | instskip(NEXT) | instid1(VALU_DEP_3)
	v_add_co_ci_u32_e64 v1, s0, 0, v6, s0
	v_cmpx_lt_i16_e32 10, v13
	s_xor_b32 s22, exec_lo, s22
	s_cbranch_execnz .LBB25_992
; %bb.970:                              ;   in Loop: Header=BB25_17 Depth=1
	s_and_not1_saveexec_b32 s22, s22
	s_cbranch_execnz .LBB25_1051
.LBB25_971:                             ;   in Loop: Header=BB25_17 Depth=1
	s_or_b32 exec_lo, exec_lo, s22
	s_mov_b32 s0, 0
	s_and_saveexec_b32 s22, s25
	s_cbranch_execz .LBB25_973
.LBB25_972:                             ;   in Loop: Header=BB25_17 Depth=1
	v_add_nc_u32_e32 v0, 32, v8
	v_add_nc_u32_e32 v7, 0x200, v7
	s_mov_b32 s0, exec_lo
	s_and_not1_b32 s24, s24, exec_lo
	s_and_not1_b32 s23, s23, exec_lo
	s_waitcnt vmcnt(0) lgkmcnt(0)
	scratch_store_b32 v0, v12, off
.LBB25_973:                             ;   in Loop: Header=BB25_17 Depth=1
	s_or_b32 exec_lo, exec_lo, s22
	s_delay_alu instid0(SALU_CYCLE_1)
	s_and_not1_b32 s18, s18, exec_lo
	s_and_b32 s22, s24, exec_lo
	s_and_not1_b32 s17, s17, exec_lo
	s_and_b32 s23, s23, exec_lo
	s_or_b32 s18, s18, s22
	s_or_b32 s17, s17, s23
	s_and_b32 s0, s0, exec_lo
.LBB25_974:                             ;   in Loop: Header=BB25_17 Depth=1
	s_or_b32 exec_lo, exec_lo, s21
	s_delay_alu instid0(SALU_CYCLE_1)
	s_and_b32 s18, s18, exec_lo
	s_and_b32 s17, s17, exec_lo
	s_or_not1_b32 s21, s0, exec_lo
.LBB25_975:                             ;   in Loop: Header=BB25_17 Depth=1
	s_or_b32 exec_lo, exec_lo, s19
	s_and_saveexec_b32 s19, s21
	s_cbranch_execz .LBB25_12
; %bb.976:                              ;   in Loop: Header=BB25_17 Depth=1
	s_mov_b32 s23, -1
	s_mov_b32 s24, -1
	s_mov_b32 s22, exec_lo
                                        ; implicit-def: $sgpr20
                                        ; implicit-def: $sgpr21
	v_cmpx_lt_i32_e64 v7, v146
	s_cbranch_execz .LBB25_1198
; %bb.977:                              ;   in Loop: Header=BB25_17 Depth=1
	s_waitcnt vmcnt(0) lgkmcnt(0)
	v_add_nc_u32_e32 v12, s38, v7
	s_mov_b32 s25, 0
	s_mov_b32 s24, exec_lo
                                        ; implicit-def: $sgpr20
                                        ; implicit-def: $sgpr21
                                        ; implicit-def: $vgpr13
	s_delay_alu instid0(VALU_DEP_1) | instskip(NEXT) | instid1(VALU_DEP_1)
	v_mul_lo_u32 v0, v12, v10
	v_add_co_u32 v0, s0, v3, v0
	s_delay_alu instid0(VALU_DEP_1)
	v_add_co_ci_u32_e64 v1, s0, 0, v4, s0
	v_cmpx_lt_i16_e32 10, v2
	s_xor_b32 s24, exec_lo, s24
	s_cbranch_execnz .LBB25_1092
; %bb.978:                              ;   in Loop: Header=BB25_17 Depth=1
	s_and_not1_saveexec_b32 s24, s24
	s_cbranch_execnz .LBB25_1151
.LBB25_979:                             ;   in Loop: Header=BB25_17 Depth=1
	s_or_b32 exec_lo, exec_lo, s24
	s_mov_b32 s0, 0
	s_and_saveexec_b32 s24, s25
	s_cbranch_execnz .LBB25_1192
	s_branch .LBB25_1197
.LBB25_980:                             ;   in Loop: Header=BB25_17 Depth=1
	s_mov_b32 s16, -1
	s_mov_b32 s19, exec_lo
                                        ; implicit-def: $sgpr17
	v_cmpx_eq_u16_e32 0x80, v0
; %bb.981:                              ;   in Loop: Header=BB25_17 Depth=1
	s_mov_b32 s17, 0x7f800001
	s_xor_b32 s16, exec_lo, -1
; %bb.982:                              ;   in Loop: Header=BB25_17 Depth=1
	s_or_b32 exec_lo, exec_lo, s19
	s_delay_alu instid0(SALU_CYCLE_1)
	s_and_b32 s16, s16, exec_lo
	s_or_saveexec_b32 s18, s18
	v_mov_b32_e32 v13, s17
	s_xor_b32 exec_lo, exec_lo, s18
	s_cbranch_execz .LBB25_59
.LBB25_983:                             ;   in Loop: Header=BB25_17 Depth=1
	v_cmp_ne_u16_e64 s0, 0, v0
	v_mov_b32_e32 v13, 0
	s_and_not1_b32 s16, s16, exec_lo
	s_delay_alu instid0(VALU_DEP_2) | instskip(NEXT) | instid1(SALU_CYCLE_1)
	s_and_b32 s0, s0, exec_lo
	s_or_b32 s16, s16, s0
	s_or_b32 exec_lo, exec_lo, s18
	s_and_saveexec_b32 s17, s16
	s_cbranch_execnz .LBB25_60
	s_branch .LBB25_61
.LBB25_984:                             ;   in Loop: Header=BB25_17 Depth=1
	s_mov_b32 s18, -1
	s_mov_b32 s21, exec_lo
                                        ; implicit-def: $sgpr19
	v_cmpx_eq_u16_e32 0x80, v0
; %bb.985:                              ;   in Loop: Header=BB25_17 Depth=1
	s_mov_b32 s19, 0x7f800001
	s_xor_b32 s18, exec_lo, -1
; %bb.986:                              ;   in Loop: Header=BB25_17 Depth=1
	s_or_b32 exec_lo, exec_lo, s21
	s_delay_alu instid0(SALU_CYCLE_1)
	s_and_b32 s18, s18, exec_lo
	s_or_saveexec_b32 s20, s20
	v_mov_b32_e32 v12, s19
	s_xor_b32 exec_lo, exec_lo, s20
	s_cbranch_execz .LBB25_159
.LBB25_987:                             ;   in Loop: Header=BB25_17 Depth=1
	v_cmp_ne_u16_e64 s0, 0, v0
	v_mov_b32_e32 v12, 0
	s_and_not1_b32 s18, s18, exec_lo
	s_delay_alu instid0(VALU_DEP_2) | instskip(NEXT) | instid1(SALU_CYCLE_1)
	s_and_b32 s0, s0, exec_lo
	s_or_b32 s18, s18, s0
	s_or_b32 exec_lo, exec_lo, s20
	s_and_saveexec_b32 s19, s18
	s_cbranch_execnz .LBB25_160
	s_branch .LBB25_161
.LBB25_988:                             ;   in Loop: Header=BB25_17 Depth=1
	s_mov_b32 s17, -1
	s_mov_b32 s20, exec_lo
                                        ; implicit-def: $sgpr18
	v_cmpx_eq_u16_e32 0x80, v0
; %bb.989:                              ;   in Loop: Header=BB25_17 Depth=1
	s_mov_b32 s18, 0x7f800001
	s_xor_b32 s17, exec_lo, -1
; %bb.990:                              ;   in Loop: Header=BB25_17 Depth=1
	s_or_b32 exec_lo, exec_lo, s20
	s_delay_alu instid0(SALU_CYCLE_1)
	s_and_b32 s17, s17, exec_lo
	s_or_saveexec_b32 s19, s19
	v_mov_b32_e32 v13, s18
	s_xor_b32 exec_lo, exec_lo, s19
	s_cbranch_execz .LBB25_259
.LBB25_991:                             ;   in Loop: Header=BB25_17 Depth=1
	v_cmp_ne_u16_e64 s0, 0, v0
	v_mov_b32_e32 v13, 0
	s_and_not1_b32 s17, s17, exec_lo
	s_delay_alu instid0(VALU_DEP_2) | instskip(NEXT) | instid1(SALU_CYCLE_1)
	s_and_b32 s0, s0, exec_lo
	s_or_b32 s17, s17, s0
	s_or_b32 exec_lo, exec_lo, s19
	s_and_saveexec_b32 s18, s17
	s_cbranch_execnz .LBB25_260
	s_branch .LBB25_261
.LBB25_992:                             ;   in Loop: Header=BB25_17 Depth=1
	s_mov_b32 s23, exec_lo
                                        ; implicit-def: $sgpr26
                                        ; implicit-def: $sgpr24
                                        ; implicit-def: $vgpr12
	v_cmpx_lt_i16_e32 25, v13
	s_xor_b32 s23, exec_lo, s23
	s_cbranch_execz .LBB25_1024
; %bb.993:                              ;   in Loop: Header=BB25_17 Depth=1
	s_mov_b32 s24, exec_lo
                                        ; implicit-def: $sgpr26
                                        ; implicit-def: $sgpr27
                                        ; implicit-def: $vgpr12
	v_cmpx_lt_i16_e32 28, v13
	s_xor_b32 s24, exec_lo, s24
	s_cbranch_execz .LBB25_1009
; %bb.994:                              ;   in Loop: Header=BB25_17 Depth=1
	s_mov_b32 s28, 0
	s_mov_b32 s25, exec_lo
                                        ; implicit-def: $sgpr26
                                        ; implicit-def: $sgpr27
                                        ; implicit-def: $vgpr12
	v_cmpx_lt_i16_e32 43, v13
	s_xor_b32 s25, exec_lo, s25
	s_cbranch_execz .LBB25_1004
; %bb.995:                              ;   in Loop: Header=BB25_17 Depth=1
	s_mov_b32 s29, exec_lo
                                        ; implicit-def: $sgpr27
                                        ; implicit-def: $sgpr26
                                        ; implicit-def: $vgpr12
	v_cmpx_lt_i16_e32 45, v13
	s_xor_b32 s29, exec_lo, s29
	s_cbranch_execz .LBB25_999
; %bb.996:                              ;   in Loop: Header=BB25_17 Depth=1
	s_mov_b32 s26, 0
	s_mov_b32 s27, exec_lo
                                        ; implicit-def: $vgpr12
	v_cmpx_eq_u16_e32 46, v13
	s_cbranch_execz .LBB25_998
; %bb.997:                              ;   in Loop: Header=BB25_17 Depth=1
	flat_load_b32 v0, v[0:1]
	s_mov_b32 s28, exec_lo
	s_waitcnt vmcnt(0) lgkmcnt(0)
	v_lshlrev_b32_e32 v12, 16, v0
.LBB25_998:                             ;   in Loop: Header=BB25_17 Depth=1
	s_or_b32 exec_lo, exec_lo, s27
	s_mov_b32 s27, -1
	s_and_b32 s28, s28, exec_lo
                                        ; implicit-def: $vgpr13
                                        ; implicit-def: $vgpr0_vgpr1
.LBB25_999:                             ;   in Loop: Header=BB25_17 Depth=1
	s_and_not1_saveexec_b32 s29, s29
	s_cbranch_execz .LBB25_1003
; %bb.1000:                             ;   in Loop: Header=BB25_17 Depth=1
	s_mov_b32 s30, s28
	s_mov_b32 vcc_hi, exec_lo
                                        ; implicit-def: $vgpr12
	v_cmpx_eq_u16_e32 44, v13
	s_cbranch_execz .LBB25_1002
; %bb.1001:                             ;   in Loop: Header=BB25_17 Depth=1
	flat_load_u8 v0, v[0:1]
	s_or_b32 s30, s28, exec_lo
	s_waitcnt vmcnt(0) lgkmcnt(0)
	v_lshlrev_b32_e32 v1, 23, v0
	v_cmp_ne_u32_e64 s0, 0xff, v0
	s_delay_alu instid0(VALU_DEP_1) | instskip(SKIP_1) | instid1(VALU_DEP_1)
	v_cndmask_b32_e64 v1, 0x7f800001, v1, s0
	v_cmp_ne_u32_e64 s0, 0, v0
	v_cndmask_b32_e64 v12, 0x400000, v1, s0
.LBB25_1002:                            ;   in Loop: Header=BB25_17 Depth=1
	s_or_b32 exec_lo, exec_lo, vcc_hi
	s_delay_alu instid0(SALU_CYCLE_1)
	s_and_not1_b32 s0, s28, exec_lo
	s_and_b32 s28, s30, exec_lo
	s_or_b32 s27, s27, exec_lo
	s_and_not1_b32 s26, s26, exec_lo
	s_or_b32 s28, s0, s28
.LBB25_1003:                            ;   in Loop: Header=BB25_17 Depth=1
	s_or_b32 exec_lo, exec_lo, s29
	s_delay_alu instid0(SALU_CYCLE_1)
	s_and_b32 s27, s27, exec_lo
	s_and_b32 s26, s26, exec_lo
	s_and_b32 s28, s28, exec_lo
                                        ; implicit-def: $vgpr13
                                        ; implicit-def: $vgpr0_vgpr1
.LBB25_1004:                            ;   in Loop: Header=BB25_17 Depth=1
	s_and_not1_saveexec_b32 s25, s25
	s_cbranch_execz .LBB25_1008
; %bb.1005:                             ;   in Loop: Header=BB25_17 Depth=1
	s_mov_b32 vcc_hi, s28
	s_mov_b32 s29, exec_lo
                                        ; implicit-def: $vgpr12
	v_cmpx_eq_u16_e32 29, v13
	s_cbranch_execz .LBB25_1007
; %bb.1006:                             ;   in Loop: Header=BB25_17 Depth=1
	flat_load_b64 v[0:1], v[0:1]
	s_or_b32 vcc_hi, s28, exec_lo
	s_waitcnt vmcnt(0) lgkmcnt(0)
	v_clz_i32_u32_e32 v12, v1
	s_delay_alu instid0(VALU_DEP_1) | instskip(NEXT) | instid1(VALU_DEP_1)
	v_min_u32_e32 v12, 32, v12
	v_lshlrev_b64 v[0:1], v12, v[0:1]
	s_delay_alu instid0(VALU_DEP_1) | instskip(NEXT) | instid1(VALU_DEP_1)
	v_min_u32_e32 v0, 1, v0
	v_or_b32_e32 v0, v1, v0
	v_sub_nc_u32_e32 v1, 32, v12
	s_delay_alu instid0(VALU_DEP_2) | instskip(NEXT) | instid1(VALU_DEP_1)
	v_cvt_f32_u32_e32 v0, v0
	v_ldexp_f32 v12, v0, v1
.LBB25_1007:                            ;   in Loop: Header=BB25_17 Depth=1
	s_or_b32 exec_lo, exec_lo, s29
	s_delay_alu instid0(SALU_CYCLE_1)
	s_and_not1_b32 s0, s28, exec_lo
	s_and_b32 s28, vcc_hi, exec_lo
	s_or_b32 s27, s27, exec_lo
	s_and_not1_b32 s26, s26, exec_lo
	s_or_b32 s28, s0, s28
.LBB25_1008:                            ;   in Loop: Header=BB25_17 Depth=1
	s_or_b32 exec_lo, exec_lo, s25
	s_delay_alu instid0(SALU_CYCLE_1)
	s_and_b32 s27, s27, exec_lo
	s_and_b32 s26, s26, exec_lo
	;; [unrolled: 1-line block ×3, first 2 shown]
                                        ; implicit-def: $vgpr13
                                        ; implicit-def: $vgpr0_vgpr1
.LBB25_1009:                            ;   in Loop: Header=BB25_17 Depth=1
	s_and_not1_saveexec_b32 s24, s24
	s_cbranch_execz .LBB25_1023
; %bb.1010:                             ;   in Loop: Header=BB25_17 Depth=1
	s_mov_b32 s28, exec_lo
                                        ; implicit-def: $vgpr12
	v_cmpx_lt_i16_e32 26, v13
	s_xor_b32 s28, exec_lo, s28
	s_cbranch_execz .LBB25_1016
; %bb.1011:                             ;   in Loop: Header=BB25_17 Depth=1
	v_cmp_lt_i16_e64 s0, 27, v13
                                        ; implicit-def: $vgpr12
	s_delay_alu instid0(VALU_DEP_1) | instskip(NEXT) | instid1(SALU_CYCLE_1)
	s_and_saveexec_b32 s29, s0
	s_xor_b32 s0, exec_lo, s29
	s_cbranch_execz .LBB25_1013
; %bb.1012:                             ;   in Loop: Header=BB25_17 Depth=1
	flat_load_b32 v0, v[0:1]
	s_waitcnt vmcnt(0) lgkmcnt(0)
	v_cvt_f32_u32_e32 v12, v0
                                        ; implicit-def: $vgpr0_vgpr1
.LBB25_1013:                            ;   in Loop: Header=BB25_17 Depth=1
	s_and_not1_saveexec_b32 s0, s0
	s_cbranch_execz .LBB25_1015
; %bb.1014:                             ;   in Loop: Header=BB25_17 Depth=1
	flat_load_u16 v0, v[0:1]
	s_waitcnt vmcnt(0) lgkmcnt(0)
	v_cvt_f32_u32_e32 v12, v0
.LBB25_1015:                            ;   in Loop: Header=BB25_17 Depth=1
	s_or_b32 exec_lo, exec_lo, s0
                                        ; implicit-def: $vgpr0_vgpr1
.LBB25_1016:                            ;   in Loop: Header=BB25_17 Depth=1
	s_and_not1_saveexec_b32 s28, s28
	s_cbranch_execz .LBB25_1022
; %bb.1017:                             ;   in Loop: Header=BB25_17 Depth=1
	flat_load_u8 v0, v[0:1]
	s_mov_b32 s29, 0
	s_mov_b32 vcc_hi, exec_lo
                                        ; implicit-def: $sgpr30
	s_waitcnt vmcnt(0) lgkmcnt(0)
	v_cmpx_lt_i16_e32 0x7f, v0
	s_xor_b32 vcc_hi, exec_lo, vcc_hi
	s_cbranch_execnz .LBB25_1892
; %bb.1018:                             ;   in Loop: Header=BB25_17 Depth=1
	s_or_saveexec_b32 vcc_hi, vcc_hi
	v_mov_b32_e32 v12, s30
	s_xor_b32 exec_lo, exec_lo, vcc_hi
	s_cbranch_execnz .LBB25_1895
.LBB25_1019:                            ;   in Loop: Header=BB25_17 Depth=1
	s_or_b32 exec_lo, exec_lo, vcc_hi
	s_and_saveexec_b32 vcc_hi, s29
	s_cbranch_execz .LBB25_1021
.LBB25_1020:                            ;   in Loop: Header=BB25_17 Depth=1
	v_and_b32_e32 v1, 0xffff, v0
	v_lshlrev_b32_e32 v0, 24, v0
	s_delay_alu instid0(VALU_DEP_2) | instskip(NEXT) | instid1(VALU_DEP_2)
	v_and_b32_e32 v12, 7, v1
	v_and_b32_e32 v0, 0x80000000, v0
	s_delay_alu instid0(VALU_DEP_2) | instskip(NEXT) | instid1(VALU_DEP_1)
	v_clz_i32_u32_e32 v13, v12
	v_min_u32_e32 v13, 32, v13
	s_delay_alu instid0(VALU_DEP_1) | instskip(SKIP_1) | instid1(VALU_DEP_2)
	v_subrev_nc_u32_e32 v14, 28, v13
	v_sub_nc_u32_e32 v13, 29, v13
	v_lshlrev_b32_e32 v14, v14, v1
	v_bfe_u32 v1, v1, 3, 4
	s_delay_alu instid0(VALU_DEP_2) | instskip(NEXT) | instid1(VALU_DEP_2)
	v_and_b32_e32 v14, 7, v14
	v_cmp_eq_u32_e64 s0, 0, v1
	s_delay_alu instid0(VALU_DEP_1) | instskip(NEXT) | instid1(VALU_DEP_3)
	v_cndmask_b32_e64 v1, v1, v13, s0
	v_cndmask_b32_e64 v12, v12, v14, s0
	s_delay_alu instid0(VALU_DEP_2) | instskip(NEXT) | instid1(VALU_DEP_2)
	v_lshl_add_u32 v1, v1, 23, 0x3b800000
	v_lshlrev_b32_e32 v12, 20, v12
	s_delay_alu instid0(VALU_DEP_1)
	v_or3_b32 v12, v0, v1, v12
.LBB25_1021:                            ;   in Loop: Header=BB25_17 Depth=1
	s_or_b32 exec_lo, exec_lo, vcc_hi
.LBB25_1022:                            ;   in Loop: Header=BB25_17 Depth=1
	s_delay_alu instid0(SALU_CYCLE_1) | instskip(NEXT) | instid1(SALU_CYCLE_1)
	s_or_b32 exec_lo, exec_lo, s28
	s_and_not1_b32 s27, s27, exec_lo
	s_and_not1_b32 s26, s26, exec_lo
	s_or_b32 s25, s25, exec_lo
.LBB25_1023:                            ;   in Loop: Header=BB25_17 Depth=1
	s_or_b32 exec_lo, exec_lo, s24
	s_delay_alu instid0(SALU_CYCLE_1)
	s_and_b32 s24, s27, exec_lo
	s_and_b32 s26, s26, exec_lo
	;; [unrolled: 1-line block ×3, first 2 shown]
                                        ; implicit-def: $vgpr13
                                        ; implicit-def: $vgpr0_vgpr1
.LBB25_1024:                            ;   in Loop: Header=BB25_17 Depth=1
	s_and_not1_saveexec_b32 s23, s23
	s_cbranch_execz .LBB25_1050
; %bb.1025:                             ;   in Loop: Header=BB25_17 Depth=1
	s_mov_b32 s28, s25
	s_mov_b32 s27, exec_lo
                                        ; implicit-def: $vgpr12
	v_cmpx_lt_i16_e32 22, v13
	s_xor_b32 s27, exec_lo, s27
	s_cbranch_execz .LBB25_1039
; %bb.1026:                             ;   in Loop: Header=BB25_17 Depth=1
	s_mov_b32 s28, exec_lo
                                        ; implicit-def: $vgpr12
	v_cmpx_lt_i16_e32 23, v13
	s_xor_b32 s28, exec_lo, s28
	s_cbranch_execz .LBB25_1036
; %bb.1027:                             ;   in Loop: Header=BB25_17 Depth=1
	;; [unrolled: 6-line block ×3, first 2 shown]
	flat_load_u8 v0, v[0:1]
	s_mov_b32 vcc_hi, 0
	s_mov_b32 s31, exec_lo
                                        ; implicit-def: $sgpr30
	s_waitcnt vmcnt(0) lgkmcnt(0)
	v_cmpx_lt_i16_e32 0x7f, v0
	s_xor_b32 s31, exec_lo, s31
	s_cbranch_execnz .LBB25_2111
; %bb.1029:                             ;   in Loop: Header=BB25_17 Depth=1
	s_or_saveexec_b32 s31, s31
	v_mov_b32_e32 v12, s30
	s_xor_b32 exec_lo, exec_lo, s31
	s_cbranch_execnz .LBB25_2114
.LBB25_1030:                            ;   in Loop: Header=BB25_17 Depth=1
	s_or_b32 exec_lo, exec_lo, s31
	s_and_saveexec_b32 s30, vcc_hi
	s_cbranch_execz .LBB25_1032
.LBB25_1031:                            ;   in Loop: Header=BB25_17 Depth=1
	v_and_b32_e32 v1, 0xffff, v0
	v_lshlrev_b32_e32 v0, 24, v0
	s_delay_alu instid0(VALU_DEP_2) | instskip(NEXT) | instid1(VALU_DEP_2)
	v_and_b32_e32 v12, 3, v1
	v_and_b32_e32 v0, 0x80000000, v0
	s_delay_alu instid0(VALU_DEP_2) | instskip(NEXT) | instid1(VALU_DEP_1)
	v_clz_i32_u32_e32 v13, v12
	v_min_u32_e32 v13, 32, v13
	s_delay_alu instid0(VALU_DEP_1) | instskip(SKIP_1) | instid1(VALU_DEP_2)
	v_subrev_nc_u32_e32 v14, 29, v13
	v_sub_nc_u32_e32 v13, 30, v13
	v_lshlrev_b32_e32 v14, v14, v1
	v_bfe_u32 v1, v1, 2, 5
	s_delay_alu instid0(VALU_DEP_2) | instskip(NEXT) | instid1(VALU_DEP_2)
	v_and_b32_e32 v14, 3, v14
	v_cmp_eq_u32_e64 s0, 0, v1
	s_delay_alu instid0(VALU_DEP_1) | instskip(NEXT) | instid1(VALU_DEP_3)
	v_cndmask_b32_e64 v1, v1, v13, s0
	v_cndmask_b32_e64 v12, v12, v14, s0
	s_delay_alu instid0(VALU_DEP_2) | instskip(NEXT) | instid1(VALU_DEP_2)
	v_lshl_add_u32 v1, v1, 23, 0x37800000
	v_lshlrev_b32_e32 v12, 21, v12
	s_delay_alu instid0(VALU_DEP_1)
	v_or3_b32 v12, v0, v1, v12
.LBB25_1032:                            ;   in Loop: Header=BB25_17 Depth=1
	s_or_b32 exec_lo, exec_lo, s30
                                        ; implicit-def: $vgpr0_vgpr1
.LBB25_1033:                            ;   in Loop: Header=BB25_17 Depth=1
	s_and_not1_saveexec_b32 s29, s29
	s_cbranch_execz .LBB25_1035
; %bb.1034:                             ;   in Loop: Header=BB25_17 Depth=1
	flat_load_u8 v0, v[0:1]
	s_waitcnt vmcnt(0) lgkmcnt(0)
	v_lshlrev_b32_e32 v0, 24, v0
	s_delay_alu instid0(VALU_DEP_1) | instskip(NEXT) | instid1(VALU_DEP_1)
	v_and_b32_e32 v1, 0x7f000000, v0
	v_clz_i32_u32_e32 v12, v1
	v_add_nc_u32_e32 v14, 0x1000000, v1
	v_cmp_ne_u32_e64 s0, 0, v1
	s_delay_alu instid0(VALU_DEP_3) | instskip(NEXT) | instid1(VALU_DEP_1)
	v_min_u32_e32 v12, 32, v12
	v_sub_nc_u32_e64 v12, v12, 4 clamp
	s_delay_alu instid0(VALU_DEP_1) | instskip(SKIP_1) | instid1(VALU_DEP_2)
	v_lshlrev_b32_e32 v13, v12, v1
	v_lshlrev_b32_e32 v12, 23, v12
	v_lshrrev_b32_e32 v13, 4, v13
	s_delay_alu instid0(VALU_DEP_1) | instskip(SKIP_1) | instid1(VALU_DEP_2)
	v_sub_nc_u32_e32 v12, v13, v12
	v_ashrrev_i32_e32 v13, 8, v14
	v_add_nc_u32_e32 v12, 0x3c000000, v12
	s_delay_alu instid0(VALU_DEP_1) | instskip(NEXT) | instid1(VALU_DEP_1)
	v_and_or_b32 v12, 0x7f800000, v13, v12
	v_cndmask_b32_e64 v1, 0, v12, s0
	s_delay_alu instid0(VALU_DEP_1)
	v_and_or_b32 v12, 0x80000000, v0, v1
.LBB25_1035:                            ;   in Loop: Header=BB25_17 Depth=1
	s_or_b32 exec_lo, exec_lo, s29
                                        ; implicit-def: $vgpr0_vgpr1
.LBB25_1036:                            ;   in Loop: Header=BB25_17 Depth=1
	s_and_not1_saveexec_b32 s28, s28
	s_cbranch_execz .LBB25_1038
; %bb.1037:                             ;   in Loop: Header=BB25_17 Depth=1
	flat_load_u8 v0, v[0:1]
	s_waitcnt vmcnt(0) lgkmcnt(0)
	v_lshlrev_b32_e32 v1, 25, v0
	v_lshlrev_b16 v0, 8, v0
	s_delay_alu instid0(VALU_DEP_2) | instskip(NEXT) | instid1(VALU_DEP_2)
	v_lshrrev_b32_e32 v12, 4, v1
	v_and_or_b32 v13, 0x7f00, v0, 0.5
	v_cmp_gt_u32_e64 s0, 0x8000000, v1
	v_bfe_i32 v0, v0, 0, 16
	s_delay_alu instid0(VALU_DEP_4) | instskip(NEXT) | instid1(VALU_DEP_1)
	v_or_b32_e32 v12, 0x70000000, v12
	v_dual_add_f32 v13, -0.5, v13 :: v_dual_mul_f32 v12, 0x7800000, v12
	s_delay_alu instid0(VALU_DEP_1) | instskip(NEXT) | instid1(VALU_DEP_1)
	v_cndmask_b32_e64 v1, v12, v13, s0
	v_and_or_b32 v12, 0x80000000, v0, v1
.LBB25_1038:                            ;   in Loop: Header=BB25_17 Depth=1
	s_or_b32 exec_lo, exec_lo, s28
	s_delay_alu instid0(SALU_CYCLE_1)
	s_or_b32 s28, s25, exec_lo
                                        ; implicit-def: $vgpr13
                                        ; implicit-def: $vgpr0_vgpr1
.LBB25_1039:                            ;   in Loop: Header=BB25_17 Depth=1
	s_or_saveexec_b32 s27, s27
                                        ; implicit-def: $sgpr29
                                        ; implicit-def: $sgpr0
	s_delay_alu instid0(SALU_CYCLE_1)
	s_xor_b32 exec_lo, exec_lo, s27
	s_cbranch_execz .LBB25_1049
; %bb.1040:                             ;   in Loop: Header=BB25_17 Depth=1
	s_mov_b32 vcc_hi, s28
	s_mov_b32 s31, exec_lo
                                        ; implicit-def: $sgpr30
                                        ; implicit-def: $sgpr29
                                        ; implicit-def: $vgpr12
	v_cmpx_lt_i16_e32 14, v13
	s_xor_b32 s31, exec_lo, s31
	s_cbranch_execz .LBB25_1044
; %bb.1041:                             ;   in Loop: Header=BB25_17 Depth=1
	s_mov_b32 vcc_hi, s28
	s_mov_b32 s29, exec_lo
                                        ; implicit-def: $vgpr12
	v_cmpx_eq_u16_e32 15, v13
	s_cbranch_execz .LBB25_1043
; %bb.1042:                             ;   in Loop: Header=BB25_17 Depth=1
	flat_load_u16 v0, v[0:1]
	s_or_b32 vcc_hi, s28, exec_lo
	s_waitcnt vmcnt(0) lgkmcnt(0)
	v_lshlrev_b32_e32 v12, 16, v0
.LBB25_1043:                            ;   in Loop: Header=BB25_17 Depth=1
	s_or_b32 exec_lo, exec_lo, s29
	s_delay_alu instid0(SALU_CYCLE_1)
	s_and_not1_b32 s0, s28, exec_lo
	s_and_b32 vcc_hi, vcc_hi, exec_lo
	s_mov_b32 s29, 0
	s_mov_b32 s30, -1
	s_or_b32 vcc_hi, s0, vcc_hi
                                        ; implicit-def: $vgpr13
                                        ; implicit-def: $vgpr0_vgpr1
.LBB25_1044:                            ;   in Loop: Header=BB25_17 Depth=1
	s_and_not1_saveexec_b32 s31, s31
	s_cbranch_execz .LBB25_1048
; %bb.1045:                             ;   in Loop: Header=BB25_17 Depth=1
	s_mov_b32 s34, vcc_hi
	s_mov_b32 s35, exec_lo
                                        ; implicit-def: $vgpr12
	v_cmpx_eq_u16_e32 11, v13
	s_cbranch_execz .LBB25_1047
; %bb.1046:                             ;   in Loop: Header=BB25_17 Depth=1
	flat_load_u8 v0, v[0:1]
	s_or_b32 s34, vcc_hi, exec_lo
	s_waitcnt vmcnt(0) lgkmcnt(0)
	v_cmp_ne_u16_e64 s0, 0, v0
	s_delay_alu instid0(VALU_DEP_1)
	v_cndmask_b32_e64 v12, 0, 1.0, s0
.LBB25_1047:                            ;   in Loop: Header=BB25_17 Depth=1
	s_or_b32 exec_lo, exec_lo, s35
	s_delay_alu instid0(SALU_CYCLE_1)
	s_and_not1_b32 s0, vcc_hi, exec_lo
	s_and_b32 vcc_hi, s34, exec_lo
	s_or_b32 s30, s30, exec_lo
	s_and_not1_b32 s29, s29, exec_lo
	s_or_b32 vcc_hi, s0, vcc_hi
.LBB25_1048:                            ;   in Loop: Header=BB25_17 Depth=1
	s_or_b32 exec_lo, exec_lo, s31
	s_delay_alu instid0(SALU_CYCLE_1)
	s_and_not1_b32 s28, s28, exec_lo
	s_and_b32 vcc_hi, vcc_hi, exec_lo
	s_and_b32 s0, s30, exec_lo
	s_and_b32 s29, s29, exec_lo
	s_or_b32 s28, s28, vcc_hi
.LBB25_1049:                            ;   in Loop: Header=BB25_17 Depth=1
	s_or_b32 exec_lo, exec_lo, s27
	s_delay_alu instid0(SALU_CYCLE_1)
	s_and_not1_b32 s24, s24, exec_lo
	s_and_b32 s0, s0, exec_lo
	s_and_not1_b32 s25, s25, exec_lo
	s_or_b32 s24, s24, s0
	s_and_not1_b32 s0, s26, exec_lo
	s_and_b32 s26, s29, exec_lo
	s_and_b32 s27, s28, exec_lo
	s_or_b32 s26, s0, s26
	s_or_b32 s25, s25, s27
.LBB25_1050:                            ;   in Loop: Header=BB25_17 Depth=1
	s_or_b32 exec_lo, exec_lo, s23
	s_delay_alu instid0(SALU_CYCLE_1)
	s_and_b32 s24, s24, exec_lo
	s_and_b32 s23, s26, exec_lo
	;; [unrolled: 1-line block ×3, first 2 shown]
                                        ; implicit-def: $vgpr13
                                        ; implicit-def: $vgpr0_vgpr1
	s_and_not1_saveexec_b32 s22, s22
	s_cbranch_execz .LBB25_971
.LBB25_1051:                            ;   in Loop: Header=BB25_17 Depth=1
	s_mov_b32 s26, exec_lo
                                        ; implicit-def: $vgpr12
	v_cmpx_lt_i16_e32 4, v13
	s_xor_b32 s26, exec_lo, s26
	s_cbranch_execz .LBB25_1073
; %bb.1052:                             ;   in Loop: Header=BB25_17 Depth=1
	s_mov_b32 s27, exec_lo
                                        ; implicit-def: $vgpr12
	v_cmpx_lt_i16_e32 7, v13
	s_xor_b32 s27, exec_lo, s27
	s_cbranch_execz .LBB25_1062
; %bb.1053:                             ;   in Loop: Header=BB25_17 Depth=1
	;; [unrolled: 6-line block ×3, first 2 shown]
	v_cmp_lt_i16_e64 s0, 9, v13
                                        ; implicit-def: $vgpr12
	s_delay_alu instid0(VALU_DEP_1) | instskip(NEXT) | instid1(SALU_CYCLE_1)
	s_and_saveexec_b32 s29, s0
	s_xor_b32 s0, exec_lo, s29
	s_cbranch_execz .LBB25_1056
; %bb.1055:                             ;   in Loop: Header=BB25_17 Depth=1
	flat_load_b64 v[0:1], v[0:1]
	s_waitcnt vmcnt(0) lgkmcnt(0)
	v_cvt_f32_f64_e32 v12, v[0:1]
                                        ; implicit-def: $vgpr0_vgpr1
.LBB25_1056:                            ;   in Loop: Header=BB25_17 Depth=1
	s_and_not1_saveexec_b32 s0, s0
	s_cbranch_execz .LBB25_1058
; %bb.1057:                             ;   in Loop: Header=BB25_17 Depth=1
	flat_load_b32 v12, v[0:1]
.LBB25_1058:                            ;   in Loop: Header=BB25_17 Depth=1
	s_or_b32 exec_lo, exec_lo, s0
                                        ; implicit-def: $vgpr0_vgpr1
.LBB25_1059:                            ;   in Loop: Header=BB25_17 Depth=1
	s_and_not1_saveexec_b32 s0, s28
	s_cbranch_execz .LBB25_1061
; %bb.1060:                             ;   in Loop: Header=BB25_17 Depth=1
	flat_load_b32 v0, v[0:1]
	s_waitcnt vmcnt(0) lgkmcnt(0)
	v_cvt_f32_f16_e32 v12, v0
.LBB25_1061:                            ;   in Loop: Header=BB25_17 Depth=1
	s_or_b32 exec_lo, exec_lo, s0
                                        ; implicit-def: $vgpr0_vgpr1
                                        ; implicit-def: $vgpr13
.LBB25_1062:                            ;   in Loop: Header=BB25_17 Depth=1
	s_and_not1_saveexec_b32 s27, s27
	s_cbranch_execz .LBB25_1072
; %bb.1063:                             ;   in Loop: Header=BB25_17 Depth=1
	s_mov_b32 s28, exec_lo
                                        ; implicit-def: $vgpr12
	v_cmpx_lt_i16_e32 5, v13
	s_xor_b32 s28, exec_lo, s28
	s_cbranch_execz .LBB25_1069
; %bb.1064:                             ;   in Loop: Header=BB25_17 Depth=1
	v_cmp_lt_i16_e64 s0, 6, v13
                                        ; implicit-def: $vgpr12
	s_delay_alu instid0(VALU_DEP_1) | instskip(NEXT) | instid1(SALU_CYCLE_1)
	s_and_saveexec_b32 s29, s0
	s_xor_b32 s0, exec_lo, s29
	s_cbranch_execz .LBB25_1066
; %bb.1065:                             ;   in Loop: Header=BB25_17 Depth=1
	flat_load_b64 v[0:1], v[0:1]
	s_waitcnt vmcnt(0) lgkmcnt(0)
	v_cvt_f32_f64_e32 v12, v[0:1]
                                        ; implicit-def: $vgpr0_vgpr1
.LBB25_1066:                            ;   in Loop: Header=BB25_17 Depth=1
	s_and_not1_saveexec_b32 s0, s0
	s_cbranch_execz .LBB25_1068
; %bb.1067:                             ;   in Loop: Header=BB25_17 Depth=1
	s_waitcnt vmcnt(0) lgkmcnt(0)
	flat_load_b32 v12, v[0:1]
.LBB25_1068:                            ;   in Loop: Header=BB25_17 Depth=1
	s_or_b32 exec_lo, exec_lo, s0
                                        ; implicit-def: $vgpr0_vgpr1
.LBB25_1069:                            ;   in Loop: Header=BB25_17 Depth=1
	s_and_not1_saveexec_b32 s0, s28
	s_cbranch_execz .LBB25_1071
; %bb.1070:                             ;   in Loop: Header=BB25_17 Depth=1
	flat_load_u16 v0, v[0:1]
	s_waitcnt vmcnt(0) lgkmcnt(0)
	v_cvt_f32_f16_e32 v12, v0
.LBB25_1071:                            ;   in Loop: Header=BB25_17 Depth=1
	s_or_b32 exec_lo, exec_lo, s0
.LBB25_1072:                            ;   in Loop: Header=BB25_17 Depth=1
	s_delay_alu instid0(SALU_CYCLE_1)
	s_or_b32 exec_lo, exec_lo, s27
                                        ; implicit-def: $vgpr13
                                        ; implicit-def: $vgpr0_vgpr1
.LBB25_1073:                            ;   in Loop: Header=BB25_17 Depth=1
	s_and_not1_saveexec_b32 s26, s26
	s_cbranch_execz .LBB25_1091
; %bb.1074:                             ;   in Loop: Header=BB25_17 Depth=1
	s_mov_b32 s27, exec_lo
                                        ; implicit-def: $vgpr12
	v_cmpx_lt_i16_e32 1, v13
	s_xor_b32 s27, exec_lo, s27
	s_cbranch_execz .LBB25_1084
; %bb.1075:                             ;   in Loop: Header=BB25_17 Depth=1
	s_mov_b32 s28, exec_lo
                                        ; implicit-def: $vgpr12
	v_cmpx_lt_i16_e32 2, v13
	s_xor_b32 s28, exec_lo, s28
	s_cbranch_execz .LBB25_1081
; %bb.1076:                             ;   in Loop: Header=BB25_17 Depth=1
	v_cmp_lt_i16_e64 s0, 3, v13
                                        ; implicit-def: $vgpr12
	s_delay_alu instid0(VALU_DEP_1) | instskip(NEXT) | instid1(SALU_CYCLE_1)
	s_and_saveexec_b32 s29, s0
	s_xor_b32 s0, exec_lo, s29
	s_cbranch_execz .LBB25_1078
; %bb.1077:                             ;   in Loop: Header=BB25_17 Depth=1
	flat_load_b64 v[0:1], v[0:1]
	s_waitcnt vmcnt(0) lgkmcnt(0)
	v_xor_b32_e32 v12, v0, v1
	v_cls_i32_e32 v13, v1
	s_delay_alu instid0(VALU_DEP_2) | instskip(NEXT) | instid1(VALU_DEP_2)
	v_ashrrev_i32_e32 v12, 31, v12
	v_add_nc_u32_e32 v13, -1, v13
	s_delay_alu instid0(VALU_DEP_2) | instskip(NEXT) | instid1(VALU_DEP_1)
	v_add_nc_u32_e32 v12, 32, v12
	v_min_u32_e32 v12, v13, v12
	s_delay_alu instid0(VALU_DEP_1) | instskip(NEXT) | instid1(VALU_DEP_1)
	v_lshlrev_b64 v[0:1], v12, v[0:1]
	v_min_u32_e32 v0, 1, v0
	s_delay_alu instid0(VALU_DEP_1) | instskip(SKIP_1) | instid1(VALU_DEP_2)
	v_or_b32_e32 v0, v1, v0
	v_sub_nc_u32_e32 v1, 32, v12
	v_cvt_f32_i32_e32 v0, v0
	s_delay_alu instid0(VALU_DEP_1)
	v_ldexp_f32 v12, v0, v1
                                        ; implicit-def: $vgpr0_vgpr1
.LBB25_1078:                            ;   in Loop: Header=BB25_17 Depth=1
	s_and_not1_saveexec_b32 s0, s0
	s_cbranch_execz .LBB25_1080
; %bb.1079:                             ;   in Loop: Header=BB25_17 Depth=1
	flat_load_b32 v0, v[0:1]
	s_waitcnt vmcnt(0) lgkmcnt(0)
	v_cvt_f32_i32_e32 v12, v0
.LBB25_1080:                            ;   in Loop: Header=BB25_17 Depth=1
	s_or_b32 exec_lo, exec_lo, s0
                                        ; implicit-def: $vgpr0_vgpr1
.LBB25_1081:                            ;   in Loop: Header=BB25_17 Depth=1
	s_and_not1_saveexec_b32 s0, s28
	s_cbranch_execz .LBB25_1083
; %bb.1082:                             ;   in Loop: Header=BB25_17 Depth=1
	flat_load_i16 v0, v[0:1]
	s_waitcnt vmcnt(0) lgkmcnt(0)
	v_cvt_f32_i32_e32 v12, v0
.LBB25_1083:                            ;   in Loop: Header=BB25_17 Depth=1
	s_or_b32 exec_lo, exec_lo, s0
                                        ; implicit-def: $vgpr0_vgpr1
                                        ; implicit-def: $vgpr13
.LBB25_1084:                            ;   in Loop: Header=BB25_17 Depth=1
	s_and_not1_saveexec_b32 s27, s27
	s_cbranch_execz .LBB25_1090
; %bb.1085:                             ;   in Loop: Header=BB25_17 Depth=1
	v_cmp_lt_i16_e64 s0, 0, v13
                                        ; implicit-def: $vgpr12
	s_delay_alu instid0(VALU_DEP_1) | instskip(NEXT) | instid1(SALU_CYCLE_1)
	s_and_saveexec_b32 s28, s0
	s_xor_b32 s0, exec_lo, s28
	s_cbranch_execz .LBB25_1087
; %bb.1086:                             ;   in Loop: Header=BB25_17 Depth=1
	flat_load_i8 v0, v[0:1]
	s_waitcnt vmcnt(0) lgkmcnt(0)
	v_cvt_f32_i32_e32 v12, v0
                                        ; implicit-def: $vgpr0_vgpr1
.LBB25_1087:                            ;   in Loop: Header=BB25_17 Depth=1
	s_and_not1_saveexec_b32 s0, s0
	s_cbranch_execz .LBB25_1089
; %bb.1088:                             ;   in Loop: Header=BB25_17 Depth=1
	flat_load_u8 v0, v[0:1]
	s_waitcnt vmcnt(0) lgkmcnt(0)
	v_cvt_f32_ubyte0_e32 v12, v0
.LBB25_1089:                            ;   in Loop: Header=BB25_17 Depth=1
	s_or_b32 exec_lo, exec_lo, s0
.LBB25_1090:                            ;   in Loop: Header=BB25_17 Depth=1
	s_delay_alu instid0(SALU_CYCLE_1)
	s_or_b32 exec_lo, exec_lo, s27
.LBB25_1091:                            ;   in Loop: Header=BB25_17 Depth=1
	s_delay_alu instid0(SALU_CYCLE_1) | instskip(NEXT) | instid1(SALU_CYCLE_1)
	s_or_b32 exec_lo, exec_lo, s26
	s_and_not1_b32 s24, s24, exec_lo
	s_and_not1_b32 s23, s23, exec_lo
	s_or_b32 s25, s25, exec_lo
	s_or_b32 exec_lo, exec_lo, s22
	s_mov_b32 s0, 0
	s_and_saveexec_b32 s22, s25
	s_cbranch_execnz .LBB25_972
	s_branch .LBB25_973
.LBB25_1092:                            ;   in Loop: Header=BB25_17 Depth=1
	s_mov_b32 s20, exec_lo
                                        ; implicit-def: $sgpr26
                                        ; implicit-def: $sgpr21
                                        ; implicit-def: $vgpr13
	v_cmpx_lt_i16_e32 25, v2
	s_xor_b32 s20, exec_lo, s20
	s_cbranch_execz .LBB25_1124
; %bb.1093:                             ;   in Loop: Header=BB25_17 Depth=1
	s_mov_b32 s21, exec_lo
                                        ; implicit-def: $sgpr26
                                        ; implicit-def: $sgpr27
                                        ; implicit-def: $vgpr13
	v_cmpx_lt_i16_e32 28, v2
	s_xor_b32 s21, exec_lo, s21
	s_cbranch_execz .LBB25_1109
; %bb.1094:                             ;   in Loop: Header=BB25_17 Depth=1
	s_mov_b32 s28, 0
	s_mov_b32 s25, exec_lo
                                        ; implicit-def: $sgpr26
                                        ; implicit-def: $sgpr27
                                        ; implicit-def: $vgpr13
	v_cmpx_lt_i16_e32 43, v2
	s_xor_b32 s25, exec_lo, s25
	s_cbranch_execz .LBB25_1104
; %bb.1095:                             ;   in Loop: Header=BB25_17 Depth=1
	s_mov_b32 s27, exec_lo
                                        ; implicit-def: $sgpr26
                                        ; implicit-def: $sgpr29
                                        ; implicit-def: $vgpr13
	v_cmpx_lt_i16_e32 45, v2
	s_xor_b32 s27, exec_lo, s27
	s_cbranch_execz .LBB25_1099
; %bb.1096:                             ;   in Loop: Header=BB25_17 Depth=1
	s_mov_b32 s26, 0
	s_mov_b32 s29, exec_lo
                                        ; implicit-def: $vgpr13
	v_cmpx_eq_u16_e32 46, v2
	s_cbranch_execz .LBB25_1098
; %bb.1097:                             ;   in Loop: Header=BB25_17 Depth=1
	flat_load_b32 v0, v[0:1]
	s_mov_b32 s28, exec_lo
	s_waitcnt vmcnt(0) lgkmcnt(0)
	v_lshlrev_b32_e32 v13, 16, v0
.LBB25_1098:                            ;   in Loop: Header=BB25_17 Depth=1
	s_or_b32 exec_lo, exec_lo, s29
	s_mov_b32 s29, -1
	s_and_b32 s28, s28, exec_lo
                                        ; implicit-def: $vgpr0_vgpr1
.LBB25_1099:                            ;   in Loop: Header=BB25_17 Depth=1
	s_and_not1_saveexec_b32 s27, s27
	s_cbranch_execz .LBB25_1103
; %bb.1100:                             ;   in Loop: Header=BB25_17 Depth=1
	s_mov_b32 s30, s28
	s_mov_b32 vcc_hi, exec_lo
                                        ; implicit-def: $vgpr13
	v_cmpx_eq_u16_e32 44, v2
	s_cbranch_execz .LBB25_1102
; %bb.1101:                             ;   in Loop: Header=BB25_17 Depth=1
	flat_load_u8 v0, v[0:1]
	s_or_b32 s30, s28, exec_lo
	s_waitcnt vmcnt(0) lgkmcnt(0)
	v_lshlrev_b32_e32 v1, 23, v0
	v_cmp_ne_u32_e64 s0, 0xff, v0
	s_delay_alu instid0(VALU_DEP_1) | instskip(SKIP_1) | instid1(VALU_DEP_1)
	v_cndmask_b32_e64 v1, 0x7f800001, v1, s0
	v_cmp_ne_u32_e64 s0, 0, v0
	v_cndmask_b32_e64 v13, 0x400000, v1, s0
.LBB25_1102:                            ;   in Loop: Header=BB25_17 Depth=1
	s_or_b32 exec_lo, exec_lo, vcc_hi
	s_delay_alu instid0(SALU_CYCLE_1)
	s_and_not1_b32 s0, s28, exec_lo
	s_and_b32 s28, s30, exec_lo
	s_and_not1_b32 s26, s26, exec_lo
	s_or_b32 s29, s29, exec_lo
	s_or_b32 s28, s0, s28
.LBB25_1103:                            ;   in Loop: Header=BB25_17 Depth=1
	s_or_b32 exec_lo, exec_lo, s27
	s_delay_alu instid0(SALU_CYCLE_1)
	s_and_b32 s27, s26, exec_lo
	s_and_b32 s26, s29, exec_lo
	;; [unrolled: 1-line block ×3, first 2 shown]
                                        ; implicit-def: $vgpr0_vgpr1
.LBB25_1104:                            ;   in Loop: Header=BB25_17 Depth=1
	s_and_not1_saveexec_b32 s25, s25
	s_cbranch_execz .LBB25_1108
; %bb.1105:                             ;   in Loop: Header=BB25_17 Depth=1
	s_mov_b32 vcc_hi, s28
	s_mov_b32 s29, exec_lo
                                        ; implicit-def: $vgpr13
	v_cmpx_eq_u16_e32 29, v2
	s_cbranch_execz .LBB25_1107
; %bb.1106:                             ;   in Loop: Header=BB25_17 Depth=1
	flat_load_b64 v[0:1], v[0:1]
	s_or_b32 vcc_hi, s28, exec_lo
	s_waitcnt vmcnt(0) lgkmcnt(0)
	v_clz_i32_u32_e32 v8, v1
	s_delay_alu instid0(VALU_DEP_1) | instskip(NEXT) | instid1(VALU_DEP_1)
	v_min_u32_e32 v8, 32, v8
	v_lshlrev_b64 v[0:1], v8, v[0:1]
	s_delay_alu instid0(VALU_DEP_1) | instskip(NEXT) | instid1(VALU_DEP_1)
	v_min_u32_e32 v0, 1, v0
	v_or_b32_e32 v0, v1, v0
	v_sub_nc_u32_e32 v1, 32, v8
	s_delay_alu instid0(VALU_DEP_2) | instskip(NEXT) | instid1(VALU_DEP_1)
	v_cvt_f32_u32_e32 v0, v0
	v_ldexp_f32 v13, v0, v1
.LBB25_1107:                            ;   in Loop: Header=BB25_17 Depth=1
	s_or_b32 exec_lo, exec_lo, s29
	s_delay_alu instid0(SALU_CYCLE_1)
	s_and_not1_b32 s0, s28, exec_lo
	s_and_b32 s28, vcc_hi, exec_lo
	s_and_not1_b32 s27, s27, exec_lo
	s_or_b32 s26, s26, exec_lo
	s_or_b32 s28, s0, s28
.LBB25_1108:                            ;   in Loop: Header=BB25_17 Depth=1
	s_or_b32 exec_lo, exec_lo, s25
	s_delay_alu instid0(SALU_CYCLE_1)
	s_and_b32 s27, s27, exec_lo
	s_and_b32 s26, s26, exec_lo
	;; [unrolled: 1-line block ×3, first 2 shown]
                                        ; implicit-def: $vgpr0_vgpr1
.LBB25_1109:                            ;   in Loop: Header=BB25_17 Depth=1
	s_and_not1_saveexec_b32 s21, s21
	s_cbranch_execz .LBB25_1123
; %bb.1110:                             ;   in Loop: Header=BB25_17 Depth=1
	s_mov_b32 s28, exec_lo
                                        ; implicit-def: $vgpr13
	v_cmpx_lt_i16_e32 26, v2
	s_xor_b32 s28, exec_lo, s28
	s_cbranch_execz .LBB25_1116
; %bb.1111:                             ;   in Loop: Header=BB25_17 Depth=1
	v_cmp_lt_i16_e64 s0, 27, v2
                                        ; implicit-def: $vgpr13
	s_delay_alu instid0(VALU_DEP_1) | instskip(NEXT) | instid1(SALU_CYCLE_1)
	s_and_saveexec_b32 s29, s0
	s_xor_b32 s0, exec_lo, s29
	s_cbranch_execz .LBB25_1113
; %bb.1112:                             ;   in Loop: Header=BB25_17 Depth=1
	flat_load_b32 v0, v[0:1]
	s_waitcnt vmcnt(0) lgkmcnt(0)
	v_cvt_f32_u32_e32 v13, v0
                                        ; implicit-def: $vgpr0_vgpr1
.LBB25_1113:                            ;   in Loop: Header=BB25_17 Depth=1
	s_and_not1_saveexec_b32 s0, s0
	s_cbranch_execz .LBB25_1115
; %bb.1114:                             ;   in Loop: Header=BB25_17 Depth=1
	flat_load_u16 v0, v[0:1]
	s_waitcnt vmcnt(0) lgkmcnt(0)
	v_cvt_f32_u32_e32 v13, v0
.LBB25_1115:                            ;   in Loop: Header=BB25_17 Depth=1
	s_or_b32 exec_lo, exec_lo, s0
                                        ; implicit-def: $vgpr0_vgpr1
.LBB25_1116:                            ;   in Loop: Header=BB25_17 Depth=1
	s_and_not1_saveexec_b32 s28, s28
	s_cbranch_execz .LBB25_1122
; %bb.1117:                             ;   in Loop: Header=BB25_17 Depth=1
	flat_load_u8 v0, v[0:1]
	s_mov_b32 s29, 0
	s_mov_b32 vcc_hi, exec_lo
                                        ; implicit-def: $sgpr30
	s_waitcnt vmcnt(0) lgkmcnt(0)
	v_cmpx_lt_i16_e32 0x7f, v0
	s_xor_b32 vcc_hi, exec_lo, vcc_hi
	s_cbranch_execnz .LBB25_1896
; %bb.1118:                             ;   in Loop: Header=BB25_17 Depth=1
	s_or_saveexec_b32 vcc_hi, vcc_hi
	v_mov_b32_e32 v13, s30
	s_xor_b32 exec_lo, exec_lo, vcc_hi
	s_cbranch_execnz .LBB25_1899
.LBB25_1119:                            ;   in Loop: Header=BB25_17 Depth=1
	s_or_b32 exec_lo, exec_lo, vcc_hi
	s_and_saveexec_b32 vcc_hi, s29
	s_cbranch_execz .LBB25_1121
.LBB25_1120:                            ;   in Loop: Header=BB25_17 Depth=1
	v_and_b32_e32 v1, 0xffff, v0
	v_lshlrev_b32_e32 v0, 24, v0
	s_delay_alu instid0(VALU_DEP_2) | instskip(NEXT) | instid1(VALU_DEP_2)
	v_and_b32_e32 v8, 7, v1
	v_and_b32_e32 v0, 0x80000000, v0
	s_delay_alu instid0(VALU_DEP_2) | instskip(NEXT) | instid1(VALU_DEP_1)
	v_clz_i32_u32_e32 v13, v8
	v_min_u32_e32 v13, 32, v13
	s_delay_alu instid0(VALU_DEP_1) | instskip(SKIP_1) | instid1(VALU_DEP_2)
	v_subrev_nc_u32_e32 v14, 28, v13
	v_sub_nc_u32_e32 v13, 29, v13
	v_lshlrev_b32_e32 v14, v14, v1
	v_bfe_u32 v1, v1, 3, 4
	s_delay_alu instid0(VALU_DEP_2) | instskip(NEXT) | instid1(VALU_DEP_2)
	v_and_b32_e32 v14, 7, v14
	v_cmp_eq_u32_e64 s0, 0, v1
	s_delay_alu instid0(VALU_DEP_1) | instskip(NEXT) | instid1(VALU_DEP_3)
	v_cndmask_b32_e64 v1, v1, v13, s0
	v_cndmask_b32_e64 v8, v8, v14, s0
	s_delay_alu instid0(VALU_DEP_2) | instskip(NEXT) | instid1(VALU_DEP_2)
	v_lshl_add_u32 v1, v1, 23, 0x3b800000
	v_lshlrev_b32_e32 v8, 20, v8
	s_delay_alu instid0(VALU_DEP_1)
	v_or3_b32 v13, v0, v1, v8
.LBB25_1121:                            ;   in Loop: Header=BB25_17 Depth=1
	s_or_b32 exec_lo, exec_lo, vcc_hi
.LBB25_1122:                            ;   in Loop: Header=BB25_17 Depth=1
	s_delay_alu instid0(SALU_CYCLE_1) | instskip(NEXT) | instid1(SALU_CYCLE_1)
	s_or_b32 exec_lo, exec_lo, s28
	s_and_not1_b32 s27, s27, exec_lo
	s_and_not1_b32 s26, s26, exec_lo
	s_or_b32 s25, s25, exec_lo
.LBB25_1123:                            ;   in Loop: Header=BB25_17 Depth=1
	s_or_b32 exec_lo, exec_lo, s21
	s_delay_alu instid0(SALU_CYCLE_1)
	s_and_b32 s21, s27, exec_lo
	s_and_b32 s26, s26, exec_lo
	;; [unrolled: 1-line block ×3, first 2 shown]
                                        ; implicit-def: $vgpr0_vgpr1
.LBB25_1124:                            ;   in Loop: Header=BB25_17 Depth=1
	s_and_not1_saveexec_b32 s20, s20
	s_cbranch_execz .LBB25_1150
; %bb.1125:                             ;   in Loop: Header=BB25_17 Depth=1
	s_mov_b32 s28, s25
	s_mov_b32 s27, exec_lo
                                        ; implicit-def: $vgpr13
	v_cmpx_lt_i16_e32 22, v2
	s_xor_b32 s27, exec_lo, s27
	s_cbranch_execz .LBB25_1139
; %bb.1126:                             ;   in Loop: Header=BB25_17 Depth=1
	s_mov_b32 s28, exec_lo
                                        ; implicit-def: $vgpr13
	v_cmpx_lt_i16_e32 23, v2
	s_xor_b32 s28, exec_lo, s28
	s_cbranch_execz .LBB25_1136
; %bb.1127:                             ;   in Loop: Header=BB25_17 Depth=1
	;; [unrolled: 6-line block ×3, first 2 shown]
	flat_load_u8 v0, v[0:1]
	s_mov_b32 vcc_hi, 0
	s_mov_b32 s31, exec_lo
                                        ; implicit-def: $sgpr30
	s_waitcnt vmcnt(0) lgkmcnt(0)
	v_cmpx_lt_i16_e32 0x7f, v0
	s_xor_b32 s31, exec_lo, s31
	s_cbranch_execnz .LBB25_2115
; %bb.1129:                             ;   in Loop: Header=BB25_17 Depth=1
	s_or_saveexec_b32 s31, s31
	v_mov_b32_e32 v13, s30
	s_xor_b32 exec_lo, exec_lo, s31
	s_cbranch_execnz .LBB25_2118
.LBB25_1130:                            ;   in Loop: Header=BB25_17 Depth=1
	s_or_b32 exec_lo, exec_lo, s31
	s_and_saveexec_b32 s30, vcc_hi
	s_cbranch_execz .LBB25_1132
.LBB25_1131:                            ;   in Loop: Header=BB25_17 Depth=1
	v_and_b32_e32 v1, 0xffff, v0
	v_lshlrev_b32_e32 v0, 24, v0
	s_delay_alu instid0(VALU_DEP_2) | instskip(NEXT) | instid1(VALU_DEP_2)
	v_and_b32_e32 v8, 3, v1
	v_and_b32_e32 v0, 0x80000000, v0
	s_delay_alu instid0(VALU_DEP_2) | instskip(NEXT) | instid1(VALU_DEP_1)
	v_clz_i32_u32_e32 v13, v8
	v_min_u32_e32 v13, 32, v13
	s_delay_alu instid0(VALU_DEP_1) | instskip(SKIP_1) | instid1(VALU_DEP_2)
	v_subrev_nc_u32_e32 v14, 29, v13
	v_sub_nc_u32_e32 v13, 30, v13
	v_lshlrev_b32_e32 v14, v14, v1
	v_bfe_u32 v1, v1, 2, 5
	s_delay_alu instid0(VALU_DEP_2) | instskip(NEXT) | instid1(VALU_DEP_2)
	v_and_b32_e32 v14, 3, v14
	v_cmp_eq_u32_e64 s0, 0, v1
	s_delay_alu instid0(VALU_DEP_1) | instskip(NEXT) | instid1(VALU_DEP_3)
	v_cndmask_b32_e64 v1, v1, v13, s0
	v_cndmask_b32_e64 v8, v8, v14, s0
	s_delay_alu instid0(VALU_DEP_2) | instskip(NEXT) | instid1(VALU_DEP_2)
	v_lshl_add_u32 v1, v1, 23, 0x37800000
	v_lshlrev_b32_e32 v8, 21, v8
	s_delay_alu instid0(VALU_DEP_1)
	v_or3_b32 v13, v0, v1, v8
.LBB25_1132:                            ;   in Loop: Header=BB25_17 Depth=1
	s_or_b32 exec_lo, exec_lo, s30
                                        ; implicit-def: $vgpr0_vgpr1
.LBB25_1133:                            ;   in Loop: Header=BB25_17 Depth=1
	s_and_not1_saveexec_b32 s29, s29
	s_cbranch_execz .LBB25_1135
; %bb.1134:                             ;   in Loop: Header=BB25_17 Depth=1
	flat_load_u8 v0, v[0:1]
	s_waitcnt vmcnt(0) lgkmcnt(0)
	v_lshlrev_b32_e32 v0, 24, v0
	s_delay_alu instid0(VALU_DEP_1) | instskip(NEXT) | instid1(VALU_DEP_1)
	v_and_b32_e32 v1, 0x7f000000, v0
	v_clz_i32_u32_e32 v8, v1
	v_add_nc_u32_e32 v14, 0x1000000, v1
	v_cmp_ne_u32_e64 s0, 0, v1
	s_delay_alu instid0(VALU_DEP_3) | instskip(NEXT) | instid1(VALU_DEP_1)
	v_min_u32_e32 v8, 32, v8
	v_sub_nc_u32_e64 v8, v8, 4 clamp
	s_delay_alu instid0(VALU_DEP_1) | instskip(SKIP_1) | instid1(VALU_DEP_2)
	v_lshlrev_b32_e32 v13, v8, v1
	v_lshlrev_b32_e32 v8, 23, v8
	v_lshrrev_b32_e32 v13, 4, v13
	s_delay_alu instid0(VALU_DEP_1) | instskip(SKIP_1) | instid1(VALU_DEP_2)
	v_sub_nc_u32_e32 v8, v13, v8
	v_ashrrev_i32_e32 v13, 8, v14
	v_add_nc_u32_e32 v8, 0x3c000000, v8
	s_delay_alu instid0(VALU_DEP_1) | instskip(NEXT) | instid1(VALU_DEP_1)
	v_and_or_b32 v8, 0x7f800000, v13, v8
	v_cndmask_b32_e64 v1, 0, v8, s0
	s_delay_alu instid0(VALU_DEP_1)
	v_and_or_b32 v13, 0x80000000, v0, v1
.LBB25_1135:                            ;   in Loop: Header=BB25_17 Depth=1
	s_or_b32 exec_lo, exec_lo, s29
                                        ; implicit-def: $vgpr0_vgpr1
.LBB25_1136:                            ;   in Loop: Header=BB25_17 Depth=1
	s_and_not1_saveexec_b32 s28, s28
	s_cbranch_execz .LBB25_1138
; %bb.1137:                             ;   in Loop: Header=BB25_17 Depth=1
	flat_load_u8 v0, v[0:1]
	s_waitcnt vmcnt(0) lgkmcnt(0)
	v_lshlrev_b32_e32 v1, 25, v0
	v_lshlrev_b16 v0, 8, v0
	s_delay_alu instid0(VALU_DEP_2) | instskip(NEXT) | instid1(VALU_DEP_2)
	v_lshrrev_b32_e32 v8, 4, v1
	v_and_or_b32 v13, 0x7f00, v0, 0.5
	v_cmp_gt_u32_e64 s0, 0x8000000, v1
	v_bfe_i32 v0, v0, 0, 16
	s_delay_alu instid0(VALU_DEP_4) | instskip(NEXT) | instid1(VALU_DEP_1)
	v_or_b32_e32 v8, 0x70000000, v8
	v_dual_add_f32 v13, -0.5, v13 :: v_dual_mul_f32 v8, 0x7800000, v8
	s_delay_alu instid0(VALU_DEP_1) | instskip(NEXT) | instid1(VALU_DEP_1)
	v_cndmask_b32_e64 v1, v8, v13, s0
	v_and_or_b32 v13, 0x80000000, v0, v1
.LBB25_1138:                            ;   in Loop: Header=BB25_17 Depth=1
	s_or_b32 exec_lo, exec_lo, s28
	s_delay_alu instid0(SALU_CYCLE_1)
	s_or_b32 s28, s25, exec_lo
                                        ; implicit-def: $vgpr0_vgpr1
.LBB25_1139:                            ;   in Loop: Header=BB25_17 Depth=1
	s_or_saveexec_b32 s27, s27
                                        ; implicit-def: $sgpr29
                                        ; implicit-def: $sgpr0
	s_delay_alu instid0(SALU_CYCLE_1)
	s_xor_b32 exec_lo, exec_lo, s27
	s_cbranch_execz .LBB25_1149
; %bb.1140:                             ;   in Loop: Header=BB25_17 Depth=1
	s_mov_b32 vcc_hi, s28
	s_mov_b32 s31, exec_lo
                                        ; implicit-def: $sgpr30
                                        ; implicit-def: $sgpr29
                                        ; implicit-def: $vgpr13
	v_cmpx_lt_i16_e32 14, v2
	s_xor_b32 s31, exec_lo, s31
	s_cbranch_execz .LBB25_1144
; %bb.1141:                             ;   in Loop: Header=BB25_17 Depth=1
	s_mov_b32 vcc_hi, s28
	s_mov_b32 s29, exec_lo
                                        ; implicit-def: $vgpr13
	v_cmpx_eq_u16_e32 15, v2
	s_cbranch_execz .LBB25_1143
; %bb.1142:                             ;   in Loop: Header=BB25_17 Depth=1
	flat_load_u16 v0, v[0:1]
	s_or_b32 vcc_hi, s28, exec_lo
	s_waitcnt vmcnt(0) lgkmcnt(0)
	v_lshlrev_b32_e32 v13, 16, v0
.LBB25_1143:                            ;   in Loop: Header=BB25_17 Depth=1
	s_or_b32 exec_lo, exec_lo, s29
	s_delay_alu instid0(SALU_CYCLE_1)
	s_and_not1_b32 s0, s28, exec_lo
	s_and_b32 vcc_hi, vcc_hi, exec_lo
	s_mov_b32 s29, -1
	s_mov_b32 s30, 0
	s_or_b32 vcc_hi, s0, vcc_hi
                                        ; implicit-def: $vgpr0_vgpr1
.LBB25_1144:                            ;   in Loop: Header=BB25_17 Depth=1
	s_and_not1_saveexec_b32 s31, s31
	s_cbranch_execz .LBB25_1148
; %bb.1145:                             ;   in Loop: Header=BB25_17 Depth=1
	s_mov_b32 s34, vcc_hi
	s_mov_b32 s35, exec_lo
                                        ; implicit-def: $vgpr13
	v_cmpx_eq_u16_e32 11, v2
	s_cbranch_execz .LBB25_1147
; %bb.1146:                             ;   in Loop: Header=BB25_17 Depth=1
	flat_load_u8 v0, v[0:1]
	s_or_b32 s34, vcc_hi, exec_lo
	s_waitcnt vmcnt(0) lgkmcnt(0)
	v_cmp_ne_u16_e64 s0, 0, v0
	s_delay_alu instid0(VALU_DEP_1)
	v_cndmask_b32_e64 v13, 0, 1.0, s0
.LBB25_1147:                            ;   in Loop: Header=BB25_17 Depth=1
	s_or_b32 exec_lo, exec_lo, s35
	s_delay_alu instid0(SALU_CYCLE_1)
	s_and_not1_b32 s0, vcc_hi, exec_lo
	s_and_b32 vcc_hi, s34, exec_lo
	s_and_not1_b32 s30, s30, exec_lo
	s_or_b32 s29, s29, exec_lo
	s_or_b32 vcc_hi, s0, vcc_hi
.LBB25_1148:                            ;   in Loop: Header=BB25_17 Depth=1
	s_or_b32 exec_lo, exec_lo, s31
	s_delay_alu instid0(SALU_CYCLE_1)
	s_and_not1_b32 s28, s28, exec_lo
	s_and_b32 vcc_hi, vcc_hi, exec_lo
	s_and_b32 s0, s30, exec_lo
	s_and_b32 s29, s29, exec_lo
	s_or_b32 s28, s28, vcc_hi
.LBB25_1149:                            ;   in Loop: Header=BB25_17 Depth=1
	s_or_b32 exec_lo, exec_lo, s27
	s_delay_alu instid0(SALU_CYCLE_1)
	s_and_not1_b32 s21, s21, exec_lo
	s_and_b32 s0, s0, exec_lo
	s_and_not1_b32 s25, s25, exec_lo
	s_or_b32 s21, s21, s0
	s_and_not1_b32 s0, s26, exec_lo
	s_and_b32 s26, s29, exec_lo
	s_and_b32 s27, s28, exec_lo
	s_or_b32 s26, s0, s26
	s_or_b32 s25, s25, s27
.LBB25_1150:                            ;   in Loop: Header=BB25_17 Depth=1
	s_or_b32 exec_lo, exec_lo, s20
	s_delay_alu instid0(SALU_CYCLE_1)
	s_and_b32 s21, s21, exec_lo
	s_and_b32 s20, s26, exec_lo
	;; [unrolled: 1-line block ×3, first 2 shown]
                                        ; implicit-def: $vgpr0_vgpr1
	s_and_not1_saveexec_b32 s24, s24
	s_cbranch_execz .LBB25_979
.LBB25_1151:                            ;   in Loop: Header=BB25_17 Depth=1
	s_mov_b32 s26, exec_lo
                                        ; implicit-def: $vgpr13
	v_cmpx_lt_i16_e32 4, v2
	s_xor_b32 s26, exec_lo, s26
	s_cbranch_execz .LBB25_1173
; %bb.1152:                             ;   in Loop: Header=BB25_17 Depth=1
	s_mov_b32 s27, exec_lo
                                        ; implicit-def: $vgpr13
	v_cmpx_lt_i16_e32 7, v2
	s_xor_b32 s27, exec_lo, s27
	s_cbranch_execz .LBB25_1162
; %bb.1153:                             ;   in Loop: Header=BB25_17 Depth=1
	;; [unrolled: 6-line block ×3, first 2 shown]
	v_cmp_lt_i16_e64 s0, 9, v2
                                        ; implicit-def: $vgpr13
	s_delay_alu instid0(VALU_DEP_1) | instskip(NEXT) | instid1(SALU_CYCLE_1)
	s_and_saveexec_b32 s29, s0
	s_xor_b32 s0, exec_lo, s29
	s_cbranch_execz .LBB25_1156
; %bb.1155:                             ;   in Loop: Header=BB25_17 Depth=1
	flat_load_b64 v[0:1], v[0:1]
	s_waitcnt vmcnt(0) lgkmcnt(0)
	v_cvt_f32_f64_e32 v13, v[0:1]
                                        ; implicit-def: $vgpr0_vgpr1
.LBB25_1156:                            ;   in Loop: Header=BB25_17 Depth=1
	s_and_not1_saveexec_b32 s0, s0
	s_cbranch_execz .LBB25_1158
; %bb.1157:                             ;   in Loop: Header=BB25_17 Depth=1
	flat_load_b32 v13, v[0:1]
.LBB25_1158:                            ;   in Loop: Header=BB25_17 Depth=1
	s_or_b32 exec_lo, exec_lo, s0
                                        ; implicit-def: $vgpr0_vgpr1
.LBB25_1159:                            ;   in Loop: Header=BB25_17 Depth=1
	s_and_not1_saveexec_b32 s0, s28
	s_cbranch_execz .LBB25_1161
; %bb.1160:                             ;   in Loop: Header=BB25_17 Depth=1
	flat_load_b32 v0, v[0:1]
	s_waitcnt vmcnt(0) lgkmcnt(0)
	v_cvt_f32_f16_e32 v13, v0
.LBB25_1161:                            ;   in Loop: Header=BB25_17 Depth=1
	s_or_b32 exec_lo, exec_lo, s0
                                        ; implicit-def: $vgpr0_vgpr1
.LBB25_1162:                            ;   in Loop: Header=BB25_17 Depth=1
	s_and_not1_saveexec_b32 s27, s27
	s_cbranch_execz .LBB25_1172
; %bb.1163:                             ;   in Loop: Header=BB25_17 Depth=1
	s_mov_b32 s28, exec_lo
                                        ; implicit-def: $vgpr13
	v_cmpx_lt_i16_e32 5, v2
	s_xor_b32 s28, exec_lo, s28
	s_cbranch_execz .LBB25_1169
; %bb.1164:                             ;   in Loop: Header=BB25_17 Depth=1
	v_cmp_lt_i16_e64 s0, 6, v2
                                        ; implicit-def: $vgpr13
	s_delay_alu instid0(VALU_DEP_1) | instskip(NEXT) | instid1(SALU_CYCLE_1)
	s_and_saveexec_b32 s29, s0
	s_xor_b32 s0, exec_lo, s29
	s_cbranch_execz .LBB25_1166
; %bb.1165:                             ;   in Loop: Header=BB25_17 Depth=1
	flat_load_b64 v[0:1], v[0:1]
	s_waitcnt vmcnt(0) lgkmcnt(0)
	v_cvt_f32_f64_e32 v13, v[0:1]
                                        ; implicit-def: $vgpr0_vgpr1
.LBB25_1166:                            ;   in Loop: Header=BB25_17 Depth=1
	s_and_not1_saveexec_b32 s0, s0
	s_cbranch_execz .LBB25_1168
; %bb.1167:                             ;   in Loop: Header=BB25_17 Depth=1
	s_waitcnt vmcnt(0) lgkmcnt(0)
	flat_load_b32 v13, v[0:1]
.LBB25_1168:                            ;   in Loop: Header=BB25_17 Depth=1
	s_or_b32 exec_lo, exec_lo, s0
                                        ; implicit-def: $vgpr0_vgpr1
.LBB25_1169:                            ;   in Loop: Header=BB25_17 Depth=1
	s_and_not1_saveexec_b32 s0, s28
	s_cbranch_execz .LBB25_1171
; %bb.1170:                             ;   in Loop: Header=BB25_17 Depth=1
	flat_load_u16 v0, v[0:1]
	s_waitcnt vmcnt(0) lgkmcnt(0)
	v_cvt_f32_f16_e32 v13, v0
.LBB25_1171:                            ;   in Loop: Header=BB25_17 Depth=1
	s_or_b32 exec_lo, exec_lo, s0
.LBB25_1172:                            ;   in Loop: Header=BB25_17 Depth=1
	s_delay_alu instid0(SALU_CYCLE_1)
	s_or_b32 exec_lo, exec_lo, s27
                                        ; implicit-def: $vgpr0_vgpr1
.LBB25_1173:                            ;   in Loop: Header=BB25_17 Depth=1
	s_and_not1_saveexec_b32 s26, s26
	s_cbranch_execz .LBB25_1191
; %bb.1174:                             ;   in Loop: Header=BB25_17 Depth=1
	s_mov_b32 s27, exec_lo
                                        ; implicit-def: $vgpr13
	v_cmpx_lt_i16_e32 1, v2
	s_xor_b32 s27, exec_lo, s27
	s_cbranch_execz .LBB25_1184
; %bb.1175:                             ;   in Loop: Header=BB25_17 Depth=1
	s_mov_b32 s28, exec_lo
                                        ; implicit-def: $vgpr13
	v_cmpx_lt_i16_e32 2, v2
	s_xor_b32 s28, exec_lo, s28
	s_cbranch_execz .LBB25_1181
; %bb.1176:                             ;   in Loop: Header=BB25_17 Depth=1
	v_cmp_lt_i16_e64 s0, 3, v2
                                        ; implicit-def: $vgpr13
	s_delay_alu instid0(VALU_DEP_1) | instskip(NEXT) | instid1(SALU_CYCLE_1)
	s_and_saveexec_b32 s29, s0
	s_xor_b32 s0, exec_lo, s29
	s_cbranch_execz .LBB25_1178
; %bb.1177:                             ;   in Loop: Header=BB25_17 Depth=1
	flat_load_b64 v[0:1], v[0:1]
	s_waitcnt vmcnt(0) lgkmcnt(0)
	v_xor_b32_e32 v8, v0, v1
	v_cls_i32_e32 v13, v1
	s_delay_alu instid0(VALU_DEP_2) | instskip(NEXT) | instid1(VALU_DEP_2)
	v_ashrrev_i32_e32 v8, 31, v8
	v_add_nc_u32_e32 v13, -1, v13
	s_delay_alu instid0(VALU_DEP_2) | instskip(NEXT) | instid1(VALU_DEP_1)
	v_add_nc_u32_e32 v8, 32, v8
	v_min_u32_e32 v8, v13, v8
	s_delay_alu instid0(VALU_DEP_1) | instskip(NEXT) | instid1(VALU_DEP_1)
	v_lshlrev_b64 v[0:1], v8, v[0:1]
	v_min_u32_e32 v0, 1, v0
	s_delay_alu instid0(VALU_DEP_1) | instskip(SKIP_1) | instid1(VALU_DEP_2)
	v_or_b32_e32 v0, v1, v0
	v_sub_nc_u32_e32 v1, 32, v8
	v_cvt_f32_i32_e32 v0, v0
	s_delay_alu instid0(VALU_DEP_1)
	v_ldexp_f32 v13, v0, v1
                                        ; implicit-def: $vgpr0_vgpr1
.LBB25_1178:                            ;   in Loop: Header=BB25_17 Depth=1
	s_and_not1_saveexec_b32 s0, s0
	s_cbranch_execz .LBB25_1180
; %bb.1179:                             ;   in Loop: Header=BB25_17 Depth=1
	flat_load_b32 v0, v[0:1]
	s_waitcnt vmcnt(0) lgkmcnt(0)
	v_cvt_f32_i32_e32 v13, v0
.LBB25_1180:                            ;   in Loop: Header=BB25_17 Depth=1
	s_or_b32 exec_lo, exec_lo, s0
                                        ; implicit-def: $vgpr0_vgpr1
.LBB25_1181:                            ;   in Loop: Header=BB25_17 Depth=1
	s_and_not1_saveexec_b32 s0, s28
	s_cbranch_execz .LBB25_1183
; %bb.1182:                             ;   in Loop: Header=BB25_17 Depth=1
	flat_load_i16 v0, v[0:1]
	s_waitcnt vmcnt(0) lgkmcnt(0)
	v_cvt_f32_i32_e32 v13, v0
.LBB25_1183:                            ;   in Loop: Header=BB25_17 Depth=1
	s_or_b32 exec_lo, exec_lo, s0
                                        ; implicit-def: $vgpr0_vgpr1
.LBB25_1184:                            ;   in Loop: Header=BB25_17 Depth=1
	s_and_not1_saveexec_b32 s27, s27
	s_cbranch_execz .LBB25_1190
; %bb.1185:                             ;   in Loop: Header=BB25_17 Depth=1
	v_cmp_lt_i16_e64 s0, 0, v2
                                        ; implicit-def: $vgpr13
	s_delay_alu instid0(VALU_DEP_1) | instskip(NEXT) | instid1(SALU_CYCLE_1)
	s_and_saveexec_b32 s28, s0
	s_xor_b32 s0, exec_lo, s28
	s_cbranch_execz .LBB25_1187
; %bb.1186:                             ;   in Loop: Header=BB25_17 Depth=1
	flat_load_i8 v0, v[0:1]
	s_waitcnt vmcnt(0) lgkmcnt(0)
	v_cvt_f32_i32_e32 v13, v0
                                        ; implicit-def: $vgpr0_vgpr1
.LBB25_1187:                            ;   in Loop: Header=BB25_17 Depth=1
	s_and_not1_saveexec_b32 s0, s0
	s_cbranch_execz .LBB25_1189
; %bb.1188:                             ;   in Loop: Header=BB25_17 Depth=1
	flat_load_u8 v0, v[0:1]
	s_waitcnt vmcnt(0) lgkmcnt(0)
	v_cvt_f32_ubyte0_e32 v13, v0
.LBB25_1189:                            ;   in Loop: Header=BB25_17 Depth=1
	s_or_b32 exec_lo, exec_lo, s0
.LBB25_1190:                            ;   in Loop: Header=BB25_17 Depth=1
	s_delay_alu instid0(SALU_CYCLE_1)
	s_or_b32 exec_lo, exec_lo, s27
.LBB25_1191:                            ;   in Loop: Header=BB25_17 Depth=1
	s_delay_alu instid0(SALU_CYCLE_1) | instskip(NEXT) | instid1(SALU_CYCLE_1)
	s_or_b32 exec_lo, exec_lo, s26
	s_and_not1_b32 s21, s21, exec_lo
	s_and_not1_b32 s20, s20, exec_lo
	s_or_b32 s25, s25, exec_lo
	s_or_b32 exec_lo, exec_lo, s24
	s_mov_b32 s0, 0
	s_and_saveexec_b32 s24, s25
	s_cbranch_execz .LBB25_1197
.LBB25_1192:                            ;   in Loop: Header=BB25_17 Depth=1
	s_add_i32 s0, s33, 16
	s_mov_b32 s28, 0
	v_add_nc_u32_e64 v8, s1, s0
	s_mov_b32 s25, exec_lo
                                        ; implicit-def: $sgpr26
                                        ; implicit-def: $sgpr27
	s_delay_alu instid0(VALU_DEP_1) | instskip(SKIP_4) | instid1(VALU_DEP_2)
	v_add_nc_u32_e32 v0, 44, v8
	s_waitcnt vmcnt(0) lgkmcnt(0)
	scratch_store_b32 v0, v13, off
	v_mul_lo_u32 v0, v12, v11
	v_and_b32_e32 v13, 0xff, v9
                                        ; implicit-def: $vgpr12
	v_add_co_u32 v0, s0, v5, v0
	s_delay_alu instid0(VALU_DEP_1) | instskip(NEXT) | instid1(VALU_DEP_3)
	v_add_co_ci_u32_e64 v1, s0, 0, v6, s0
	v_cmpx_lt_i16_e32 10, v13
	s_xor_b32 s25, exec_lo, s25
	s_cbranch_execnz .LBB25_1219
; %bb.1193:                             ;   in Loop: Header=BB25_17 Depth=1
	s_and_not1_saveexec_b32 s25, s25
	s_cbranch_execnz .LBB25_1278
.LBB25_1194:                            ;   in Loop: Header=BB25_17 Depth=1
	s_or_b32 exec_lo, exec_lo, s25
	s_mov_b32 s0, 0
	s_and_saveexec_b32 s25, s28
	s_cbranch_execz .LBB25_1196
.LBB25_1195:                            ;   in Loop: Header=BB25_17 Depth=1
	v_add_nc_u32_e32 v0, 40, v8
	v_add_nc_u32_e32 v7, 0x200, v7
	s_mov_b32 s0, exec_lo
	s_and_not1_b32 s27, s27, exec_lo
	s_and_not1_b32 s26, s26, exec_lo
	s_waitcnt vmcnt(0) lgkmcnt(0)
	scratch_store_b32 v0, v12, off
.LBB25_1196:                            ;   in Loop: Header=BB25_17 Depth=1
	s_or_b32 exec_lo, exec_lo, s25
	s_delay_alu instid0(SALU_CYCLE_1)
	s_and_not1_b32 s21, s21, exec_lo
	s_and_b32 s25, s27, exec_lo
	s_and_not1_b32 s20, s20, exec_lo
	s_and_b32 s26, s26, exec_lo
	s_or_b32 s21, s21, s25
	s_or_b32 s20, s20, s26
	s_and_b32 s0, s0, exec_lo
.LBB25_1197:                            ;   in Loop: Header=BB25_17 Depth=1
	s_or_b32 exec_lo, exec_lo, s24
	s_delay_alu instid0(SALU_CYCLE_1)
	s_and_b32 s21, s21, exec_lo
	s_and_b32 s20, s20, exec_lo
	s_or_not1_b32 s24, s0, exec_lo
.LBB25_1198:                            ;   in Loop: Header=BB25_17 Depth=1
	s_or_b32 exec_lo, exec_lo, s22
	s_and_saveexec_b32 s22, s24
	s_cbranch_execz .LBB25_11
; %bb.1199:                             ;   in Loop: Header=BB25_17 Depth=1
	s_mov_b32 s26, -1
	s_mov_b32 s27, -1
	s_mov_b32 s25, exec_lo
                                        ; implicit-def: $sgpr23
                                        ; implicit-def: $sgpr24
	v_cmpx_lt_i32_e64 v7, v146
	s_cbranch_execz .LBB25_1425
; %bb.1200:                             ;   in Loop: Header=BB25_17 Depth=1
	s_waitcnt vmcnt(0) lgkmcnt(0)
	v_add_nc_u32_e32 v12, s38, v7
	s_mov_b32 s28, 0
	s_mov_b32 s27, exec_lo
                                        ; implicit-def: $sgpr23
                                        ; implicit-def: $sgpr24
                                        ; implicit-def: $vgpr13
	s_delay_alu instid0(VALU_DEP_1) | instskip(NEXT) | instid1(VALU_DEP_1)
	v_mul_lo_u32 v0, v12, v10
	v_add_co_u32 v0, s0, v3, v0
	s_delay_alu instid0(VALU_DEP_1)
	v_add_co_ci_u32_e64 v1, s0, 0, v4, s0
	v_cmpx_lt_i16_e32 10, v2
	s_xor_b32 s27, exec_lo, s27
	s_cbranch_execnz .LBB25_1319
; %bb.1201:                             ;   in Loop: Header=BB25_17 Depth=1
	s_and_not1_saveexec_b32 s27, s27
	s_cbranch_execnz .LBB25_1378
.LBB25_1202:                            ;   in Loop: Header=BB25_17 Depth=1
	s_or_b32 exec_lo, exec_lo, s27
	s_mov_b32 s0, 0
	s_and_saveexec_b32 s27, s28
	s_cbranch_execnz .LBB25_1419
	s_branch .LBB25_1424
.LBB25_1203:                            ;   in Loop: Header=BB25_17 Depth=1
	s_mov_b32 s19, -1
	s_mov_b32 s22, exec_lo
                                        ; implicit-def: $sgpr20
	v_cmpx_eq_u16_e32 0x80, v0
; %bb.1204:                             ;   in Loop: Header=BB25_17 Depth=1
	s_mov_b32 s20, 0x7f800001
	s_xor_b32 s19, exec_lo, -1
; %bb.1205:                             ;   in Loop: Header=BB25_17 Depth=1
	s_or_b32 exec_lo, exec_lo, s22
	s_delay_alu instid0(SALU_CYCLE_1)
	s_and_b32 s19, s19, exec_lo
	s_or_saveexec_b32 s21, s21
	v_mov_b32_e32 v12, s20
	s_xor_b32 exec_lo, exec_lo, s21
	s_cbranch_execz .LBB25_170
.LBB25_1206:                            ;   in Loop: Header=BB25_17 Depth=1
	v_cmp_ne_u16_e64 s0, 0, v0
	v_mov_b32_e32 v12, 0
	s_and_not1_b32 s19, s19, exec_lo
	s_delay_alu instid0(VALU_DEP_2) | instskip(NEXT) | instid1(SALU_CYCLE_1)
	s_and_b32 s0, s0, exec_lo
	s_or_b32 s19, s19, s0
	s_or_b32 exec_lo, exec_lo, s21
	s_and_saveexec_b32 s20, s19
	s_cbranch_execnz .LBB25_171
	s_branch .LBB25_172
.LBB25_1207:                            ;   in Loop: Header=BB25_17 Depth=1
	s_mov_b32 s18, -1
	s_mov_b32 s21, exec_lo
                                        ; implicit-def: $sgpr19
	v_cmpx_eq_u16_e32 0x80, v0
; %bb.1208:                             ;   in Loop: Header=BB25_17 Depth=1
	s_mov_b32 s19, 0x7f800001
	s_xor_b32 s18, exec_lo, -1
; %bb.1209:                             ;   in Loop: Header=BB25_17 Depth=1
	s_or_b32 exec_lo, exec_lo, s21
	s_delay_alu instid0(SALU_CYCLE_1)
	s_and_b32 s18, s18, exec_lo
	s_or_saveexec_b32 s20, s20
	v_mov_b32_e32 v13, s19
	s_xor_b32 exec_lo, exec_lo, s20
	s_cbranch_execz .LBB25_270
.LBB25_1210:                            ;   in Loop: Header=BB25_17 Depth=1
	v_cmp_ne_u16_e64 s0, 0, v0
	v_mov_b32_e32 v13, 0
	s_and_not1_b32 s18, s18, exec_lo
	s_delay_alu instid0(VALU_DEP_2) | instskip(NEXT) | instid1(SALU_CYCLE_1)
	s_and_b32 s0, s0, exec_lo
	s_or_b32 s18, s18, s0
	s_or_b32 exec_lo, exec_lo, s20
	s_and_saveexec_b32 s19, s18
	s_cbranch_execnz .LBB25_271
	s_branch .LBB25_272
.LBB25_1211:                            ;   in Loop: Header=BB25_17 Depth=1
	s_mov_b32 s20, -1
	s_mov_b32 s23, exec_lo
                                        ; implicit-def: $sgpr21
	v_cmpx_eq_u16_e32 0x80, v0
; %bb.1212:                             ;   in Loop: Header=BB25_17 Depth=1
	s_mov_b32 s21, 0x7f800001
	s_xor_b32 s20, exec_lo, -1
; %bb.1213:                             ;   in Loop: Header=BB25_17 Depth=1
	s_or_b32 exec_lo, exec_lo, s23
	s_delay_alu instid0(SALU_CYCLE_1)
	s_and_b32 s20, s20, exec_lo
	s_or_saveexec_b32 s22, s22
	v_mov_b32_e32 v12, s21
	s_xor_b32 exec_lo, exec_lo, s22
	s_cbranch_execz .LBB25_370
.LBB25_1214:                            ;   in Loop: Header=BB25_17 Depth=1
	v_cmp_ne_u16_e64 s0, 0, v0
	v_mov_b32_e32 v12, 0
	s_and_not1_b32 s20, s20, exec_lo
	s_delay_alu instid0(VALU_DEP_2) | instskip(NEXT) | instid1(SALU_CYCLE_1)
	s_and_b32 s0, s0, exec_lo
	s_or_b32 s20, s20, s0
	s_or_b32 exec_lo, exec_lo, s22
	s_and_saveexec_b32 s21, s20
	s_cbranch_execnz .LBB25_371
	s_branch .LBB25_372
.LBB25_1215:                            ;   in Loop: Header=BB25_17 Depth=1
	s_mov_b32 s20, -1
	s_mov_b32 s23, exec_lo
                                        ; implicit-def: $sgpr21
	v_cmpx_eq_u16_e32 0x80, v0
; %bb.1216:                             ;   in Loop: Header=BB25_17 Depth=1
	s_mov_b32 s21, 0x7f800001
	s_xor_b32 s20, exec_lo, -1
; %bb.1217:                             ;   in Loop: Header=BB25_17 Depth=1
	s_or_b32 exec_lo, exec_lo, s23
	s_delay_alu instid0(SALU_CYCLE_1)
	s_and_b32 s20, s20, exec_lo
	s_or_saveexec_b32 s22, s22
	v_mov_b32_e32 v13, s21
	s_xor_b32 exec_lo, exec_lo, s22
	s_cbranch_execz .LBB25_470
.LBB25_1218:                            ;   in Loop: Header=BB25_17 Depth=1
	v_cmp_ne_u16_e64 s0, 0, v0
	v_mov_b32_e32 v13, 0
	s_and_not1_b32 s20, s20, exec_lo
	s_delay_alu instid0(VALU_DEP_2) | instskip(NEXT) | instid1(SALU_CYCLE_1)
	s_and_b32 s0, s0, exec_lo
	s_or_b32 s20, s20, s0
	s_or_b32 exec_lo, exec_lo, s22
	s_and_saveexec_b32 s21, s20
	s_cbranch_execnz .LBB25_471
	s_branch .LBB25_472
.LBB25_1219:                            ;   in Loop: Header=BB25_17 Depth=1
	s_mov_b32 s26, exec_lo
                                        ; implicit-def: $sgpr29
                                        ; implicit-def: $sgpr27
                                        ; implicit-def: $vgpr12
	v_cmpx_lt_i16_e32 25, v13
	s_xor_b32 s26, exec_lo, s26
	s_cbranch_execz .LBB25_1251
; %bb.1220:                             ;   in Loop: Header=BB25_17 Depth=1
	s_mov_b32 s27, exec_lo
                                        ; implicit-def: $sgpr29
                                        ; implicit-def: $vcc_hi
                                        ; implicit-def: $vgpr12
	v_cmpx_lt_i16_e32 28, v13
	s_xor_b32 s27, exec_lo, s27
	s_cbranch_execz .LBB25_1236
; %bb.1221:                             ;   in Loop: Header=BB25_17 Depth=1
	s_mov_b32 s30, 0
	s_mov_b32 s28, exec_lo
                                        ; implicit-def: $sgpr29
                                        ; implicit-def: $vcc_hi
                                        ; implicit-def: $vgpr12
	v_cmpx_lt_i16_e32 43, v13
	s_xor_b32 s28, exec_lo, s28
	s_cbranch_execz .LBB25_1231
; %bb.1222:                             ;   in Loop: Header=BB25_17 Depth=1
	s_mov_b32 s31, exec_lo
                                        ; implicit-def: $vcc_hi
                                        ; implicit-def: $sgpr29
                                        ; implicit-def: $vgpr12
	v_cmpx_lt_i16_e32 45, v13
	s_xor_b32 s31, exec_lo, s31
	s_cbranch_execz .LBB25_1226
; %bb.1223:                             ;   in Loop: Header=BB25_17 Depth=1
	s_mov_b32 s29, 0
	s_mov_b32 vcc_hi, exec_lo
                                        ; implicit-def: $vgpr12
	v_cmpx_eq_u16_e32 46, v13
	s_cbranch_execz .LBB25_1225
; %bb.1224:                             ;   in Loop: Header=BB25_17 Depth=1
	flat_load_b32 v0, v[0:1]
	s_mov_b32 s30, exec_lo
	s_waitcnt vmcnt(0) lgkmcnt(0)
	v_lshlrev_b32_e32 v12, 16, v0
.LBB25_1225:                            ;   in Loop: Header=BB25_17 Depth=1
	s_or_b32 exec_lo, exec_lo, vcc_hi
	s_mov_b32 vcc_hi, -1
	s_and_b32 s30, s30, exec_lo
                                        ; implicit-def: $vgpr13
                                        ; implicit-def: $vgpr0_vgpr1
.LBB25_1226:                            ;   in Loop: Header=BB25_17 Depth=1
	s_and_not1_saveexec_b32 s31, s31
	s_cbranch_execz .LBB25_1230
; %bb.1227:                             ;   in Loop: Header=BB25_17 Depth=1
	s_mov_b32 s35, s30
	s_mov_b32 s34, exec_lo
                                        ; implicit-def: $vgpr12
	v_cmpx_eq_u16_e32 44, v13
	s_cbranch_execz .LBB25_1229
; %bb.1228:                             ;   in Loop: Header=BB25_17 Depth=1
	flat_load_u8 v0, v[0:1]
	s_or_b32 s35, s30, exec_lo
	s_waitcnt vmcnt(0) lgkmcnt(0)
	v_lshlrev_b32_e32 v1, 23, v0
	v_cmp_ne_u32_e64 s0, 0xff, v0
	s_delay_alu instid0(VALU_DEP_1) | instskip(SKIP_1) | instid1(VALU_DEP_1)
	v_cndmask_b32_e64 v1, 0x7f800001, v1, s0
	v_cmp_ne_u32_e64 s0, 0, v0
	v_cndmask_b32_e64 v12, 0x400000, v1, s0
.LBB25_1229:                            ;   in Loop: Header=BB25_17 Depth=1
	s_or_b32 exec_lo, exec_lo, s34
	s_delay_alu instid0(SALU_CYCLE_1)
	s_and_not1_b32 s0, s30, exec_lo
	s_and_b32 s30, s35, exec_lo
	s_or_b32 vcc_hi, vcc_hi, exec_lo
	s_and_not1_b32 s29, s29, exec_lo
	s_or_b32 s30, s0, s30
.LBB25_1230:                            ;   in Loop: Header=BB25_17 Depth=1
	s_or_b32 exec_lo, exec_lo, s31
	s_delay_alu instid0(SALU_CYCLE_1)
	s_and_b32 vcc_hi, vcc_hi, exec_lo
	s_and_b32 s29, s29, exec_lo
	s_and_b32 s30, s30, exec_lo
                                        ; implicit-def: $vgpr13
                                        ; implicit-def: $vgpr0_vgpr1
.LBB25_1231:                            ;   in Loop: Header=BB25_17 Depth=1
	s_and_not1_saveexec_b32 s28, s28
	s_cbranch_execz .LBB25_1235
; %bb.1232:                             ;   in Loop: Header=BB25_17 Depth=1
	s_mov_b32 s34, s30
	s_mov_b32 s31, exec_lo
                                        ; implicit-def: $vgpr12
	v_cmpx_eq_u16_e32 29, v13
	s_cbranch_execz .LBB25_1234
; %bb.1233:                             ;   in Loop: Header=BB25_17 Depth=1
	flat_load_b64 v[0:1], v[0:1]
	s_or_b32 s34, s30, exec_lo
	s_waitcnt vmcnt(0) lgkmcnt(0)
	v_clz_i32_u32_e32 v12, v1
	s_delay_alu instid0(VALU_DEP_1) | instskip(NEXT) | instid1(VALU_DEP_1)
	v_min_u32_e32 v12, 32, v12
	v_lshlrev_b64 v[0:1], v12, v[0:1]
	s_delay_alu instid0(VALU_DEP_1) | instskip(NEXT) | instid1(VALU_DEP_1)
	v_min_u32_e32 v0, 1, v0
	v_or_b32_e32 v0, v1, v0
	v_sub_nc_u32_e32 v1, 32, v12
	s_delay_alu instid0(VALU_DEP_2) | instskip(NEXT) | instid1(VALU_DEP_1)
	v_cvt_f32_u32_e32 v0, v0
	v_ldexp_f32 v12, v0, v1
.LBB25_1234:                            ;   in Loop: Header=BB25_17 Depth=1
	s_or_b32 exec_lo, exec_lo, s31
	s_delay_alu instid0(SALU_CYCLE_1)
	s_and_not1_b32 s0, s30, exec_lo
	s_and_b32 s30, s34, exec_lo
	s_or_b32 vcc_hi, vcc_hi, exec_lo
	s_and_not1_b32 s29, s29, exec_lo
	s_or_b32 s30, s0, s30
.LBB25_1235:                            ;   in Loop: Header=BB25_17 Depth=1
	s_or_b32 exec_lo, exec_lo, s28
	s_delay_alu instid0(SALU_CYCLE_1)
	s_and_b32 vcc_hi, vcc_hi, exec_lo
	s_and_b32 s29, s29, exec_lo
	s_and_b32 s28, s30, exec_lo
                                        ; implicit-def: $vgpr13
                                        ; implicit-def: $vgpr0_vgpr1
.LBB25_1236:                            ;   in Loop: Header=BB25_17 Depth=1
	s_and_not1_saveexec_b32 s27, s27
	s_cbranch_execz .LBB25_1250
; %bb.1237:                             ;   in Loop: Header=BB25_17 Depth=1
	s_mov_b32 s30, exec_lo
                                        ; implicit-def: $vgpr12
	v_cmpx_lt_i16_e32 26, v13
	s_xor_b32 s30, exec_lo, s30
	s_cbranch_execz .LBB25_1243
; %bb.1238:                             ;   in Loop: Header=BB25_17 Depth=1
	v_cmp_lt_i16_e64 s0, 27, v13
                                        ; implicit-def: $vgpr12
	s_delay_alu instid0(VALU_DEP_1) | instskip(NEXT) | instid1(SALU_CYCLE_1)
	s_and_saveexec_b32 s31, s0
	s_xor_b32 s0, exec_lo, s31
	s_cbranch_execz .LBB25_1240
; %bb.1239:                             ;   in Loop: Header=BB25_17 Depth=1
	flat_load_b32 v0, v[0:1]
	s_waitcnt vmcnt(0) lgkmcnt(0)
	v_cvt_f32_u32_e32 v12, v0
                                        ; implicit-def: $vgpr0_vgpr1
.LBB25_1240:                            ;   in Loop: Header=BB25_17 Depth=1
	s_and_not1_saveexec_b32 s0, s0
	s_cbranch_execz .LBB25_1242
; %bb.1241:                             ;   in Loop: Header=BB25_17 Depth=1
	flat_load_u16 v0, v[0:1]
	s_waitcnt vmcnt(0) lgkmcnt(0)
	v_cvt_f32_u32_e32 v12, v0
.LBB25_1242:                            ;   in Loop: Header=BB25_17 Depth=1
	s_or_b32 exec_lo, exec_lo, s0
                                        ; implicit-def: $vgpr0_vgpr1
.LBB25_1243:                            ;   in Loop: Header=BB25_17 Depth=1
	s_and_not1_saveexec_b32 s30, s30
	s_cbranch_execz .LBB25_1249
; %bb.1244:                             ;   in Loop: Header=BB25_17 Depth=1
	flat_load_u8 v0, v[0:1]
	s_mov_b32 s31, 0
	s_mov_b32 s35, exec_lo
                                        ; implicit-def: $sgpr34
	s_waitcnt vmcnt(0) lgkmcnt(0)
	v_cmpx_lt_i16_e32 0x7f, v0
	s_xor_b32 s35, exec_lo, s35
	s_cbranch_execnz .LBB25_2119
; %bb.1245:                             ;   in Loop: Header=BB25_17 Depth=1
	s_or_saveexec_b32 s35, s35
	v_mov_b32_e32 v12, s34
	s_xor_b32 exec_lo, exec_lo, s35
	s_cbranch_execnz .LBB25_2122
.LBB25_1246:                            ;   in Loop: Header=BB25_17 Depth=1
	s_or_b32 exec_lo, exec_lo, s35
	s_and_saveexec_b32 s34, s31
	s_cbranch_execz .LBB25_1248
.LBB25_1247:                            ;   in Loop: Header=BB25_17 Depth=1
	v_and_b32_e32 v1, 0xffff, v0
	v_lshlrev_b32_e32 v0, 24, v0
	s_delay_alu instid0(VALU_DEP_2) | instskip(NEXT) | instid1(VALU_DEP_2)
	v_and_b32_e32 v12, 7, v1
	v_and_b32_e32 v0, 0x80000000, v0
	s_delay_alu instid0(VALU_DEP_2) | instskip(NEXT) | instid1(VALU_DEP_1)
	v_clz_i32_u32_e32 v13, v12
	v_min_u32_e32 v13, 32, v13
	s_delay_alu instid0(VALU_DEP_1) | instskip(SKIP_1) | instid1(VALU_DEP_2)
	v_subrev_nc_u32_e32 v14, 28, v13
	v_sub_nc_u32_e32 v13, 29, v13
	v_lshlrev_b32_e32 v14, v14, v1
	v_bfe_u32 v1, v1, 3, 4
	s_delay_alu instid0(VALU_DEP_2) | instskip(NEXT) | instid1(VALU_DEP_2)
	v_and_b32_e32 v14, 7, v14
	v_cmp_eq_u32_e64 s0, 0, v1
	s_delay_alu instid0(VALU_DEP_1) | instskip(NEXT) | instid1(VALU_DEP_3)
	v_cndmask_b32_e64 v1, v1, v13, s0
	v_cndmask_b32_e64 v12, v12, v14, s0
	s_delay_alu instid0(VALU_DEP_2) | instskip(NEXT) | instid1(VALU_DEP_2)
	v_lshl_add_u32 v1, v1, 23, 0x3b800000
	v_lshlrev_b32_e32 v12, 20, v12
	s_delay_alu instid0(VALU_DEP_1)
	v_or3_b32 v12, v0, v1, v12
.LBB25_1248:                            ;   in Loop: Header=BB25_17 Depth=1
	s_or_b32 exec_lo, exec_lo, s34
.LBB25_1249:                            ;   in Loop: Header=BB25_17 Depth=1
	s_delay_alu instid0(SALU_CYCLE_1) | instskip(NEXT) | instid1(SALU_CYCLE_1)
	s_or_b32 exec_lo, exec_lo, s30
	s_and_not1_b32 vcc_hi, vcc_hi, exec_lo
	s_and_not1_b32 s29, s29, exec_lo
	s_or_b32 s28, s28, exec_lo
.LBB25_1250:                            ;   in Loop: Header=BB25_17 Depth=1
	s_or_b32 exec_lo, exec_lo, s27
	s_delay_alu instid0(SALU_CYCLE_1)
	s_and_b32 s27, vcc_hi, exec_lo
	s_and_b32 s29, s29, exec_lo
	s_and_b32 s28, s28, exec_lo
                                        ; implicit-def: $vgpr13
                                        ; implicit-def: $vgpr0_vgpr1
.LBB25_1251:                            ;   in Loop: Header=BB25_17 Depth=1
	s_and_not1_saveexec_b32 s26, s26
	s_cbranch_execz .LBB25_1277
; %bb.1252:                             ;   in Loop: Header=BB25_17 Depth=1
	s_mov_b32 s30, s28
	s_mov_b32 vcc_hi, exec_lo
                                        ; implicit-def: $vgpr12
	v_cmpx_lt_i16_e32 22, v13
	s_xor_b32 vcc_hi, exec_lo, vcc_hi
	s_cbranch_execz .LBB25_1266
; %bb.1253:                             ;   in Loop: Header=BB25_17 Depth=1
	s_mov_b32 s30, exec_lo
                                        ; implicit-def: $vgpr12
	v_cmpx_lt_i16_e32 23, v13
	s_xor_b32 s30, exec_lo, s30
	s_cbranch_execz .LBB25_1263
; %bb.1254:                             ;   in Loop: Header=BB25_17 Depth=1
	s_mov_b32 s31, exec_lo
                                        ; implicit-def: $vgpr12
	v_cmpx_lt_i16_e32 24, v13
	s_xor_b32 s31, exec_lo, s31
	s_cbranch_execz .LBB25_1260
; %bb.1255:                             ;   in Loop: Header=BB25_17 Depth=1
	flat_load_u8 v0, v[0:1]
	s_mov_b32 s34, 0
	s_mov_b32 s36, exec_lo
                                        ; implicit-def: $sgpr35
	s_waitcnt vmcnt(0) lgkmcnt(0)
	v_cmpx_lt_i16_e32 0x7f, v0
	s_xor_b32 s36, exec_lo, s36
	s_cbranch_execnz .LBB25_2338
; %bb.1256:                             ;   in Loop: Header=BB25_17 Depth=1
	s_or_saveexec_b32 s36, s36
	v_mov_b32_e32 v12, s35
	s_xor_b32 exec_lo, exec_lo, s36
	s_cbranch_execnz .LBB25_2341
.LBB25_1257:                            ;   in Loop: Header=BB25_17 Depth=1
	s_or_b32 exec_lo, exec_lo, s36
	s_and_saveexec_b32 s35, s34
	s_cbranch_execz .LBB25_1259
.LBB25_1258:                            ;   in Loop: Header=BB25_17 Depth=1
	v_and_b32_e32 v1, 0xffff, v0
	v_lshlrev_b32_e32 v0, 24, v0
	s_delay_alu instid0(VALU_DEP_2) | instskip(NEXT) | instid1(VALU_DEP_2)
	v_and_b32_e32 v12, 3, v1
	v_and_b32_e32 v0, 0x80000000, v0
	s_delay_alu instid0(VALU_DEP_2) | instskip(NEXT) | instid1(VALU_DEP_1)
	v_clz_i32_u32_e32 v13, v12
	v_min_u32_e32 v13, 32, v13
	s_delay_alu instid0(VALU_DEP_1) | instskip(SKIP_1) | instid1(VALU_DEP_2)
	v_subrev_nc_u32_e32 v14, 29, v13
	v_sub_nc_u32_e32 v13, 30, v13
	v_lshlrev_b32_e32 v14, v14, v1
	v_bfe_u32 v1, v1, 2, 5
	s_delay_alu instid0(VALU_DEP_2) | instskip(NEXT) | instid1(VALU_DEP_2)
	v_and_b32_e32 v14, 3, v14
	v_cmp_eq_u32_e64 s0, 0, v1
	s_delay_alu instid0(VALU_DEP_1) | instskip(NEXT) | instid1(VALU_DEP_3)
	v_cndmask_b32_e64 v1, v1, v13, s0
	v_cndmask_b32_e64 v12, v12, v14, s0
	s_delay_alu instid0(VALU_DEP_2) | instskip(NEXT) | instid1(VALU_DEP_2)
	v_lshl_add_u32 v1, v1, 23, 0x37800000
	v_lshlrev_b32_e32 v12, 21, v12
	s_delay_alu instid0(VALU_DEP_1)
	v_or3_b32 v12, v0, v1, v12
.LBB25_1259:                            ;   in Loop: Header=BB25_17 Depth=1
	s_or_b32 exec_lo, exec_lo, s35
                                        ; implicit-def: $vgpr0_vgpr1
.LBB25_1260:                            ;   in Loop: Header=BB25_17 Depth=1
	s_and_not1_saveexec_b32 s31, s31
	s_cbranch_execz .LBB25_1262
; %bb.1261:                             ;   in Loop: Header=BB25_17 Depth=1
	flat_load_u8 v0, v[0:1]
	s_waitcnt vmcnt(0) lgkmcnt(0)
	v_lshlrev_b32_e32 v0, 24, v0
	s_delay_alu instid0(VALU_DEP_1) | instskip(NEXT) | instid1(VALU_DEP_1)
	v_and_b32_e32 v1, 0x7f000000, v0
	v_clz_i32_u32_e32 v12, v1
	v_add_nc_u32_e32 v14, 0x1000000, v1
	v_cmp_ne_u32_e64 s0, 0, v1
	s_delay_alu instid0(VALU_DEP_3) | instskip(NEXT) | instid1(VALU_DEP_1)
	v_min_u32_e32 v12, 32, v12
	v_sub_nc_u32_e64 v12, v12, 4 clamp
	s_delay_alu instid0(VALU_DEP_1) | instskip(SKIP_1) | instid1(VALU_DEP_2)
	v_lshlrev_b32_e32 v13, v12, v1
	v_lshlrev_b32_e32 v12, 23, v12
	v_lshrrev_b32_e32 v13, 4, v13
	s_delay_alu instid0(VALU_DEP_1) | instskip(SKIP_1) | instid1(VALU_DEP_2)
	v_sub_nc_u32_e32 v12, v13, v12
	v_ashrrev_i32_e32 v13, 8, v14
	v_add_nc_u32_e32 v12, 0x3c000000, v12
	s_delay_alu instid0(VALU_DEP_1) | instskip(NEXT) | instid1(VALU_DEP_1)
	v_and_or_b32 v12, 0x7f800000, v13, v12
	v_cndmask_b32_e64 v1, 0, v12, s0
	s_delay_alu instid0(VALU_DEP_1)
	v_and_or_b32 v12, 0x80000000, v0, v1
.LBB25_1262:                            ;   in Loop: Header=BB25_17 Depth=1
	s_or_b32 exec_lo, exec_lo, s31
                                        ; implicit-def: $vgpr0_vgpr1
.LBB25_1263:                            ;   in Loop: Header=BB25_17 Depth=1
	s_and_not1_saveexec_b32 s30, s30
	s_cbranch_execz .LBB25_1265
; %bb.1264:                             ;   in Loop: Header=BB25_17 Depth=1
	flat_load_u8 v0, v[0:1]
	s_waitcnt vmcnt(0) lgkmcnt(0)
	v_lshlrev_b32_e32 v1, 25, v0
	v_lshlrev_b16 v0, 8, v0
	s_delay_alu instid0(VALU_DEP_2) | instskip(NEXT) | instid1(VALU_DEP_2)
	v_lshrrev_b32_e32 v12, 4, v1
	v_and_or_b32 v13, 0x7f00, v0, 0.5
	v_cmp_gt_u32_e64 s0, 0x8000000, v1
	v_bfe_i32 v0, v0, 0, 16
	s_delay_alu instid0(VALU_DEP_4) | instskip(NEXT) | instid1(VALU_DEP_1)
	v_or_b32_e32 v12, 0x70000000, v12
	v_dual_add_f32 v13, -0.5, v13 :: v_dual_mul_f32 v12, 0x7800000, v12
	s_delay_alu instid0(VALU_DEP_1) | instskip(NEXT) | instid1(VALU_DEP_1)
	v_cndmask_b32_e64 v1, v12, v13, s0
	v_and_or_b32 v12, 0x80000000, v0, v1
.LBB25_1265:                            ;   in Loop: Header=BB25_17 Depth=1
	s_or_b32 exec_lo, exec_lo, s30
	s_delay_alu instid0(SALU_CYCLE_1)
	s_or_b32 s30, s28, exec_lo
                                        ; implicit-def: $vgpr13
                                        ; implicit-def: $vgpr0_vgpr1
.LBB25_1266:                            ;   in Loop: Header=BB25_17 Depth=1
	s_or_saveexec_b32 vcc_hi, vcc_hi
                                        ; implicit-def: $sgpr31
                                        ; implicit-def: $sgpr0
	s_delay_alu instid0(SALU_CYCLE_1)
	s_xor_b32 exec_lo, exec_lo, vcc_hi
	s_cbranch_execz .LBB25_1276
; %bb.1267:                             ;   in Loop: Header=BB25_17 Depth=1
	s_mov_b32 s34, s30
	s_mov_b32 s36, exec_lo
                                        ; implicit-def: $sgpr35
                                        ; implicit-def: $sgpr31
                                        ; implicit-def: $vgpr12
	v_cmpx_lt_i16_e32 14, v13
	s_xor_b32 s36, exec_lo, s36
	s_cbranch_execz .LBB25_1271
; %bb.1268:                             ;   in Loop: Header=BB25_17 Depth=1
	s_mov_b32 s34, s30
	s_mov_b32 s31, exec_lo
                                        ; implicit-def: $vgpr12
	v_cmpx_eq_u16_e32 15, v13
	s_cbranch_execz .LBB25_1270
; %bb.1269:                             ;   in Loop: Header=BB25_17 Depth=1
	flat_load_u16 v0, v[0:1]
	s_or_b32 s34, s30, exec_lo
	s_waitcnt vmcnt(0) lgkmcnt(0)
	v_lshlrev_b32_e32 v12, 16, v0
.LBB25_1270:                            ;   in Loop: Header=BB25_17 Depth=1
	s_or_b32 exec_lo, exec_lo, s31
	s_delay_alu instid0(SALU_CYCLE_1)
	s_and_not1_b32 s0, s30, exec_lo
	s_and_b32 s34, s34, exec_lo
	s_mov_b32 s31, 0
	s_mov_b32 s35, -1
	s_or_b32 s34, s0, s34
                                        ; implicit-def: $vgpr13
                                        ; implicit-def: $vgpr0_vgpr1
.LBB25_1271:                            ;   in Loop: Header=BB25_17 Depth=1
	s_and_not1_saveexec_b32 s36, s36
	s_cbranch_execz .LBB25_1275
; %bb.1272:                             ;   in Loop: Header=BB25_17 Depth=1
	s_mov_b32 s37, s34
	s_mov_b32 s39, exec_lo
                                        ; implicit-def: $vgpr12
	v_cmpx_eq_u16_e32 11, v13
	s_cbranch_execz .LBB25_1274
; %bb.1273:                             ;   in Loop: Header=BB25_17 Depth=1
	flat_load_u8 v0, v[0:1]
	s_or_b32 s37, s34, exec_lo
	s_waitcnt vmcnt(0) lgkmcnt(0)
	v_cmp_ne_u16_e64 s0, 0, v0
	s_delay_alu instid0(VALU_DEP_1)
	v_cndmask_b32_e64 v12, 0, 1.0, s0
.LBB25_1274:                            ;   in Loop: Header=BB25_17 Depth=1
	s_or_b32 exec_lo, exec_lo, s39
	s_delay_alu instid0(SALU_CYCLE_1)
	s_and_not1_b32 s0, s34, exec_lo
	s_and_b32 s34, s37, exec_lo
	s_or_b32 s35, s35, exec_lo
	s_and_not1_b32 s31, s31, exec_lo
	s_or_b32 s34, s0, s34
.LBB25_1275:                            ;   in Loop: Header=BB25_17 Depth=1
	s_or_b32 exec_lo, exec_lo, s36
	s_delay_alu instid0(SALU_CYCLE_1)
	s_and_not1_b32 s30, s30, exec_lo
	s_and_b32 s34, s34, exec_lo
	s_and_b32 s0, s35, exec_lo
	;; [unrolled: 1-line block ×3, first 2 shown]
	s_or_b32 s30, s30, s34
.LBB25_1276:                            ;   in Loop: Header=BB25_17 Depth=1
	s_or_b32 exec_lo, exec_lo, vcc_hi
	s_delay_alu instid0(SALU_CYCLE_1)
	s_and_not1_b32 s27, s27, exec_lo
	s_and_b32 s0, s0, exec_lo
	s_and_not1_b32 s28, s28, exec_lo
	s_or_b32 s27, s27, s0
	s_and_not1_b32 s0, s29, exec_lo
	s_and_b32 s29, s31, exec_lo
	s_and_b32 vcc_hi, s30, exec_lo
	s_or_b32 s29, s0, s29
	s_or_b32 s28, s28, vcc_hi
.LBB25_1277:                            ;   in Loop: Header=BB25_17 Depth=1
	s_or_b32 exec_lo, exec_lo, s26
	s_delay_alu instid0(SALU_CYCLE_1)
	s_and_b32 s27, s27, exec_lo
	s_and_b32 s26, s29, exec_lo
	;; [unrolled: 1-line block ×3, first 2 shown]
                                        ; implicit-def: $vgpr13
                                        ; implicit-def: $vgpr0_vgpr1
	s_and_not1_saveexec_b32 s25, s25
	s_cbranch_execz .LBB25_1194
.LBB25_1278:                            ;   in Loop: Header=BB25_17 Depth=1
	s_mov_b32 s29, exec_lo
                                        ; implicit-def: $vgpr12
	v_cmpx_lt_i16_e32 4, v13
	s_xor_b32 s29, exec_lo, s29
	s_cbranch_execz .LBB25_1300
; %bb.1279:                             ;   in Loop: Header=BB25_17 Depth=1
	s_mov_b32 vcc_hi, exec_lo
                                        ; implicit-def: $vgpr12
	v_cmpx_lt_i16_e32 7, v13
	s_xor_b32 vcc_hi, exec_lo, vcc_hi
	s_cbranch_execz .LBB25_1289
; %bb.1280:                             ;   in Loop: Header=BB25_17 Depth=1
	s_mov_b32 s30, exec_lo
                                        ; implicit-def: $vgpr12
	v_cmpx_lt_i16_e32 8, v13
	s_xor_b32 s30, exec_lo, s30
	s_cbranch_execz .LBB25_1286
; %bb.1281:                             ;   in Loop: Header=BB25_17 Depth=1
	v_cmp_lt_i16_e64 s0, 9, v13
                                        ; implicit-def: $vgpr12
	s_delay_alu instid0(VALU_DEP_1) | instskip(NEXT) | instid1(SALU_CYCLE_1)
	s_and_saveexec_b32 s31, s0
	s_xor_b32 s0, exec_lo, s31
	s_cbranch_execz .LBB25_1283
; %bb.1282:                             ;   in Loop: Header=BB25_17 Depth=1
	flat_load_b64 v[0:1], v[0:1]
	s_waitcnt vmcnt(0) lgkmcnt(0)
	v_cvt_f32_f64_e32 v12, v[0:1]
                                        ; implicit-def: $vgpr0_vgpr1
.LBB25_1283:                            ;   in Loop: Header=BB25_17 Depth=1
	s_and_not1_saveexec_b32 s0, s0
	s_cbranch_execz .LBB25_1285
; %bb.1284:                             ;   in Loop: Header=BB25_17 Depth=1
	flat_load_b32 v12, v[0:1]
.LBB25_1285:                            ;   in Loop: Header=BB25_17 Depth=1
	s_or_b32 exec_lo, exec_lo, s0
                                        ; implicit-def: $vgpr0_vgpr1
.LBB25_1286:                            ;   in Loop: Header=BB25_17 Depth=1
	s_and_not1_saveexec_b32 s0, s30
	s_cbranch_execz .LBB25_1288
; %bb.1287:                             ;   in Loop: Header=BB25_17 Depth=1
	flat_load_b32 v0, v[0:1]
	s_waitcnt vmcnt(0) lgkmcnt(0)
	v_cvt_f32_f16_e32 v12, v0
.LBB25_1288:                            ;   in Loop: Header=BB25_17 Depth=1
	s_or_b32 exec_lo, exec_lo, s0
                                        ; implicit-def: $vgpr0_vgpr1
                                        ; implicit-def: $vgpr13
.LBB25_1289:                            ;   in Loop: Header=BB25_17 Depth=1
	s_and_not1_saveexec_b32 vcc_hi, vcc_hi
	s_cbranch_execz .LBB25_1299
; %bb.1290:                             ;   in Loop: Header=BB25_17 Depth=1
	s_mov_b32 s30, exec_lo
                                        ; implicit-def: $vgpr12
	v_cmpx_lt_i16_e32 5, v13
	s_xor_b32 s30, exec_lo, s30
	s_cbranch_execz .LBB25_1296
; %bb.1291:                             ;   in Loop: Header=BB25_17 Depth=1
	v_cmp_lt_i16_e64 s0, 6, v13
                                        ; implicit-def: $vgpr12
	s_delay_alu instid0(VALU_DEP_1) | instskip(NEXT) | instid1(SALU_CYCLE_1)
	s_and_saveexec_b32 s31, s0
	s_xor_b32 s0, exec_lo, s31
	s_cbranch_execz .LBB25_1293
; %bb.1292:                             ;   in Loop: Header=BB25_17 Depth=1
	flat_load_b64 v[0:1], v[0:1]
	s_waitcnt vmcnt(0) lgkmcnt(0)
	v_cvt_f32_f64_e32 v12, v[0:1]
                                        ; implicit-def: $vgpr0_vgpr1
.LBB25_1293:                            ;   in Loop: Header=BB25_17 Depth=1
	s_and_not1_saveexec_b32 s0, s0
	s_cbranch_execz .LBB25_1295
; %bb.1294:                             ;   in Loop: Header=BB25_17 Depth=1
	s_waitcnt vmcnt(0) lgkmcnt(0)
	flat_load_b32 v12, v[0:1]
.LBB25_1295:                            ;   in Loop: Header=BB25_17 Depth=1
	s_or_b32 exec_lo, exec_lo, s0
                                        ; implicit-def: $vgpr0_vgpr1
.LBB25_1296:                            ;   in Loop: Header=BB25_17 Depth=1
	s_and_not1_saveexec_b32 s0, s30
	s_cbranch_execz .LBB25_1298
; %bb.1297:                             ;   in Loop: Header=BB25_17 Depth=1
	flat_load_u16 v0, v[0:1]
	s_waitcnt vmcnt(0) lgkmcnt(0)
	v_cvt_f32_f16_e32 v12, v0
.LBB25_1298:                            ;   in Loop: Header=BB25_17 Depth=1
	s_or_b32 exec_lo, exec_lo, s0
.LBB25_1299:                            ;   in Loop: Header=BB25_17 Depth=1
	s_delay_alu instid0(SALU_CYCLE_1)
	s_or_b32 exec_lo, exec_lo, vcc_hi
                                        ; implicit-def: $vgpr13
                                        ; implicit-def: $vgpr0_vgpr1
.LBB25_1300:                            ;   in Loop: Header=BB25_17 Depth=1
	s_and_not1_saveexec_b32 s29, s29
	s_cbranch_execz .LBB25_1318
; %bb.1301:                             ;   in Loop: Header=BB25_17 Depth=1
	s_mov_b32 vcc_hi, exec_lo
                                        ; implicit-def: $vgpr12
	v_cmpx_lt_i16_e32 1, v13
	s_xor_b32 vcc_hi, exec_lo, vcc_hi
	s_cbranch_execz .LBB25_1311
; %bb.1302:                             ;   in Loop: Header=BB25_17 Depth=1
	s_mov_b32 s30, exec_lo
                                        ; implicit-def: $vgpr12
	v_cmpx_lt_i16_e32 2, v13
	s_xor_b32 s30, exec_lo, s30
	s_cbranch_execz .LBB25_1308
; %bb.1303:                             ;   in Loop: Header=BB25_17 Depth=1
	v_cmp_lt_i16_e64 s0, 3, v13
                                        ; implicit-def: $vgpr12
	s_delay_alu instid0(VALU_DEP_1) | instskip(NEXT) | instid1(SALU_CYCLE_1)
	s_and_saveexec_b32 s31, s0
	s_xor_b32 s0, exec_lo, s31
	s_cbranch_execz .LBB25_1305
; %bb.1304:                             ;   in Loop: Header=BB25_17 Depth=1
	flat_load_b64 v[0:1], v[0:1]
	s_waitcnt vmcnt(0) lgkmcnt(0)
	v_xor_b32_e32 v12, v0, v1
	v_cls_i32_e32 v13, v1
	s_delay_alu instid0(VALU_DEP_2) | instskip(NEXT) | instid1(VALU_DEP_2)
	v_ashrrev_i32_e32 v12, 31, v12
	v_add_nc_u32_e32 v13, -1, v13
	s_delay_alu instid0(VALU_DEP_2) | instskip(NEXT) | instid1(VALU_DEP_1)
	v_add_nc_u32_e32 v12, 32, v12
	v_min_u32_e32 v12, v13, v12
	s_delay_alu instid0(VALU_DEP_1) | instskip(NEXT) | instid1(VALU_DEP_1)
	v_lshlrev_b64 v[0:1], v12, v[0:1]
	v_min_u32_e32 v0, 1, v0
	s_delay_alu instid0(VALU_DEP_1) | instskip(SKIP_1) | instid1(VALU_DEP_2)
	v_or_b32_e32 v0, v1, v0
	v_sub_nc_u32_e32 v1, 32, v12
	v_cvt_f32_i32_e32 v0, v0
	s_delay_alu instid0(VALU_DEP_1)
	v_ldexp_f32 v12, v0, v1
                                        ; implicit-def: $vgpr0_vgpr1
.LBB25_1305:                            ;   in Loop: Header=BB25_17 Depth=1
	s_and_not1_saveexec_b32 s0, s0
	s_cbranch_execz .LBB25_1307
; %bb.1306:                             ;   in Loop: Header=BB25_17 Depth=1
	flat_load_b32 v0, v[0:1]
	s_waitcnt vmcnt(0) lgkmcnt(0)
	v_cvt_f32_i32_e32 v12, v0
.LBB25_1307:                            ;   in Loop: Header=BB25_17 Depth=1
	s_or_b32 exec_lo, exec_lo, s0
                                        ; implicit-def: $vgpr0_vgpr1
.LBB25_1308:                            ;   in Loop: Header=BB25_17 Depth=1
	s_and_not1_saveexec_b32 s0, s30
	s_cbranch_execz .LBB25_1310
; %bb.1309:                             ;   in Loop: Header=BB25_17 Depth=1
	flat_load_i16 v0, v[0:1]
	s_waitcnt vmcnt(0) lgkmcnt(0)
	v_cvt_f32_i32_e32 v12, v0
.LBB25_1310:                            ;   in Loop: Header=BB25_17 Depth=1
	s_or_b32 exec_lo, exec_lo, s0
                                        ; implicit-def: $vgpr0_vgpr1
                                        ; implicit-def: $vgpr13
.LBB25_1311:                            ;   in Loop: Header=BB25_17 Depth=1
	s_and_not1_saveexec_b32 vcc_hi, vcc_hi
	s_cbranch_execz .LBB25_1317
; %bb.1312:                             ;   in Loop: Header=BB25_17 Depth=1
	v_cmp_lt_i16_e64 s0, 0, v13
                                        ; implicit-def: $vgpr12
	s_delay_alu instid0(VALU_DEP_1) | instskip(NEXT) | instid1(SALU_CYCLE_1)
	s_and_saveexec_b32 s30, s0
	s_xor_b32 s0, exec_lo, s30
	s_cbranch_execz .LBB25_1314
; %bb.1313:                             ;   in Loop: Header=BB25_17 Depth=1
	flat_load_i8 v0, v[0:1]
	s_waitcnt vmcnt(0) lgkmcnt(0)
	v_cvt_f32_i32_e32 v12, v0
                                        ; implicit-def: $vgpr0_vgpr1
.LBB25_1314:                            ;   in Loop: Header=BB25_17 Depth=1
	s_and_not1_saveexec_b32 s0, s0
	s_cbranch_execz .LBB25_1316
; %bb.1315:                             ;   in Loop: Header=BB25_17 Depth=1
	flat_load_u8 v0, v[0:1]
	s_waitcnt vmcnt(0) lgkmcnt(0)
	v_cvt_f32_ubyte0_e32 v12, v0
.LBB25_1316:                            ;   in Loop: Header=BB25_17 Depth=1
	s_or_b32 exec_lo, exec_lo, s0
.LBB25_1317:                            ;   in Loop: Header=BB25_17 Depth=1
	s_delay_alu instid0(SALU_CYCLE_1)
	s_or_b32 exec_lo, exec_lo, vcc_hi
.LBB25_1318:                            ;   in Loop: Header=BB25_17 Depth=1
	s_delay_alu instid0(SALU_CYCLE_1) | instskip(NEXT) | instid1(SALU_CYCLE_1)
	s_or_b32 exec_lo, exec_lo, s29
	s_and_not1_b32 s27, s27, exec_lo
	s_and_not1_b32 s26, s26, exec_lo
	s_or_b32 s28, s28, exec_lo
	s_or_b32 exec_lo, exec_lo, s25
	s_mov_b32 s0, 0
	s_and_saveexec_b32 s25, s28
	s_cbranch_execnz .LBB25_1195
	s_branch .LBB25_1196
.LBB25_1319:                            ;   in Loop: Header=BB25_17 Depth=1
	s_mov_b32 s23, exec_lo
                                        ; implicit-def: $sgpr29
                                        ; implicit-def: $sgpr24
                                        ; implicit-def: $vgpr13
	v_cmpx_lt_i16_e32 25, v2
	s_xor_b32 s23, exec_lo, s23
	s_cbranch_execz .LBB25_1351
; %bb.1320:                             ;   in Loop: Header=BB25_17 Depth=1
	s_mov_b32 s24, exec_lo
                                        ; implicit-def: $sgpr29
                                        ; implicit-def: $vcc_hi
                                        ; implicit-def: $vgpr13
	v_cmpx_lt_i16_e32 28, v2
	s_xor_b32 s24, exec_lo, s24
	s_cbranch_execz .LBB25_1336
; %bb.1321:                             ;   in Loop: Header=BB25_17 Depth=1
	s_mov_b32 s30, 0
	s_mov_b32 s28, exec_lo
                                        ; implicit-def: $sgpr29
                                        ; implicit-def: $vcc_hi
                                        ; implicit-def: $vgpr13
	v_cmpx_lt_i16_e32 43, v2
	s_xor_b32 s28, exec_lo, s28
	s_cbranch_execz .LBB25_1331
; %bb.1322:                             ;   in Loop: Header=BB25_17 Depth=1
	s_mov_b32 vcc_hi, exec_lo
                                        ; implicit-def: $sgpr29
                                        ; implicit-def: $sgpr31
                                        ; implicit-def: $vgpr13
	v_cmpx_lt_i16_e32 45, v2
	s_xor_b32 vcc_hi, exec_lo, vcc_hi
	s_cbranch_execz .LBB25_1326
; %bb.1323:                             ;   in Loop: Header=BB25_17 Depth=1
	s_mov_b32 s29, 0
	s_mov_b32 s31, exec_lo
                                        ; implicit-def: $vgpr13
	v_cmpx_eq_u16_e32 46, v2
	s_cbranch_execz .LBB25_1325
; %bb.1324:                             ;   in Loop: Header=BB25_17 Depth=1
	flat_load_b32 v0, v[0:1]
	s_mov_b32 s30, exec_lo
	s_waitcnt vmcnt(0) lgkmcnt(0)
	v_lshlrev_b32_e32 v13, 16, v0
.LBB25_1325:                            ;   in Loop: Header=BB25_17 Depth=1
	s_or_b32 exec_lo, exec_lo, s31
	s_mov_b32 s31, -1
	s_and_b32 s30, s30, exec_lo
                                        ; implicit-def: $vgpr0_vgpr1
.LBB25_1326:                            ;   in Loop: Header=BB25_17 Depth=1
	s_and_not1_saveexec_b32 vcc_hi, vcc_hi
	s_cbranch_execz .LBB25_1330
; %bb.1327:                             ;   in Loop: Header=BB25_17 Depth=1
	s_mov_b32 s35, s30
	s_mov_b32 s34, exec_lo
                                        ; implicit-def: $vgpr13
	v_cmpx_eq_u16_e32 44, v2
	s_cbranch_execz .LBB25_1329
; %bb.1328:                             ;   in Loop: Header=BB25_17 Depth=1
	flat_load_u8 v0, v[0:1]
	s_or_b32 s35, s30, exec_lo
	s_waitcnt vmcnt(0) lgkmcnt(0)
	v_lshlrev_b32_e32 v1, 23, v0
	v_cmp_ne_u32_e64 s0, 0xff, v0
	s_delay_alu instid0(VALU_DEP_1) | instskip(SKIP_1) | instid1(VALU_DEP_1)
	v_cndmask_b32_e64 v1, 0x7f800001, v1, s0
	v_cmp_ne_u32_e64 s0, 0, v0
	v_cndmask_b32_e64 v13, 0x400000, v1, s0
.LBB25_1329:                            ;   in Loop: Header=BB25_17 Depth=1
	s_or_b32 exec_lo, exec_lo, s34
	s_delay_alu instid0(SALU_CYCLE_1)
	s_and_not1_b32 s0, s30, exec_lo
	s_and_b32 s30, s35, exec_lo
	s_and_not1_b32 s29, s29, exec_lo
	s_or_b32 s31, s31, exec_lo
	s_or_b32 s30, s0, s30
.LBB25_1330:                            ;   in Loop: Header=BB25_17 Depth=1
	s_or_b32 exec_lo, exec_lo, vcc_hi
	s_delay_alu instid0(SALU_CYCLE_1)
	s_and_b32 vcc_hi, s29, exec_lo
	s_and_b32 s29, s31, exec_lo
	s_and_b32 s30, s30, exec_lo
                                        ; implicit-def: $vgpr0_vgpr1
.LBB25_1331:                            ;   in Loop: Header=BB25_17 Depth=1
	s_and_not1_saveexec_b32 s28, s28
	s_cbranch_execz .LBB25_1335
; %bb.1332:                             ;   in Loop: Header=BB25_17 Depth=1
	s_mov_b32 s34, s30
	s_mov_b32 s31, exec_lo
                                        ; implicit-def: $vgpr13
	v_cmpx_eq_u16_e32 29, v2
	s_cbranch_execz .LBB25_1334
; %bb.1333:                             ;   in Loop: Header=BB25_17 Depth=1
	flat_load_b64 v[0:1], v[0:1]
	s_or_b32 s34, s30, exec_lo
	s_waitcnt vmcnt(0) lgkmcnt(0)
	v_clz_i32_u32_e32 v8, v1
	s_delay_alu instid0(VALU_DEP_1) | instskip(NEXT) | instid1(VALU_DEP_1)
	v_min_u32_e32 v8, 32, v8
	v_lshlrev_b64 v[0:1], v8, v[0:1]
	s_delay_alu instid0(VALU_DEP_1) | instskip(NEXT) | instid1(VALU_DEP_1)
	v_min_u32_e32 v0, 1, v0
	v_or_b32_e32 v0, v1, v0
	v_sub_nc_u32_e32 v1, 32, v8
	s_delay_alu instid0(VALU_DEP_2) | instskip(NEXT) | instid1(VALU_DEP_1)
	v_cvt_f32_u32_e32 v0, v0
	v_ldexp_f32 v13, v0, v1
.LBB25_1334:                            ;   in Loop: Header=BB25_17 Depth=1
	s_or_b32 exec_lo, exec_lo, s31
	s_delay_alu instid0(SALU_CYCLE_1)
	s_and_not1_b32 s0, s30, exec_lo
	s_and_b32 s30, s34, exec_lo
	s_and_not1_b32 vcc_hi, vcc_hi, exec_lo
	s_or_b32 s29, s29, exec_lo
	s_or_b32 s30, s0, s30
.LBB25_1335:                            ;   in Loop: Header=BB25_17 Depth=1
	s_or_b32 exec_lo, exec_lo, s28
	s_delay_alu instid0(SALU_CYCLE_1)
	s_and_b32 vcc_hi, vcc_hi, exec_lo
	s_and_b32 s29, s29, exec_lo
	s_and_b32 s28, s30, exec_lo
                                        ; implicit-def: $vgpr0_vgpr1
.LBB25_1336:                            ;   in Loop: Header=BB25_17 Depth=1
	s_and_not1_saveexec_b32 s24, s24
	s_cbranch_execz .LBB25_1350
; %bb.1337:                             ;   in Loop: Header=BB25_17 Depth=1
	s_mov_b32 s30, exec_lo
                                        ; implicit-def: $vgpr13
	v_cmpx_lt_i16_e32 26, v2
	s_xor_b32 s30, exec_lo, s30
	s_cbranch_execz .LBB25_1343
; %bb.1338:                             ;   in Loop: Header=BB25_17 Depth=1
	v_cmp_lt_i16_e64 s0, 27, v2
                                        ; implicit-def: $vgpr13
	s_delay_alu instid0(VALU_DEP_1) | instskip(NEXT) | instid1(SALU_CYCLE_1)
	s_and_saveexec_b32 s31, s0
	s_xor_b32 s0, exec_lo, s31
	s_cbranch_execz .LBB25_1340
; %bb.1339:                             ;   in Loop: Header=BB25_17 Depth=1
	flat_load_b32 v0, v[0:1]
	s_waitcnt vmcnt(0) lgkmcnt(0)
	v_cvt_f32_u32_e32 v13, v0
                                        ; implicit-def: $vgpr0_vgpr1
.LBB25_1340:                            ;   in Loop: Header=BB25_17 Depth=1
	s_and_not1_saveexec_b32 s0, s0
	s_cbranch_execz .LBB25_1342
; %bb.1341:                             ;   in Loop: Header=BB25_17 Depth=1
	flat_load_u16 v0, v[0:1]
	s_waitcnt vmcnt(0) lgkmcnt(0)
	v_cvt_f32_u32_e32 v13, v0
.LBB25_1342:                            ;   in Loop: Header=BB25_17 Depth=1
	s_or_b32 exec_lo, exec_lo, s0
                                        ; implicit-def: $vgpr0_vgpr1
.LBB25_1343:                            ;   in Loop: Header=BB25_17 Depth=1
	s_and_not1_saveexec_b32 s30, s30
	s_cbranch_execz .LBB25_1349
; %bb.1344:                             ;   in Loop: Header=BB25_17 Depth=1
	flat_load_u8 v0, v[0:1]
	s_mov_b32 s31, 0
	s_mov_b32 s35, exec_lo
                                        ; implicit-def: $sgpr34
	s_waitcnt vmcnt(0) lgkmcnt(0)
	v_cmpx_lt_i16_e32 0x7f, v0
	s_xor_b32 s35, exec_lo, s35
	s_cbranch_execnz .LBB25_2123
; %bb.1345:                             ;   in Loop: Header=BB25_17 Depth=1
	s_or_saveexec_b32 s35, s35
	v_mov_b32_e32 v13, s34
	s_xor_b32 exec_lo, exec_lo, s35
	s_cbranch_execnz .LBB25_2126
.LBB25_1346:                            ;   in Loop: Header=BB25_17 Depth=1
	s_or_b32 exec_lo, exec_lo, s35
	s_and_saveexec_b32 s34, s31
	s_cbranch_execz .LBB25_1348
.LBB25_1347:                            ;   in Loop: Header=BB25_17 Depth=1
	v_and_b32_e32 v1, 0xffff, v0
	v_lshlrev_b32_e32 v0, 24, v0
	s_delay_alu instid0(VALU_DEP_2) | instskip(NEXT) | instid1(VALU_DEP_2)
	v_and_b32_e32 v8, 7, v1
	v_and_b32_e32 v0, 0x80000000, v0
	s_delay_alu instid0(VALU_DEP_2) | instskip(NEXT) | instid1(VALU_DEP_1)
	v_clz_i32_u32_e32 v13, v8
	v_min_u32_e32 v13, 32, v13
	s_delay_alu instid0(VALU_DEP_1) | instskip(SKIP_1) | instid1(VALU_DEP_2)
	v_subrev_nc_u32_e32 v14, 28, v13
	v_sub_nc_u32_e32 v13, 29, v13
	v_lshlrev_b32_e32 v14, v14, v1
	v_bfe_u32 v1, v1, 3, 4
	s_delay_alu instid0(VALU_DEP_2) | instskip(NEXT) | instid1(VALU_DEP_2)
	v_and_b32_e32 v14, 7, v14
	v_cmp_eq_u32_e64 s0, 0, v1
	s_delay_alu instid0(VALU_DEP_1) | instskip(NEXT) | instid1(VALU_DEP_3)
	v_cndmask_b32_e64 v1, v1, v13, s0
	v_cndmask_b32_e64 v8, v8, v14, s0
	s_delay_alu instid0(VALU_DEP_2) | instskip(NEXT) | instid1(VALU_DEP_2)
	v_lshl_add_u32 v1, v1, 23, 0x3b800000
	v_lshlrev_b32_e32 v8, 20, v8
	s_delay_alu instid0(VALU_DEP_1)
	v_or3_b32 v13, v0, v1, v8
.LBB25_1348:                            ;   in Loop: Header=BB25_17 Depth=1
	s_or_b32 exec_lo, exec_lo, s34
.LBB25_1349:                            ;   in Loop: Header=BB25_17 Depth=1
	s_delay_alu instid0(SALU_CYCLE_1) | instskip(NEXT) | instid1(SALU_CYCLE_1)
	s_or_b32 exec_lo, exec_lo, s30
	s_and_not1_b32 vcc_hi, vcc_hi, exec_lo
	s_and_not1_b32 s29, s29, exec_lo
	s_or_b32 s28, s28, exec_lo
.LBB25_1350:                            ;   in Loop: Header=BB25_17 Depth=1
	s_or_b32 exec_lo, exec_lo, s24
	s_delay_alu instid0(SALU_CYCLE_1)
	s_and_b32 s24, vcc_hi, exec_lo
	s_and_b32 s29, s29, exec_lo
	s_and_b32 s28, s28, exec_lo
                                        ; implicit-def: $vgpr0_vgpr1
.LBB25_1351:                            ;   in Loop: Header=BB25_17 Depth=1
	s_and_not1_saveexec_b32 s23, s23
	s_cbranch_execz .LBB25_1377
; %bb.1352:                             ;   in Loop: Header=BB25_17 Depth=1
	s_mov_b32 s30, s28
	s_mov_b32 vcc_hi, exec_lo
                                        ; implicit-def: $vgpr13
	v_cmpx_lt_i16_e32 22, v2
	s_xor_b32 vcc_hi, exec_lo, vcc_hi
	s_cbranch_execz .LBB25_1366
; %bb.1353:                             ;   in Loop: Header=BB25_17 Depth=1
	s_mov_b32 s30, exec_lo
                                        ; implicit-def: $vgpr13
	v_cmpx_lt_i16_e32 23, v2
	s_xor_b32 s30, exec_lo, s30
	s_cbranch_execz .LBB25_1363
; %bb.1354:                             ;   in Loop: Header=BB25_17 Depth=1
	s_mov_b32 s31, exec_lo
                                        ; implicit-def: $vgpr13
	v_cmpx_lt_i16_e32 24, v2
	s_xor_b32 s31, exec_lo, s31
	s_cbranch_execz .LBB25_1360
; %bb.1355:                             ;   in Loop: Header=BB25_17 Depth=1
	flat_load_u8 v0, v[0:1]
	s_mov_b32 s34, 0
	s_mov_b32 s36, exec_lo
                                        ; implicit-def: $sgpr35
	s_waitcnt vmcnt(0) lgkmcnt(0)
	v_cmpx_lt_i16_e32 0x7f, v0
	s_xor_b32 s36, exec_lo, s36
	s_cbranch_execnz .LBB25_2342
; %bb.1356:                             ;   in Loop: Header=BB25_17 Depth=1
	s_or_saveexec_b32 s36, s36
	v_mov_b32_e32 v13, s35
	s_xor_b32 exec_lo, exec_lo, s36
	s_cbranch_execnz .LBB25_2345
.LBB25_1357:                            ;   in Loop: Header=BB25_17 Depth=1
	s_or_b32 exec_lo, exec_lo, s36
	s_and_saveexec_b32 s35, s34
	s_cbranch_execz .LBB25_1359
.LBB25_1358:                            ;   in Loop: Header=BB25_17 Depth=1
	v_and_b32_e32 v1, 0xffff, v0
	v_lshlrev_b32_e32 v0, 24, v0
	s_delay_alu instid0(VALU_DEP_2) | instskip(NEXT) | instid1(VALU_DEP_2)
	v_and_b32_e32 v8, 3, v1
	v_and_b32_e32 v0, 0x80000000, v0
	s_delay_alu instid0(VALU_DEP_2) | instskip(NEXT) | instid1(VALU_DEP_1)
	v_clz_i32_u32_e32 v13, v8
	v_min_u32_e32 v13, 32, v13
	s_delay_alu instid0(VALU_DEP_1) | instskip(SKIP_1) | instid1(VALU_DEP_2)
	v_subrev_nc_u32_e32 v14, 29, v13
	v_sub_nc_u32_e32 v13, 30, v13
	v_lshlrev_b32_e32 v14, v14, v1
	v_bfe_u32 v1, v1, 2, 5
	s_delay_alu instid0(VALU_DEP_2) | instskip(NEXT) | instid1(VALU_DEP_2)
	v_and_b32_e32 v14, 3, v14
	v_cmp_eq_u32_e64 s0, 0, v1
	s_delay_alu instid0(VALU_DEP_1) | instskip(NEXT) | instid1(VALU_DEP_3)
	v_cndmask_b32_e64 v1, v1, v13, s0
	v_cndmask_b32_e64 v8, v8, v14, s0
	s_delay_alu instid0(VALU_DEP_2) | instskip(NEXT) | instid1(VALU_DEP_2)
	v_lshl_add_u32 v1, v1, 23, 0x37800000
	v_lshlrev_b32_e32 v8, 21, v8
	s_delay_alu instid0(VALU_DEP_1)
	v_or3_b32 v13, v0, v1, v8
.LBB25_1359:                            ;   in Loop: Header=BB25_17 Depth=1
	s_or_b32 exec_lo, exec_lo, s35
                                        ; implicit-def: $vgpr0_vgpr1
.LBB25_1360:                            ;   in Loop: Header=BB25_17 Depth=1
	s_and_not1_saveexec_b32 s31, s31
	s_cbranch_execz .LBB25_1362
; %bb.1361:                             ;   in Loop: Header=BB25_17 Depth=1
	flat_load_u8 v0, v[0:1]
	s_waitcnt vmcnt(0) lgkmcnt(0)
	v_lshlrev_b32_e32 v0, 24, v0
	s_delay_alu instid0(VALU_DEP_1) | instskip(NEXT) | instid1(VALU_DEP_1)
	v_and_b32_e32 v1, 0x7f000000, v0
	v_clz_i32_u32_e32 v8, v1
	v_add_nc_u32_e32 v14, 0x1000000, v1
	v_cmp_ne_u32_e64 s0, 0, v1
	s_delay_alu instid0(VALU_DEP_3) | instskip(NEXT) | instid1(VALU_DEP_1)
	v_min_u32_e32 v8, 32, v8
	v_sub_nc_u32_e64 v8, v8, 4 clamp
	s_delay_alu instid0(VALU_DEP_1) | instskip(SKIP_1) | instid1(VALU_DEP_2)
	v_lshlrev_b32_e32 v13, v8, v1
	v_lshlrev_b32_e32 v8, 23, v8
	v_lshrrev_b32_e32 v13, 4, v13
	s_delay_alu instid0(VALU_DEP_1) | instskip(SKIP_1) | instid1(VALU_DEP_2)
	v_sub_nc_u32_e32 v8, v13, v8
	v_ashrrev_i32_e32 v13, 8, v14
	v_add_nc_u32_e32 v8, 0x3c000000, v8
	s_delay_alu instid0(VALU_DEP_1) | instskip(NEXT) | instid1(VALU_DEP_1)
	v_and_or_b32 v8, 0x7f800000, v13, v8
	v_cndmask_b32_e64 v1, 0, v8, s0
	s_delay_alu instid0(VALU_DEP_1)
	v_and_or_b32 v13, 0x80000000, v0, v1
.LBB25_1362:                            ;   in Loop: Header=BB25_17 Depth=1
	s_or_b32 exec_lo, exec_lo, s31
                                        ; implicit-def: $vgpr0_vgpr1
.LBB25_1363:                            ;   in Loop: Header=BB25_17 Depth=1
	s_and_not1_saveexec_b32 s30, s30
	s_cbranch_execz .LBB25_1365
; %bb.1364:                             ;   in Loop: Header=BB25_17 Depth=1
	flat_load_u8 v0, v[0:1]
	s_waitcnt vmcnt(0) lgkmcnt(0)
	v_lshlrev_b32_e32 v1, 25, v0
	v_lshlrev_b16 v0, 8, v0
	s_delay_alu instid0(VALU_DEP_2) | instskip(NEXT) | instid1(VALU_DEP_2)
	v_lshrrev_b32_e32 v8, 4, v1
	v_and_or_b32 v13, 0x7f00, v0, 0.5
	v_cmp_gt_u32_e64 s0, 0x8000000, v1
	v_bfe_i32 v0, v0, 0, 16
	s_delay_alu instid0(VALU_DEP_4) | instskip(NEXT) | instid1(VALU_DEP_1)
	v_or_b32_e32 v8, 0x70000000, v8
	v_dual_add_f32 v13, -0.5, v13 :: v_dual_mul_f32 v8, 0x7800000, v8
	s_delay_alu instid0(VALU_DEP_1) | instskip(NEXT) | instid1(VALU_DEP_1)
	v_cndmask_b32_e64 v1, v8, v13, s0
	v_and_or_b32 v13, 0x80000000, v0, v1
.LBB25_1365:                            ;   in Loop: Header=BB25_17 Depth=1
	s_or_b32 exec_lo, exec_lo, s30
	s_delay_alu instid0(SALU_CYCLE_1)
	s_or_b32 s30, s28, exec_lo
                                        ; implicit-def: $vgpr0_vgpr1
.LBB25_1366:                            ;   in Loop: Header=BB25_17 Depth=1
	s_or_saveexec_b32 vcc_hi, vcc_hi
                                        ; implicit-def: $sgpr31
                                        ; implicit-def: $sgpr0
	s_delay_alu instid0(SALU_CYCLE_1)
	s_xor_b32 exec_lo, exec_lo, vcc_hi
	s_cbranch_execz .LBB25_1376
; %bb.1367:                             ;   in Loop: Header=BB25_17 Depth=1
	s_mov_b32 s34, s30
	s_mov_b32 s36, exec_lo
                                        ; implicit-def: $sgpr35
                                        ; implicit-def: $sgpr31
                                        ; implicit-def: $vgpr13
	v_cmpx_lt_i16_e32 14, v2
	s_xor_b32 s36, exec_lo, s36
	s_cbranch_execz .LBB25_1371
; %bb.1368:                             ;   in Loop: Header=BB25_17 Depth=1
	s_mov_b32 s34, s30
	s_mov_b32 s31, exec_lo
                                        ; implicit-def: $vgpr13
	v_cmpx_eq_u16_e32 15, v2
	s_cbranch_execz .LBB25_1370
; %bb.1369:                             ;   in Loop: Header=BB25_17 Depth=1
	flat_load_u16 v0, v[0:1]
	s_or_b32 s34, s30, exec_lo
	s_waitcnt vmcnt(0) lgkmcnt(0)
	v_lshlrev_b32_e32 v13, 16, v0
.LBB25_1370:                            ;   in Loop: Header=BB25_17 Depth=1
	s_or_b32 exec_lo, exec_lo, s31
	s_delay_alu instid0(SALU_CYCLE_1)
	s_and_not1_b32 s0, s30, exec_lo
	s_and_b32 s34, s34, exec_lo
	s_mov_b32 s31, -1
	s_mov_b32 s35, 0
	s_or_b32 s34, s0, s34
                                        ; implicit-def: $vgpr0_vgpr1
.LBB25_1371:                            ;   in Loop: Header=BB25_17 Depth=1
	s_and_not1_saveexec_b32 s36, s36
	s_cbranch_execz .LBB25_1375
; %bb.1372:                             ;   in Loop: Header=BB25_17 Depth=1
	s_mov_b32 s37, s34
	s_mov_b32 s39, exec_lo
                                        ; implicit-def: $vgpr13
	v_cmpx_eq_u16_e32 11, v2
	s_cbranch_execz .LBB25_1374
; %bb.1373:                             ;   in Loop: Header=BB25_17 Depth=1
	flat_load_u8 v0, v[0:1]
	s_or_b32 s37, s34, exec_lo
	s_waitcnt vmcnt(0) lgkmcnt(0)
	v_cmp_ne_u16_e64 s0, 0, v0
	s_delay_alu instid0(VALU_DEP_1)
	v_cndmask_b32_e64 v13, 0, 1.0, s0
.LBB25_1374:                            ;   in Loop: Header=BB25_17 Depth=1
	s_or_b32 exec_lo, exec_lo, s39
	s_delay_alu instid0(SALU_CYCLE_1)
	s_and_not1_b32 s0, s34, exec_lo
	s_and_b32 s34, s37, exec_lo
	s_and_not1_b32 s35, s35, exec_lo
	s_or_b32 s31, s31, exec_lo
	s_or_b32 s34, s0, s34
.LBB25_1375:                            ;   in Loop: Header=BB25_17 Depth=1
	s_or_b32 exec_lo, exec_lo, s36
	s_delay_alu instid0(SALU_CYCLE_1)
	s_and_not1_b32 s30, s30, exec_lo
	s_and_b32 s34, s34, exec_lo
	s_and_b32 s0, s35, exec_lo
	;; [unrolled: 1-line block ×3, first 2 shown]
	s_or_b32 s30, s30, s34
.LBB25_1376:                            ;   in Loop: Header=BB25_17 Depth=1
	s_or_b32 exec_lo, exec_lo, vcc_hi
	s_delay_alu instid0(SALU_CYCLE_1)
	s_and_not1_b32 s24, s24, exec_lo
	s_and_b32 s0, s0, exec_lo
	s_and_not1_b32 s28, s28, exec_lo
	s_or_b32 s24, s24, s0
	s_and_not1_b32 s0, s29, exec_lo
	s_and_b32 s29, s31, exec_lo
	s_and_b32 vcc_hi, s30, exec_lo
	s_or_b32 s29, s0, s29
	s_or_b32 s28, s28, vcc_hi
.LBB25_1377:                            ;   in Loop: Header=BB25_17 Depth=1
	s_or_b32 exec_lo, exec_lo, s23
	s_delay_alu instid0(SALU_CYCLE_1)
	s_and_b32 s24, s24, exec_lo
	s_and_b32 s23, s29, exec_lo
	;; [unrolled: 1-line block ×3, first 2 shown]
                                        ; implicit-def: $vgpr0_vgpr1
	s_and_not1_saveexec_b32 s27, s27
	s_cbranch_execz .LBB25_1202
.LBB25_1378:                            ;   in Loop: Header=BB25_17 Depth=1
	s_mov_b32 s29, exec_lo
                                        ; implicit-def: $vgpr13
	v_cmpx_lt_i16_e32 4, v2
	s_xor_b32 s29, exec_lo, s29
	s_cbranch_execz .LBB25_1400
; %bb.1379:                             ;   in Loop: Header=BB25_17 Depth=1
	s_mov_b32 vcc_hi, exec_lo
                                        ; implicit-def: $vgpr13
	v_cmpx_lt_i16_e32 7, v2
	s_xor_b32 vcc_hi, exec_lo, vcc_hi
	s_cbranch_execz .LBB25_1389
; %bb.1380:                             ;   in Loop: Header=BB25_17 Depth=1
	s_mov_b32 s30, exec_lo
                                        ; implicit-def: $vgpr13
	v_cmpx_lt_i16_e32 8, v2
	s_xor_b32 s30, exec_lo, s30
	s_cbranch_execz .LBB25_1386
; %bb.1381:                             ;   in Loop: Header=BB25_17 Depth=1
	v_cmp_lt_i16_e64 s0, 9, v2
                                        ; implicit-def: $vgpr13
	s_delay_alu instid0(VALU_DEP_1) | instskip(NEXT) | instid1(SALU_CYCLE_1)
	s_and_saveexec_b32 s31, s0
	s_xor_b32 s0, exec_lo, s31
	s_cbranch_execz .LBB25_1383
; %bb.1382:                             ;   in Loop: Header=BB25_17 Depth=1
	flat_load_b64 v[0:1], v[0:1]
	s_waitcnt vmcnt(0) lgkmcnt(0)
	v_cvt_f32_f64_e32 v13, v[0:1]
                                        ; implicit-def: $vgpr0_vgpr1
.LBB25_1383:                            ;   in Loop: Header=BB25_17 Depth=1
	s_and_not1_saveexec_b32 s0, s0
	s_cbranch_execz .LBB25_1385
; %bb.1384:                             ;   in Loop: Header=BB25_17 Depth=1
	flat_load_b32 v13, v[0:1]
.LBB25_1385:                            ;   in Loop: Header=BB25_17 Depth=1
	s_or_b32 exec_lo, exec_lo, s0
                                        ; implicit-def: $vgpr0_vgpr1
.LBB25_1386:                            ;   in Loop: Header=BB25_17 Depth=1
	s_and_not1_saveexec_b32 s0, s30
	s_cbranch_execz .LBB25_1388
; %bb.1387:                             ;   in Loop: Header=BB25_17 Depth=1
	flat_load_b32 v0, v[0:1]
	s_waitcnt vmcnt(0) lgkmcnt(0)
	v_cvt_f32_f16_e32 v13, v0
.LBB25_1388:                            ;   in Loop: Header=BB25_17 Depth=1
	s_or_b32 exec_lo, exec_lo, s0
                                        ; implicit-def: $vgpr0_vgpr1
.LBB25_1389:                            ;   in Loop: Header=BB25_17 Depth=1
	s_and_not1_saveexec_b32 vcc_hi, vcc_hi
	s_cbranch_execz .LBB25_1399
; %bb.1390:                             ;   in Loop: Header=BB25_17 Depth=1
	s_mov_b32 s30, exec_lo
                                        ; implicit-def: $vgpr13
	v_cmpx_lt_i16_e32 5, v2
	s_xor_b32 s30, exec_lo, s30
	s_cbranch_execz .LBB25_1396
; %bb.1391:                             ;   in Loop: Header=BB25_17 Depth=1
	v_cmp_lt_i16_e64 s0, 6, v2
                                        ; implicit-def: $vgpr13
	s_delay_alu instid0(VALU_DEP_1) | instskip(NEXT) | instid1(SALU_CYCLE_1)
	s_and_saveexec_b32 s31, s0
	s_xor_b32 s0, exec_lo, s31
	s_cbranch_execz .LBB25_1393
; %bb.1392:                             ;   in Loop: Header=BB25_17 Depth=1
	flat_load_b64 v[0:1], v[0:1]
	s_waitcnt vmcnt(0) lgkmcnt(0)
	v_cvt_f32_f64_e32 v13, v[0:1]
                                        ; implicit-def: $vgpr0_vgpr1
.LBB25_1393:                            ;   in Loop: Header=BB25_17 Depth=1
	s_and_not1_saveexec_b32 s0, s0
	s_cbranch_execz .LBB25_1395
; %bb.1394:                             ;   in Loop: Header=BB25_17 Depth=1
	s_waitcnt vmcnt(0) lgkmcnt(0)
	flat_load_b32 v13, v[0:1]
.LBB25_1395:                            ;   in Loop: Header=BB25_17 Depth=1
	s_or_b32 exec_lo, exec_lo, s0
                                        ; implicit-def: $vgpr0_vgpr1
.LBB25_1396:                            ;   in Loop: Header=BB25_17 Depth=1
	s_and_not1_saveexec_b32 s0, s30
	s_cbranch_execz .LBB25_1398
; %bb.1397:                             ;   in Loop: Header=BB25_17 Depth=1
	flat_load_u16 v0, v[0:1]
	s_waitcnt vmcnt(0) lgkmcnt(0)
	v_cvt_f32_f16_e32 v13, v0
.LBB25_1398:                            ;   in Loop: Header=BB25_17 Depth=1
	s_or_b32 exec_lo, exec_lo, s0
.LBB25_1399:                            ;   in Loop: Header=BB25_17 Depth=1
	s_delay_alu instid0(SALU_CYCLE_1)
	s_or_b32 exec_lo, exec_lo, vcc_hi
                                        ; implicit-def: $vgpr0_vgpr1
.LBB25_1400:                            ;   in Loop: Header=BB25_17 Depth=1
	s_and_not1_saveexec_b32 s29, s29
	s_cbranch_execz .LBB25_1418
; %bb.1401:                             ;   in Loop: Header=BB25_17 Depth=1
	s_mov_b32 vcc_hi, exec_lo
                                        ; implicit-def: $vgpr13
	v_cmpx_lt_i16_e32 1, v2
	s_xor_b32 vcc_hi, exec_lo, vcc_hi
	s_cbranch_execz .LBB25_1411
; %bb.1402:                             ;   in Loop: Header=BB25_17 Depth=1
	s_mov_b32 s30, exec_lo
                                        ; implicit-def: $vgpr13
	v_cmpx_lt_i16_e32 2, v2
	s_xor_b32 s30, exec_lo, s30
	s_cbranch_execz .LBB25_1408
; %bb.1403:                             ;   in Loop: Header=BB25_17 Depth=1
	v_cmp_lt_i16_e64 s0, 3, v2
                                        ; implicit-def: $vgpr13
	s_delay_alu instid0(VALU_DEP_1) | instskip(NEXT) | instid1(SALU_CYCLE_1)
	s_and_saveexec_b32 s31, s0
	s_xor_b32 s0, exec_lo, s31
	s_cbranch_execz .LBB25_1405
; %bb.1404:                             ;   in Loop: Header=BB25_17 Depth=1
	flat_load_b64 v[0:1], v[0:1]
	s_waitcnt vmcnt(0) lgkmcnt(0)
	v_xor_b32_e32 v8, v0, v1
	v_cls_i32_e32 v13, v1
	s_delay_alu instid0(VALU_DEP_2) | instskip(NEXT) | instid1(VALU_DEP_2)
	v_ashrrev_i32_e32 v8, 31, v8
	v_add_nc_u32_e32 v13, -1, v13
	s_delay_alu instid0(VALU_DEP_2) | instskip(NEXT) | instid1(VALU_DEP_1)
	v_add_nc_u32_e32 v8, 32, v8
	v_min_u32_e32 v8, v13, v8
	s_delay_alu instid0(VALU_DEP_1) | instskip(NEXT) | instid1(VALU_DEP_1)
	v_lshlrev_b64 v[0:1], v8, v[0:1]
	v_min_u32_e32 v0, 1, v0
	s_delay_alu instid0(VALU_DEP_1) | instskip(SKIP_1) | instid1(VALU_DEP_2)
	v_or_b32_e32 v0, v1, v0
	v_sub_nc_u32_e32 v1, 32, v8
	v_cvt_f32_i32_e32 v0, v0
	s_delay_alu instid0(VALU_DEP_1)
	v_ldexp_f32 v13, v0, v1
                                        ; implicit-def: $vgpr0_vgpr1
.LBB25_1405:                            ;   in Loop: Header=BB25_17 Depth=1
	s_and_not1_saveexec_b32 s0, s0
	s_cbranch_execz .LBB25_1407
; %bb.1406:                             ;   in Loop: Header=BB25_17 Depth=1
	flat_load_b32 v0, v[0:1]
	s_waitcnt vmcnt(0) lgkmcnt(0)
	v_cvt_f32_i32_e32 v13, v0
.LBB25_1407:                            ;   in Loop: Header=BB25_17 Depth=1
	s_or_b32 exec_lo, exec_lo, s0
                                        ; implicit-def: $vgpr0_vgpr1
.LBB25_1408:                            ;   in Loop: Header=BB25_17 Depth=1
	s_and_not1_saveexec_b32 s0, s30
	s_cbranch_execz .LBB25_1410
; %bb.1409:                             ;   in Loop: Header=BB25_17 Depth=1
	flat_load_i16 v0, v[0:1]
	s_waitcnt vmcnt(0) lgkmcnt(0)
	v_cvt_f32_i32_e32 v13, v0
.LBB25_1410:                            ;   in Loop: Header=BB25_17 Depth=1
	s_or_b32 exec_lo, exec_lo, s0
                                        ; implicit-def: $vgpr0_vgpr1
.LBB25_1411:                            ;   in Loop: Header=BB25_17 Depth=1
	s_and_not1_saveexec_b32 vcc_hi, vcc_hi
	s_cbranch_execz .LBB25_1417
; %bb.1412:                             ;   in Loop: Header=BB25_17 Depth=1
	v_cmp_lt_i16_e64 s0, 0, v2
                                        ; implicit-def: $vgpr13
	s_delay_alu instid0(VALU_DEP_1) | instskip(NEXT) | instid1(SALU_CYCLE_1)
	s_and_saveexec_b32 s30, s0
	s_xor_b32 s0, exec_lo, s30
	s_cbranch_execz .LBB25_1414
; %bb.1413:                             ;   in Loop: Header=BB25_17 Depth=1
	flat_load_i8 v0, v[0:1]
	s_waitcnt vmcnt(0) lgkmcnt(0)
	v_cvt_f32_i32_e32 v13, v0
                                        ; implicit-def: $vgpr0_vgpr1
.LBB25_1414:                            ;   in Loop: Header=BB25_17 Depth=1
	s_and_not1_saveexec_b32 s0, s0
	s_cbranch_execz .LBB25_1416
; %bb.1415:                             ;   in Loop: Header=BB25_17 Depth=1
	flat_load_u8 v0, v[0:1]
	s_waitcnt vmcnt(0) lgkmcnt(0)
	v_cvt_f32_ubyte0_e32 v13, v0
.LBB25_1416:                            ;   in Loop: Header=BB25_17 Depth=1
	s_or_b32 exec_lo, exec_lo, s0
.LBB25_1417:                            ;   in Loop: Header=BB25_17 Depth=1
	s_delay_alu instid0(SALU_CYCLE_1)
	s_or_b32 exec_lo, exec_lo, vcc_hi
.LBB25_1418:                            ;   in Loop: Header=BB25_17 Depth=1
	s_delay_alu instid0(SALU_CYCLE_1) | instskip(NEXT) | instid1(SALU_CYCLE_1)
	s_or_b32 exec_lo, exec_lo, s29
	s_and_not1_b32 s24, s24, exec_lo
	s_and_not1_b32 s23, s23, exec_lo
	s_or_b32 s28, s28, exec_lo
	s_or_b32 exec_lo, exec_lo, s27
	s_mov_b32 s0, 0
	s_and_saveexec_b32 s27, s28
	s_cbranch_execz .LBB25_1424
.LBB25_1419:                            ;   in Loop: Header=BB25_17 Depth=1
	s_add_i32 s0, s33, 16
	s_mov_b32 s30, 0
	v_add_nc_u32_e64 v8, s1, s0
	s_mov_b32 s28, exec_lo
                                        ; implicit-def: $sgpr29
                                        ; implicit-def: $vcc_hi
	s_delay_alu instid0(VALU_DEP_1) | instskip(SKIP_4) | instid1(VALU_DEP_2)
	v_add_nc_u32_e32 v0, 52, v8
	s_waitcnt vmcnt(0) lgkmcnt(0)
	scratch_store_b32 v0, v13, off
	v_mul_lo_u32 v0, v12, v11
	v_and_b32_e32 v13, 0xff, v9
                                        ; implicit-def: $vgpr12
	v_add_co_u32 v0, s0, v5, v0
	s_delay_alu instid0(VALU_DEP_1) | instskip(NEXT) | instid1(VALU_DEP_3)
	v_add_co_ci_u32_e64 v1, s0, 0, v6, s0
	v_cmpx_lt_i16_e32 10, v13
	s_xor_b32 s28, exec_lo, s28
	s_cbranch_execnz .LBB25_1446
; %bb.1420:                             ;   in Loop: Header=BB25_17 Depth=1
	s_and_not1_saveexec_b32 s28, s28
	s_cbranch_execnz .LBB25_1505
.LBB25_1421:                            ;   in Loop: Header=BB25_17 Depth=1
	s_or_b32 exec_lo, exec_lo, s28
	s_mov_b32 s0, 0
	s_and_saveexec_b32 s28, s30
	s_cbranch_execz .LBB25_1423
.LBB25_1422:                            ;   in Loop: Header=BB25_17 Depth=1
	v_add_nc_u32_e32 v0, 48, v8
	v_add_nc_u32_e32 v7, 0x200, v7
	s_mov_b32 s0, exec_lo
	s_and_not1_b32 vcc_hi, vcc_hi, exec_lo
	s_and_not1_b32 s29, s29, exec_lo
	s_waitcnt vmcnt(0) lgkmcnt(0)
	scratch_store_b32 v0, v12, off
.LBB25_1423:                            ;   in Loop: Header=BB25_17 Depth=1
	s_or_b32 exec_lo, exec_lo, s28
	s_delay_alu instid0(SALU_CYCLE_1)
	s_and_not1_b32 s24, s24, exec_lo
	s_and_b32 s28, vcc_hi, exec_lo
	s_and_not1_b32 s23, s23, exec_lo
	s_and_b32 s29, s29, exec_lo
	s_or_b32 s24, s24, s28
	s_or_b32 s23, s23, s29
	s_and_b32 s0, s0, exec_lo
.LBB25_1424:                            ;   in Loop: Header=BB25_17 Depth=1
	s_or_b32 exec_lo, exec_lo, s27
	s_delay_alu instid0(SALU_CYCLE_1)
	s_and_b32 s24, s24, exec_lo
	s_and_b32 s23, s23, exec_lo
	s_or_not1_b32 s27, s0, exec_lo
.LBB25_1425:                            ;   in Loop: Header=BB25_17 Depth=1
	s_or_b32 exec_lo, exec_lo, s25
	s_and_saveexec_b32 s25, s27
	s_cbranch_execz .LBB25_10
; %bb.1426:                             ;   in Loop: Header=BB25_17 Depth=1
	s_mov_b32 s29, -1
	s_mov_b32 vcc_hi, -1
	s_mov_b32 s28, exec_lo
                                        ; implicit-def: $sgpr26
                                        ; implicit-def: $sgpr27
	v_cmpx_lt_i32_e64 v7, v146
	s_cbranch_execz .LBB25_1652
; %bb.1427:                             ;   in Loop: Header=BB25_17 Depth=1
	s_waitcnt vmcnt(0) lgkmcnt(0)
	v_add_nc_u32_e32 v12, s38, v7
	s_mov_b32 s30, 0
	s_mov_b32 vcc_hi, exec_lo
                                        ; implicit-def: $sgpr26
                                        ; implicit-def: $sgpr27
                                        ; implicit-def: $vgpr13
	s_delay_alu instid0(VALU_DEP_1) | instskip(NEXT) | instid1(VALU_DEP_1)
	v_mul_lo_u32 v0, v12, v10
	v_add_co_u32 v0, s0, v3, v0
	s_delay_alu instid0(VALU_DEP_1)
	v_add_co_ci_u32_e64 v1, s0, 0, v4, s0
	v_cmpx_lt_i16_e32 10, v2
	s_xor_b32 vcc_hi, exec_lo, vcc_hi
	s_cbranch_execnz .LBB25_1546
; %bb.1428:                             ;   in Loop: Header=BB25_17 Depth=1
	s_and_not1_saveexec_b32 vcc_hi, vcc_hi
	s_cbranch_execnz .LBB25_1605
.LBB25_1429:                            ;   in Loop: Header=BB25_17 Depth=1
	s_or_b32 exec_lo, exec_lo, vcc_hi
	s_mov_b32 s0, 0
	s_and_saveexec_b32 vcc_hi, s30
	s_cbranch_execnz .LBB25_1646
	s_branch .LBB25_1651
.LBB25_1430:                            ;   in Loop: Header=BB25_17 Depth=1
	s_mov_b32 s21, -1
	s_mov_b32 s24, exec_lo
                                        ; implicit-def: $sgpr22
	v_cmpx_eq_u16_e32 0x80, v0
; %bb.1431:                             ;   in Loop: Header=BB25_17 Depth=1
	s_mov_b32 s22, 0x7f800001
	s_xor_b32 s21, exec_lo, -1
; %bb.1432:                             ;   in Loop: Header=BB25_17 Depth=1
	s_or_b32 exec_lo, exec_lo, s24
	s_delay_alu instid0(SALU_CYCLE_1)
	s_and_b32 s21, s21, exec_lo
	s_or_saveexec_b32 s23, s23
	v_mov_b32_e32 v12, s22
	s_xor_b32 exec_lo, exec_lo, s23
	s_cbranch_execz .LBB25_381
.LBB25_1433:                            ;   in Loop: Header=BB25_17 Depth=1
	v_cmp_ne_u16_e64 s0, 0, v0
	v_mov_b32_e32 v12, 0
	s_and_not1_b32 s21, s21, exec_lo
	s_delay_alu instid0(VALU_DEP_2) | instskip(NEXT) | instid1(SALU_CYCLE_1)
	s_and_b32 s0, s0, exec_lo
	s_or_b32 s21, s21, s0
	s_or_b32 exec_lo, exec_lo, s23
	s_and_saveexec_b32 s22, s21
	s_cbranch_execnz .LBB25_382
	s_branch .LBB25_383
.LBB25_1434:                            ;   in Loop: Header=BB25_17 Depth=1
	s_mov_b32 s21, -1
	s_mov_b32 s24, exec_lo
                                        ; implicit-def: $sgpr22
	v_cmpx_eq_u16_e32 0x80, v0
; %bb.1435:                             ;   in Loop: Header=BB25_17 Depth=1
	s_mov_b32 s22, 0x7f800001
	s_xor_b32 s21, exec_lo, -1
; %bb.1436:                             ;   in Loop: Header=BB25_17 Depth=1
	s_or_b32 exec_lo, exec_lo, s24
	s_delay_alu instid0(SALU_CYCLE_1)
	s_and_b32 s21, s21, exec_lo
	s_or_saveexec_b32 s23, s23
	v_mov_b32_e32 v13, s22
	s_xor_b32 exec_lo, exec_lo, s23
	s_cbranch_execz .LBB25_481
.LBB25_1437:                            ;   in Loop: Header=BB25_17 Depth=1
	v_cmp_ne_u16_e64 s0, 0, v0
	v_mov_b32_e32 v13, 0
	s_and_not1_b32 s21, s21, exec_lo
	s_delay_alu instid0(VALU_DEP_2) | instskip(NEXT) | instid1(SALU_CYCLE_1)
	s_and_b32 s0, s0, exec_lo
	s_or_b32 s21, s21, s0
	s_or_b32 exec_lo, exec_lo, s23
	s_and_saveexec_b32 s22, s21
	s_cbranch_execnz .LBB25_482
	s_branch .LBB25_483
.LBB25_1438:                            ;   in Loop: Header=BB25_17 Depth=1
	s_mov_b32 s23, -1
	s_mov_b32 s26, exec_lo
                                        ; implicit-def: $sgpr24
	v_cmpx_eq_u16_e32 0x80, v0
; %bb.1439:                             ;   in Loop: Header=BB25_17 Depth=1
	s_mov_b32 s24, 0x7f800001
	s_xor_b32 s23, exec_lo, -1
; %bb.1440:                             ;   in Loop: Header=BB25_17 Depth=1
	s_or_b32 exec_lo, exec_lo, s26
	s_delay_alu instid0(SALU_CYCLE_1)
	s_and_b32 s23, s23, exec_lo
	s_or_saveexec_b32 s25, s25
	v_mov_b32_e32 v12, s24
	s_xor_b32 exec_lo, exec_lo, s25
	s_cbranch_execz .LBB25_581
.LBB25_1441:                            ;   in Loop: Header=BB25_17 Depth=1
	v_cmp_ne_u16_e64 s0, 0, v0
	v_mov_b32_e32 v12, 0
	s_and_not1_b32 s23, s23, exec_lo
	s_delay_alu instid0(VALU_DEP_2) | instskip(NEXT) | instid1(SALU_CYCLE_1)
	s_and_b32 s0, s0, exec_lo
	s_or_b32 s23, s23, s0
	s_or_b32 exec_lo, exec_lo, s25
	s_and_saveexec_b32 s24, s23
	s_cbranch_execnz .LBB25_582
	s_branch .LBB25_583
.LBB25_1442:                            ;   in Loop: Header=BB25_17 Depth=1
	s_mov_b32 s23, -1
	s_mov_b32 s26, exec_lo
                                        ; implicit-def: $sgpr24
	v_cmpx_eq_u16_e32 0x80, v0
; %bb.1443:                             ;   in Loop: Header=BB25_17 Depth=1
	s_mov_b32 s24, 0x7f800001
	s_xor_b32 s23, exec_lo, -1
; %bb.1444:                             ;   in Loop: Header=BB25_17 Depth=1
	s_or_b32 exec_lo, exec_lo, s26
	s_delay_alu instid0(SALU_CYCLE_1)
	s_and_b32 s23, s23, exec_lo
	s_or_saveexec_b32 s25, s25
	v_mov_b32_e32 v13, s24
	s_xor_b32 exec_lo, exec_lo, s25
	s_cbranch_execz .LBB25_681
.LBB25_1445:                            ;   in Loop: Header=BB25_17 Depth=1
	v_cmp_ne_u16_e64 s0, 0, v0
	v_mov_b32_e32 v13, 0
	s_and_not1_b32 s23, s23, exec_lo
	s_delay_alu instid0(VALU_DEP_2) | instskip(NEXT) | instid1(SALU_CYCLE_1)
	s_and_b32 s0, s0, exec_lo
	s_or_b32 s23, s23, s0
	s_or_b32 exec_lo, exec_lo, s25
	s_and_saveexec_b32 s24, s23
	s_cbranch_execnz .LBB25_682
	s_branch .LBB25_683
.LBB25_1446:                            ;   in Loop: Header=BB25_17 Depth=1
	s_mov_b32 s29, exec_lo
                                        ; implicit-def: $sgpr31
                                        ; implicit-def: $vcc_hi
                                        ; implicit-def: $vgpr12
	v_cmpx_lt_i16_e32 25, v13
	s_xor_b32 s29, exec_lo, s29
	s_cbranch_execz .LBB25_1478
; %bb.1447:                             ;   in Loop: Header=BB25_17 Depth=1
	s_mov_b32 vcc_hi, exec_lo
                                        ; implicit-def: $sgpr31
                                        ; implicit-def: $sgpr34
                                        ; implicit-def: $vgpr12
	v_cmpx_lt_i16_e32 28, v13
	s_xor_b32 vcc_hi, exec_lo, vcc_hi
	s_cbranch_execz .LBB25_1463
; %bb.1448:                             ;   in Loop: Header=BB25_17 Depth=1
	s_mov_b32 s35, 0
	s_mov_b32 s30, exec_lo
                                        ; implicit-def: $sgpr31
                                        ; implicit-def: $sgpr34
                                        ; implicit-def: $vgpr12
	v_cmpx_lt_i16_e32 43, v13
	s_xor_b32 s30, exec_lo, s30
	s_cbranch_execz .LBB25_1458
; %bb.1449:                             ;   in Loop: Header=BB25_17 Depth=1
	s_mov_b32 s36, exec_lo
                                        ; implicit-def: $sgpr34
                                        ; implicit-def: $sgpr31
                                        ; implicit-def: $vgpr12
	v_cmpx_lt_i16_e32 45, v13
	s_xor_b32 s36, exec_lo, s36
	s_cbranch_execz .LBB25_1453
; %bb.1450:                             ;   in Loop: Header=BB25_17 Depth=1
	s_mov_b32 s31, 0
	s_mov_b32 s34, exec_lo
                                        ; implicit-def: $vgpr12
	v_cmpx_eq_u16_e32 46, v13
	s_cbranch_execz .LBB25_1452
; %bb.1451:                             ;   in Loop: Header=BB25_17 Depth=1
	flat_load_b32 v0, v[0:1]
	s_mov_b32 s35, exec_lo
	s_waitcnt vmcnt(0) lgkmcnt(0)
	v_lshlrev_b32_e32 v12, 16, v0
.LBB25_1452:                            ;   in Loop: Header=BB25_17 Depth=1
	s_or_b32 exec_lo, exec_lo, s34
	s_mov_b32 s34, -1
	s_and_b32 s35, s35, exec_lo
                                        ; implicit-def: $vgpr13
                                        ; implicit-def: $vgpr0_vgpr1
.LBB25_1453:                            ;   in Loop: Header=BB25_17 Depth=1
	s_and_not1_saveexec_b32 s36, s36
	s_cbranch_execz .LBB25_1457
; %bb.1454:                             ;   in Loop: Header=BB25_17 Depth=1
	s_mov_b32 s39, s35
	s_mov_b32 s37, exec_lo
                                        ; implicit-def: $vgpr12
	v_cmpx_eq_u16_e32 44, v13
	s_cbranch_execz .LBB25_1456
; %bb.1455:                             ;   in Loop: Header=BB25_17 Depth=1
	flat_load_u8 v0, v[0:1]
	s_or_b32 s39, s35, exec_lo
	s_waitcnt vmcnt(0) lgkmcnt(0)
	v_lshlrev_b32_e32 v1, 23, v0
	v_cmp_ne_u32_e64 s0, 0xff, v0
	s_delay_alu instid0(VALU_DEP_1) | instskip(SKIP_1) | instid1(VALU_DEP_1)
	v_cndmask_b32_e64 v1, 0x7f800001, v1, s0
	v_cmp_ne_u32_e64 s0, 0, v0
	v_cndmask_b32_e64 v12, 0x400000, v1, s0
.LBB25_1456:                            ;   in Loop: Header=BB25_17 Depth=1
	s_or_b32 exec_lo, exec_lo, s37
	s_delay_alu instid0(SALU_CYCLE_1)
	s_and_not1_b32 s0, s35, exec_lo
	s_and_b32 s35, s39, exec_lo
	s_or_b32 s34, s34, exec_lo
	s_and_not1_b32 s31, s31, exec_lo
	s_or_b32 s35, s0, s35
.LBB25_1457:                            ;   in Loop: Header=BB25_17 Depth=1
	s_or_b32 exec_lo, exec_lo, s36
	s_delay_alu instid0(SALU_CYCLE_1)
	s_and_b32 s34, s34, exec_lo
	s_and_b32 s31, s31, exec_lo
	;; [unrolled: 1-line block ×3, first 2 shown]
                                        ; implicit-def: $vgpr13
                                        ; implicit-def: $vgpr0_vgpr1
.LBB25_1458:                            ;   in Loop: Header=BB25_17 Depth=1
	s_and_not1_saveexec_b32 s30, s30
	s_cbranch_execz .LBB25_1462
; %bb.1459:                             ;   in Loop: Header=BB25_17 Depth=1
	s_mov_b32 s37, s35
	s_mov_b32 s36, exec_lo
                                        ; implicit-def: $vgpr12
	v_cmpx_eq_u16_e32 29, v13
	s_cbranch_execz .LBB25_1461
; %bb.1460:                             ;   in Loop: Header=BB25_17 Depth=1
	flat_load_b64 v[0:1], v[0:1]
	s_or_b32 s37, s35, exec_lo
	s_waitcnt vmcnt(0) lgkmcnt(0)
	v_clz_i32_u32_e32 v12, v1
	s_delay_alu instid0(VALU_DEP_1) | instskip(NEXT) | instid1(VALU_DEP_1)
	v_min_u32_e32 v12, 32, v12
	v_lshlrev_b64 v[0:1], v12, v[0:1]
	s_delay_alu instid0(VALU_DEP_1) | instskip(NEXT) | instid1(VALU_DEP_1)
	v_min_u32_e32 v0, 1, v0
	v_or_b32_e32 v0, v1, v0
	v_sub_nc_u32_e32 v1, 32, v12
	s_delay_alu instid0(VALU_DEP_2) | instskip(NEXT) | instid1(VALU_DEP_1)
	v_cvt_f32_u32_e32 v0, v0
	v_ldexp_f32 v12, v0, v1
.LBB25_1461:                            ;   in Loop: Header=BB25_17 Depth=1
	s_or_b32 exec_lo, exec_lo, s36
	s_delay_alu instid0(SALU_CYCLE_1)
	s_and_not1_b32 s0, s35, exec_lo
	s_and_b32 s35, s37, exec_lo
	s_or_b32 s34, s34, exec_lo
	s_and_not1_b32 s31, s31, exec_lo
	s_or_b32 s35, s0, s35
.LBB25_1462:                            ;   in Loop: Header=BB25_17 Depth=1
	s_or_b32 exec_lo, exec_lo, s30
	s_delay_alu instid0(SALU_CYCLE_1)
	s_and_b32 s34, s34, exec_lo
	s_and_b32 s31, s31, exec_lo
	;; [unrolled: 1-line block ×3, first 2 shown]
                                        ; implicit-def: $vgpr13
                                        ; implicit-def: $vgpr0_vgpr1
.LBB25_1463:                            ;   in Loop: Header=BB25_17 Depth=1
	s_and_not1_saveexec_b32 vcc_hi, vcc_hi
	s_cbranch_execz .LBB25_1477
; %bb.1464:                             ;   in Loop: Header=BB25_17 Depth=1
	s_mov_b32 s35, exec_lo
                                        ; implicit-def: $vgpr12
	v_cmpx_lt_i16_e32 26, v13
	s_xor_b32 s35, exec_lo, s35
	s_cbranch_execz .LBB25_1470
; %bb.1465:                             ;   in Loop: Header=BB25_17 Depth=1
	v_cmp_lt_i16_e64 s0, 27, v13
                                        ; implicit-def: $vgpr12
	s_delay_alu instid0(VALU_DEP_1) | instskip(NEXT) | instid1(SALU_CYCLE_1)
	s_and_saveexec_b32 s36, s0
	s_xor_b32 s0, exec_lo, s36
	s_cbranch_execz .LBB25_1467
; %bb.1466:                             ;   in Loop: Header=BB25_17 Depth=1
	flat_load_b32 v0, v[0:1]
	s_waitcnt vmcnt(0) lgkmcnt(0)
	v_cvt_f32_u32_e32 v12, v0
                                        ; implicit-def: $vgpr0_vgpr1
.LBB25_1467:                            ;   in Loop: Header=BB25_17 Depth=1
	s_and_not1_saveexec_b32 s0, s0
	s_cbranch_execz .LBB25_1469
; %bb.1468:                             ;   in Loop: Header=BB25_17 Depth=1
	flat_load_u16 v0, v[0:1]
	s_waitcnt vmcnt(0) lgkmcnt(0)
	v_cvt_f32_u32_e32 v12, v0
.LBB25_1469:                            ;   in Loop: Header=BB25_17 Depth=1
	s_or_b32 exec_lo, exec_lo, s0
                                        ; implicit-def: $vgpr0_vgpr1
.LBB25_1470:                            ;   in Loop: Header=BB25_17 Depth=1
	s_and_not1_saveexec_b32 s35, s35
	s_cbranch_execz .LBB25_1476
; %bb.1471:                             ;   in Loop: Header=BB25_17 Depth=1
	flat_load_u8 v0, v[0:1]
	s_mov_b32 s36, 0
	s_mov_b32 s39, exec_lo
                                        ; implicit-def: $sgpr37
	s_waitcnt vmcnt(0) lgkmcnt(0)
	v_cmpx_lt_i16_e32 0x7f, v0
	s_xor_b32 s39, exec_lo, s39
	s_cbranch_execnz .LBB25_2346
; %bb.1472:                             ;   in Loop: Header=BB25_17 Depth=1
	s_or_saveexec_b32 s39, s39
	v_mov_b32_e32 v12, s37
	s_xor_b32 exec_lo, exec_lo, s39
	s_cbranch_execnz .LBB25_2349
.LBB25_1473:                            ;   in Loop: Header=BB25_17 Depth=1
	s_or_b32 exec_lo, exec_lo, s39
	s_and_saveexec_b32 s37, s36
	s_cbranch_execz .LBB25_1475
.LBB25_1474:                            ;   in Loop: Header=BB25_17 Depth=1
	v_and_b32_e32 v1, 0xffff, v0
	v_lshlrev_b32_e32 v0, 24, v0
	s_delay_alu instid0(VALU_DEP_2) | instskip(NEXT) | instid1(VALU_DEP_2)
	v_and_b32_e32 v12, 7, v1
	v_and_b32_e32 v0, 0x80000000, v0
	s_delay_alu instid0(VALU_DEP_2) | instskip(NEXT) | instid1(VALU_DEP_1)
	v_clz_i32_u32_e32 v13, v12
	v_min_u32_e32 v13, 32, v13
	s_delay_alu instid0(VALU_DEP_1) | instskip(SKIP_1) | instid1(VALU_DEP_2)
	v_subrev_nc_u32_e32 v14, 28, v13
	v_sub_nc_u32_e32 v13, 29, v13
	v_lshlrev_b32_e32 v14, v14, v1
	v_bfe_u32 v1, v1, 3, 4
	s_delay_alu instid0(VALU_DEP_2) | instskip(NEXT) | instid1(VALU_DEP_2)
	v_and_b32_e32 v14, 7, v14
	v_cmp_eq_u32_e64 s0, 0, v1
	s_delay_alu instid0(VALU_DEP_1) | instskip(NEXT) | instid1(VALU_DEP_3)
	v_cndmask_b32_e64 v1, v1, v13, s0
	v_cndmask_b32_e64 v12, v12, v14, s0
	s_delay_alu instid0(VALU_DEP_2) | instskip(NEXT) | instid1(VALU_DEP_2)
	v_lshl_add_u32 v1, v1, 23, 0x3b800000
	v_lshlrev_b32_e32 v12, 20, v12
	s_delay_alu instid0(VALU_DEP_1)
	v_or3_b32 v12, v0, v1, v12
.LBB25_1475:                            ;   in Loop: Header=BB25_17 Depth=1
	s_or_b32 exec_lo, exec_lo, s37
.LBB25_1476:                            ;   in Loop: Header=BB25_17 Depth=1
	s_delay_alu instid0(SALU_CYCLE_1) | instskip(NEXT) | instid1(SALU_CYCLE_1)
	s_or_b32 exec_lo, exec_lo, s35
	s_and_not1_b32 s34, s34, exec_lo
	s_and_not1_b32 s31, s31, exec_lo
	s_or_b32 s30, s30, exec_lo
.LBB25_1477:                            ;   in Loop: Header=BB25_17 Depth=1
	s_or_b32 exec_lo, exec_lo, vcc_hi
	s_delay_alu instid0(SALU_CYCLE_1)
	s_and_b32 vcc_hi, s34, exec_lo
	s_and_b32 s31, s31, exec_lo
	s_and_b32 s30, s30, exec_lo
                                        ; implicit-def: $vgpr13
                                        ; implicit-def: $vgpr0_vgpr1
.LBB25_1478:                            ;   in Loop: Header=BB25_17 Depth=1
	s_and_not1_saveexec_b32 s29, s29
	s_cbranch_execz .LBB25_1504
; %bb.1479:                             ;   in Loop: Header=BB25_17 Depth=1
	s_mov_b32 s35, s30
	s_mov_b32 s34, exec_lo
                                        ; implicit-def: $vgpr12
	v_cmpx_lt_i16_e32 22, v13
	s_xor_b32 s34, exec_lo, s34
	s_cbranch_execz .LBB25_1493
; %bb.1480:                             ;   in Loop: Header=BB25_17 Depth=1
	s_mov_b32 s35, exec_lo
                                        ; implicit-def: $vgpr12
	v_cmpx_lt_i16_e32 23, v13
	s_xor_b32 s35, exec_lo, s35
	s_cbranch_execz .LBB25_1490
; %bb.1481:                             ;   in Loop: Header=BB25_17 Depth=1
	;; [unrolled: 6-line block ×3, first 2 shown]
	flat_load_u8 v0, v[0:1]
	s_mov_b32 s37, 0
	s_mov_b32 s40, exec_lo
                                        ; implicit-def: $sgpr39
	s_waitcnt vmcnt(0) lgkmcnt(0)
	v_cmpx_lt_i16_e32 0x7f, v0
	s_xor_b32 s40, exec_lo, s40
	s_cbranch_execnz .LBB25_2565
; %bb.1483:                             ;   in Loop: Header=BB25_17 Depth=1
	s_or_saveexec_b32 s40, s40
	v_mov_b32_e32 v12, s39
	s_xor_b32 exec_lo, exec_lo, s40
	s_cbranch_execnz .LBB25_2568
.LBB25_1484:                            ;   in Loop: Header=BB25_17 Depth=1
	s_or_b32 exec_lo, exec_lo, s40
	s_and_saveexec_b32 s39, s37
	s_cbranch_execz .LBB25_1486
.LBB25_1485:                            ;   in Loop: Header=BB25_17 Depth=1
	v_and_b32_e32 v1, 0xffff, v0
	v_lshlrev_b32_e32 v0, 24, v0
	s_delay_alu instid0(VALU_DEP_2) | instskip(NEXT) | instid1(VALU_DEP_2)
	v_and_b32_e32 v12, 3, v1
	v_and_b32_e32 v0, 0x80000000, v0
	s_delay_alu instid0(VALU_DEP_2) | instskip(NEXT) | instid1(VALU_DEP_1)
	v_clz_i32_u32_e32 v13, v12
	v_min_u32_e32 v13, 32, v13
	s_delay_alu instid0(VALU_DEP_1) | instskip(SKIP_1) | instid1(VALU_DEP_2)
	v_subrev_nc_u32_e32 v14, 29, v13
	v_sub_nc_u32_e32 v13, 30, v13
	v_lshlrev_b32_e32 v14, v14, v1
	v_bfe_u32 v1, v1, 2, 5
	s_delay_alu instid0(VALU_DEP_2) | instskip(NEXT) | instid1(VALU_DEP_2)
	v_and_b32_e32 v14, 3, v14
	v_cmp_eq_u32_e64 s0, 0, v1
	s_delay_alu instid0(VALU_DEP_1) | instskip(NEXT) | instid1(VALU_DEP_3)
	v_cndmask_b32_e64 v1, v1, v13, s0
	v_cndmask_b32_e64 v12, v12, v14, s0
	s_delay_alu instid0(VALU_DEP_2) | instskip(NEXT) | instid1(VALU_DEP_2)
	v_lshl_add_u32 v1, v1, 23, 0x37800000
	v_lshlrev_b32_e32 v12, 21, v12
	s_delay_alu instid0(VALU_DEP_1)
	v_or3_b32 v12, v0, v1, v12
.LBB25_1486:                            ;   in Loop: Header=BB25_17 Depth=1
	s_or_b32 exec_lo, exec_lo, s39
                                        ; implicit-def: $vgpr0_vgpr1
.LBB25_1487:                            ;   in Loop: Header=BB25_17 Depth=1
	s_and_not1_saveexec_b32 s36, s36
	s_cbranch_execz .LBB25_1489
; %bb.1488:                             ;   in Loop: Header=BB25_17 Depth=1
	flat_load_u8 v0, v[0:1]
	s_waitcnt vmcnt(0) lgkmcnt(0)
	v_lshlrev_b32_e32 v0, 24, v0
	s_delay_alu instid0(VALU_DEP_1) | instskip(NEXT) | instid1(VALU_DEP_1)
	v_and_b32_e32 v1, 0x7f000000, v0
	v_clz_i32_u32_e32 v12, v1
	v_add_nc_u32_e32 v14, 0x1000000, v1
	v_cmp_ne_u32_e64 s0, 0, v1
	s_delay_alu instid0(VALU_DEP_3) | instskip(NEXT) | instid1(VALU_DEP_1)
	v_min_u32_e32 v12, 32, v12
	v_sub_nc_u32_e64 v12, v12, 4 clamp
	s_delay_alu instid0(VALU_DEP_1) | instskip(SKIP_1) | instid1(VALU_DEP_2)
	v_lshlrev_b32_e32 v13, v12, v1
	v_lshlrev_b32_e32 v12, 23, v12
	v_lshrrev_b32_e32 v13, 4, v13
	s_delay_alu instid0(VALU_DEP_1) | instskip(SKIP_1) | instid1(VALU_DEP_2)
	v_sub_nc_u32_e32 v12, v13, v12
	v_ashrrev_i32_e32 v13, 8, v14
	v_add_nc_u32_e32 v12, 0x3c000000, v12
	s_delay_alu instid0(VALU_DEP_1) | instskip(NEXT) | instid1(VALU_DEP_1)
	v_and_or_b32 v12, 0x7f800000, v13, v12
	v_cndmask_b32_e64 v1, 0, v12, s0
	s_delay_alu instid0(VALU_DEP_1)
	v_and_or_b32 v12, 0x80000000, v0, v1
.LBB25_1489:                            ;   in Loop: Header=BB25_17 Depth=1
	s_or_b32 exec_lo, exec_lo, s36
                                        ; implicit-def: $vgpr0_vgpr1
.LBB25_1490:                            ;   in Loop: Header=BB25_17 Depth=1
	s_and_not1_saveexec_b32 s35, s35
	s_cbranch_execz .LBB25_1492
; %bb.1491:                             ;   in Loop: Header=BB25_17 Depth=1
	flat_load_u8 v0, v[0:1]
	s_waitcnt vmcnt(0) lgkmcnt(0)
	v_lshlrev_b32_e32 v1, 25, v0
	v_lshlrev_b16 v0, 8, v0
	s_delay_alu instid0(VALU_DEP_2) | instskip(NEXT) | instid1(VALU_DEP_2)
	v_lshrrev_b32_e32 v12, 4, v1
	v_and_or_b32 v13, 0x7f00, v0, 0.5
	v_cmp_gt_u32_e64 s0, 0x8000000, v1
	v_bfe_i32 v0, v0, 0, 16
	s_delay_alu instid0(VALU_DEP_4) | instskip(NEXT) | instid1(VALU_DEP_1)
	v_or_b32_e32 v12, 0x70000000, v12
	v_dual_add_f32 v13, -0.5, v13 :: v_dual_mul_f32 v12, 0x7800000, v12
	s_delay_alu instid0(VALU_DEP_1) | instskip(NEXT) | instid1(VALU_DEP_1)
	v_cndmask_b32_e64 v1, v12, v13, s0
	v_and_or_b32 v12, 0x80000000, v0, v1
.LBB25_1492:                            ;   in Loop: Header=BB25_17 Depth=1
	s_or_b32 exec_lo, exec_lo, s35
	s_delay_alu instid0(SALU_CYCLE_1)
	s_or_b32 s35, s30, exec_lo
                                        ; implicit-def: $vgpr13
                                        ; implicit-def: $vgpr0_vgpr1
.LBB25_1493:                            ;   in Loop: Header=BB25_17 Depth=1
	s_or_saveexec_b32 s34, s34
                                        ; implicit-def: $sgpr36
                                        ; implicit-def: $sgpr0
	s_delay_alu instid0(SALU_CYCLE_1)
	s_xor_b32 exec_lo, exec_lo, s34
	s_cbranch_execz .LBB25_1503
; %bb.1494:                             ;   in Loop: Header=BB25_17 Depth=1
	s_mov_b32 s37, s35
	s_mov_b32 s40, exec_lo
                                        ; implicit-def: $sgpr39
                                        ; implicit-def: $sgpr36
                                        ; implicit-def: $vgpr12
	v_cmpx_lt_i16_e32 14, v13
	s_xor_b32 s40, exec_lo, s40
	s_cbranch_execz .LBB25_1498
; %bb.1495:                             ;   in Loop: Header=BB25_17 Depth=1
	s_mov_b32 s37, s35
	s_mov_b32 s36, exec_lo
                                        ; implicit-def: $vgpr12
	v_cmpx_eq_u16_e32 15, v13
	s_cbranch_execz .LBB25_1497
; %bb.1496:                             ;   in Loop: Header=BB25_17 Depth=1
	flat_load_u16 v0, v[0:1]
	s_or_b32 s37, s35, exec_lo
	s_waitcnt vmcnt(0) lgkmcnt(0)
	v_lshlrev_b32_e32 v12, 16, v0
.LBB25_1497:                            ;   in Loop: Header=BB25_17 Depth=1
	s_or_b32 exec_lo, exec_lo, s36
	s_delay_alu instid0(SALU_CYCLE_1)
	s_and_not1_b32 s0, s35, exec_lo
	s_and_b32 s37, s37, exec_lo
	s_mov_b32 s36, 0
	s_mov_b32 s39, -1
	s_or_b32 s37, s0, s37
                                        ; implicit-def: $vgpr13
                                        ; implicit-def: $vgpr0_vgpr1
.LBB25_1498:                            ;   in Loop: Header=BB25_17 Depth=1
	s_and_not1_saveexec_b32 s40, s40
	s_cbranch_execz .LBB25_1502
; %bb.1499:                             ;   in Loop: Header=BB25_17 Depth=1
	s_mov_b32 s41, s37
	s_mov_b32 s42, exec_lo
                                        ; implicit-def: $vgpr12
	v_cmpx_eq_u16_e32 11, v13
	s_cbranch_execz .LBB25_1501
; %bb.1500:                             ;   in Loop: Header=BB25_17 Depth=1
	flat_load_u8 v0, v[0:1]
	s_or_b32 s41, s37, exec_lo
	s_waitcnt vmcnt(0) lgkmcnt(0)
	v_cmp_ne_u16_e64 s0, 0, v0
	s_delay_alu instid0(VALU_DEP_1)
	v_cndmask_b32_e64 v12, 0, 1.0, s0
.LBB25_1501:                            ;   in Loop: Header=BB25_17 Depth=1
	s_or_b32 exec_lo, exec_lo, s42
	s_delay_alu instid0(SALU_CYCLE_1)
	s_and_not1_b32 s0, s37, exec_lo
	s_and_b32 s37, s41, exec_lo
	s_or_b32 s39, s39, exec_lo
	s_and_not1_b32 s36, s36, exec_lo
	s_or_b32 s37, s0, s37
.LBB25_1502:                            ;   in Loop: Header=BB25_17 Depth=1
	s_or_b32 exec_lo, exec_lo, s40
	s_delay_alu instid0(SALU_CYCLE_1)
	s_and_not1_b32 s35, s35, exec_lo
	s_and_b32 s37, s37, exec_lo
	s_and_b32 s0, s39, exec_lo
	;; [unrolled: 1-line block ×3, first 2 shown]
	s_or_b32 s35, s35, s37
.LBB25_1503:                            ;   in Loop: Header=BB25_17 Depth=1
	s_or_b32 exec_lo, exec_lo, s34
	s_delay_alu instid0(SALU_CYCLE_1)
	s_and_not1_b32 vcc_hi, vcc_hi, exec_lo
	s_and_b32 s0, s0, exec_lo
	s_and_not1_b32 s30, s30, exec_lo
	s_or_b32 vcc_hi, vcc_hi, s0
	s_and_not1_b32 s0, s31, exec_lo
	s_and_b32 s31, s36, exec_lo
	s_and_b32 s34, s35, exec_lo
	s_or_b32 s31, s0, s31
	s_or_b32 s30, s30, s34
.LBB25_1504:                            ;   in Loop: Header=BB25_17 Depth=1
	s_or_b32 exec_lo, exec_lo, s29
	s_delay_alu instid0(SALU_CYCLE_1)
	s_and_b32 vcc_hi, vcc_hi, exec_lo
	s_and_b32 s29, s31, exec_lo
	s_and_b32 s30, s30, exec_lo
                                        ; implicit-def: $vgpr13
                                        ; implicit-def: $vgpr0_vgpr1
	s_and_not1_saveexec_b32 s28, s28
	s_cbranch_execz .LBB25_1421
.LBB25_1505:                            ;   in Loop: Header=BB25_17 Depth=1
	s_mov_b32 s31, exec_lo
                                        ; implicit-def: $vgpr12
	v_cmpx_lt_i16_e32 4, v13
	s_xor_b32 s31, exec_lo, s31
	s_cbranch_execz .LBB25_1527
; %bb.1506:                             ;   in Loop: Header=BB25_17 Depth=1
	s_mov_b32 s34, exec_lo
                                        ; implicit-def: $vgpr12
	v_cmpx_lt_i16_e32 7, v13
	s_xor_b32 s34, exec_lo, s34
	s_cbranch_execz .LBB25_1516
; %bb.1507:                             ;   in Loop: Header=BB25_17 Depth=1
	;; [unrolled: 6-line block ×3, first 2 shown]
	v_cmp_lt_i16_e64 s0, 9, v13
                                        ; implicit-def: $vgpr12
	s_delay_alu instid0(VALU_DEP_1) | instskip(NEXT) | instid1(SALU_CYCLE_1)
	s_and_saveexec_b32 s36, s0
	s_xor_b32 s0, exec_lo, s36
	s_cbranch_execz .LBB25_1510
; %bb.1509:                             ;   in Loop: Header=BB25_17 Depth=1
	flat_load_b64 v[0:1], v[0:1]
	s_waitcnt vmcnt(0) lgkmcnt(0)
	v_cvt_f32_f64_e32 v12, v[0:1]
                                        ; implicit-def: $vgpr0_vgpr1
.LBB25_1510:                            ;   in Loop: Header=BB25_17 Depth=1
	s_and_not1_saveexec_b32 s0, s0
	s_cbranch_execz .LBB25_1512
; %bb.1511:                             ;   in Loop: Header=BB25_17 Depth=1
	flat_load_b32 v12, v[0:1]
.LBB25_1512:                            ;   in Loop: Header=BB25_17 Depth=1
	s_or_b32 exec_lo, exec_lo, s0
                                        ; implicit-def: $vgpr0_vgpr1
.LBB25_1513:                            ;   in Loop: Header=BB25_17 Depth=1
	s_and_not1_saveexec_b32 s0, s35
	s_cbranch_execz .LBB25_1515
; %bb.1514:                             ;   in Loop: Header=BB25_17 Depth=1
	flat_load_b32 v0, v[0:1]
	s_waitcnt vmcnt(0) lgkmcnt(0)
	v_cvt_f32_f16_e32 v12, v0
.LBB25_1515:                            ;   in Loop: Header=BB25_17 Depth=1
	s_or_b32 exec_lo, exec_lo, s0
                                        ; implicit-def: $vgpr0_vgpr1
                                        ; implicit-def: $vgpr13
.LBB25_1516:                            ;   in Loop: Header=BB25_17 Depth=1
	s_and_not1_saveexec_b32 s34, s34
	s_cbranch_execz .LBB25_1526
; %bb.1517:                             ;   in Loop: Header=BB25_17 Depth=1
	s_mov_b32 s35, exec_lo
                                        ; implicit-def: $vgpr12
	v_cmpx_lt_i16_e32 5, v13
	s_xor_b32 s35, exec_lo, s35
	s_cbranch_execz .LBB25_1523
; %bb.1518:                             ;   in Loop: Header=BB25_17 Depth=1
	v_cmp_lt_i16_e64 s0, 6, v13
                                        ; implicit-def: $vgpr12
	s_delay_alu instid0(VALU_DEP_1) | instskip(NEXT) | instid1(SALU_CYCLE_1)
	s_and_saveexec_b32 s36, s0
	s_xor_b32 s0, exec_lo, s36
	s_cbranch_execz .LBB25_1520
; %bb.1519:                             ;   in Loop: Header=BB25_17 Depth=1
	flat_load_b64 v[0:1], v[0:1]
	s_waitcnt vmcnt(0) lgkmcnt(0)
	v_cvt_f32_f64_e32 v12, v[0:1]
                                        ; implicit-def: $vgpr0_vgpr1
.LBB25_1520:                            ;   in Loop: Header=BB25_17 Depth=1
	s_and_not1_saveexec_b32 s0, s0
	s_cbranch_execz .LBB25_1522
; %bb.1521:                             ;   in Loop: Header=BB25_17 Depth=1
	s_waitcnt vmcnt(0) lgkmcnt(0)
	flat_load_b32 v12, v[0:1]
.LBB25_1522:                            ;   in Loop: Header=BB25_17 Depth=1
	s_or_b32 exec_lo, exec_lo, s0
                                        ; implicit-def: $vgpr0_vgpr1
.LBB25_1523:                            ;   in Loop: Header=BB25_17 Depth=1
	s_and_not1_saveexec_b32 s0, s35
	s_cbranch_execz .LBB25_1525
; %bb.1524:                             ;   in Loop: Header=BB25_17 Depth=1
	flat_load_u16 v0, v[0:1]
	s_waitcnt vmcnt(0) lgkmcnt(0)
	v_cvt_f32_f16_e32 v12, v0
.LBB25_1525:                            ;   in Loop: Header=BB25_17 Depth=1
	s_or_b32 exec_lo, exec_lo, s0
.LBB25_1526:                            ;   in Loop: Header=BB25_17 Depth=1
	s_delay_alu instid0(SALU_CYCLE_1)
	s_or_b32 exec_lo, exec_lo, s34
                                        ; implicit-def: $vgpr13
                                        ; implicit-def: $vgpr0_vgpr1
.LBB25_1527:                            ;   in Loop: Header=BB25_17 Depth=1
	s_and_not1_saveexec_b32 s31, s31
	s_cbranch_execz .LBB25_1545
; %bb.1528:                             ;   in Loop: Header=BB25_17 Depth=1
	s_mov_b32 s34, exec_lo
                                        ; implicit-def: $vgpr12
	v_cmpx_lt_i16_e32 1, v13
	s_xor_b32 s34, exec_lo, s34
	s_cbranch_execz .LBB25_1538
; %bb.1529:                             ;   in Loop: Header=BB25_17 Depth=1
	s_mov_b32 s35, exec_lo
                                        ; implicit-def: $vgpr12
	v_cmpx_lt_i16_e32 2, v13
	s_xor_b32 s35, exec_lo, s35
	s_cbranch_execz .LBB25_1535
; %bb.1530:                             ;   in Loop: Header=BB25_17 Depth=1
	v_cmp_lt_i16_e64 s0, 3, v13
                                        ; implicit-def: $vgpr12
	s_delay_alu instid0(VALU_DEP_1) | instskip(NEXT) | instid1(SALU_CYCLE_1)
	s_and_saveexec_b32 s36, s0
	s_xor_b32 s0, exec_lo, s36
	s_cbranch_execz .LBB25_1532
; %bb.1531:                             ;   in Loop: Header=BB25_17 Depth=1
	flat_load_b64 v[0:1], v[0:1]
	s_waitcnt vmcnt(0) lgkmcnt(0)
	v_xor_b32_e32 v12, v0, v1
	v_cls_i32_e32 v13, v1
	s_delay_alu instid0(VALU_DEP_2) | instskip(NEXT) | instid1(VALU_DEP_2)
	v_ashrrev_i32_e32 v12, 31, v12
	v_add_nc_u32_e32 v13, -1, v13
	s_delay_alu instid0(VALU_DEP_2) | instskip(NEXT) | instid1(VALU_DEP_1)
	v_add_nc_u32_e32 v12, 32, v12
	v_min_u32_e32 v12, v13, v12
	s_delay_alu instid0(VALU_DEP_1) | instskip(NEXT) | instid1(VALU_DEP_1)
	v_lshlrev_b64 v[0:1], v12, v[0:1]
	v_min_u32_e32 v0, 1, v0
	s_delay_alu instid0(VALU_DEP_1) | instskip(SKIP_1) | instid1(VALU_DEP_2)
	v_or_b32_e32 v0, v1, v0
	v_sub_nc_u32_e32 v1, 32, v12
	v_cvt_f32_i32_e32 v0, v0
	s_delay_alu instid0(VALU_DEP_1)
	v_ldexp_f32 v12, v0, v1
                                        ; implicit-def: $vgpr0_vgpr1
.LBB25_1532:                            ;   in Loop: Header=BB25_17 Depth=1
	s_and_not1_saveexec_b32 s0, s0
	s_cbranch_execz .LBB25_1534
; %bb.1533:                             ;   in Loop: Header=BB25_17 Depth=1
	flat_load_b32 v0, v[0:1]
	s_waitcnt vmcnt(0) lgkmcnt(0)
	v_cvt_f32_i32_e32 v12, v0
.LBB25_1534:                            ;   in Loop: Header=BB25_17 Depth=1
	s_or_b32 exec_lo, exec_lo, s0
                                        ; implicit-def: $vgpr0_vgpr1
.LBB25_1535:                            ;   in Loop: Header=BB25_17 Depth=1
	s_and_not1_saveexec_b32 s0, s35
	s_cbranch_execz .LBB25_1537
; %bb.1536:                             ;   in Loop: Header=BB25_17 Depth=1
	flat_load_i16 v0, v[0:1]
	s_waitcnt vmcnt(0) lgkmcnt(0)
	v_cvt_f32_i32_e32 v12, v0
.LBB25_1537:                            ;   in Loop: Header=BB25_17 Depth=1
	s_or_b32 exec_lo, exec_lo, s0
                                        ; implicit-def: $vgpr0_vgpr1
                                        ; implicit-def: $vgpr13
.LBB25_1538:                            ;   in Loop: Header=BB25_17 Depth=1
	s_and_not1_saveexec_b32 s34, s34
	s_cbranch_execz .LBB25_1544
; %bb.1539:                             ;   in Loop: Header=BB25_17 Depth=1
	v_cmp_lt_i16_e64 s0, 0, v13
                                        ; implicit-def: $vgpr12
	s_delay_alu instid0(VALU_DEP_1) | instskip(NEXT) | instid1(SALU_CYCLE_1)
	s_and_saveexec_b32 s35, s0
	s_xor_b32 s0, exec_lo, s35
	s_cbranch_execz .LBB25_1541
; %bb.1540:                             ;   in Loop: Header=BB25_17 Depth=1
	flat_load_i8 v0, v[0:1]
	s_waitcnt vmcnt(0) lgkmcnt(0)
	v_cvt_f32_i32_e32 v12, v0
                                        ; implicit-def: $vgpr0_vgpr1
.LBB25_1541:                            ;   in Loop: Header=BB25_17 Depth=1
	s_and_not1_saveexec_b32 s0, s0
	s_cbranch_execz .LBB25_1543
; %bb.1542:                             ;   in Loop: Header=BB25_17 Depth=1
	flat_load_u8 v0, v[0:1]
	s_waitcnt vmcnt(0) lgkmcnt(0)
	v_cvt_f32_ubyte0_e32 v12, v0
.LBB25_1543:                            ;   in Loop: Header=BB25_17 Depth=1
	s_or_b32 exec_lo, exec_lo, s0
.LBB25_1544:                            ;   in Loop: Header=BB25_17 Depth=1
	s_delay_alu instid0(SALU_CYCLE_1)
	s_or_b32 exec_lo, exec_lo, s34
.LBB25_1545:                            ;   in Loop: Header=BB25_17 Depth=1
	s_delay_alu instid0(SALU_CYCLE_1) | instskip(NEXT) | instid1(SALU_CYCLE_1)
	s_or_b32 exec_lo, exec_lo, s31
	s_and_not1_b32 vcc_hi, vcc_hi, exec_lo
	s_and_not1_b32 s29, s29, exec_lo
	s_or_b32 s30, s30, exec_lo
	s_or_b32 exec_lo, exec_lo, s28
	s_mov_b32 s0, 0
	s_and_saveexec_b32 s28, s30
	s_cbranch_execnz .LBB25_1422
	s_branch .LBB25_1423
.LBB25_1546:                            ;   in Loop: Header=BB25_17 Depth=1
	s_mov_b32 s26, exec_lo
                                        ; implicit-def: $sgpr31
                                        ; implicit-def: $sgpr27
                                        ; implicit-def: $vgpr13
	v_cmpx_lt_i16_e32 25, v2
	s_xor_b32 s26, exec_lo, s26
	s_cbranch_execz .LBB25_1578
; %bb.1547:                             ;   in Loop: Header=BB25_17 Depth=1
	s_mov_b32 s27, exec_lo
                                        ; implicit-def: $sgpr31
                                        ; implicit-def: $sgpr34
                                        ; implicit-def: $vgpr13
	v_cmpx_lt_i16_e32 28, v2
	s_xor_b32 s27, exec_lo, s27
	s_cbranch_execz .LBB25_1563
; %bb.1548:                             ;   in Loop: Header=BB25_17 Depth=1
	s_mov_b32 s35, 0
	s_mov_b32 s30, exec_lo
                                        ; implicit-def: $sgpr31
                                        ; implicit-def: $sgpr34
                                        ; implicit-def: $vgpr13
	v_cmpx_lt_i16_e32 43, v2
	s_xor_b32 s30, exec_lo, s30
	s_cbranch_execz .LBB25_1558
; %bb.1549:                             ;   in Loop: Header=BB25_17 Depth=1
	s_mov_b32 s34, exec_lo
                                        ; implicit-def: $sgpr31
                                        ; implicit-def: $sgpr36
                                        ; implicit-def: $vgpr13
	v_cmpx_lt_i16_e32 45, v2
	s_xor_b32 s34, exec_lo, s34
	s_cbranch_execz .LBB25_1553
; %bb.1550:                             ;   in Loop: Header=BB25_17 Depth=1
	s_mov_b32 s31, 0
	s_mov_b32 s36, exec_lo
                                        ; implicit-def: $vgpr13
	v_cmpx_eq_u16_e32 46, v2
	s_cbranch_execz .LBB25_1552
; %bb.1551:                             ;   in Loop: Header=BB25_17 Depth=1
	flat_load_b32 v0, v[0:1]
	s_mov_b32 s35, exec_lo
	s_waitcnt vmcnt(0) lgkmcnt(0)
	v_lshlrev_b32_e32 v13, 16, v0
.LBB25_1552:                            ;   in Loop: Header=BB25_17 Depth=1
	s_or_b32 exec_lo, exec_lo, s36
	s_mov_b32 s36, -1
	s_and_b32 s35, s35, exec_lo
                                        ; implicit-def: $vgpr0_vgpr1
.LBB25_1553:                            ;   in Loop: Header=BB25_17 Depth=1
	s_and_not1_saveexec_b32 s34, s34
	s_cbranch_execz .LBB25_1557
; %bb.1554:                             ;   in Loop: Header=BB25_17 Depth=1
	s_mov_b32 s39, s35
	s_mov_b32 s37, exec_lo
                                        ; implicit-def: $vgpr13
	v_cmpx_eq_u16_e32 44, v2
	s_cbranch_execz .LBB25_1556
; %bb.1555:                             ;   in Loop: Header=BB25_17 Depth=1
	flat_load_u8 v0, v[0:1]
	s_or_b32 s39, s35, exec_lo
	s_waitcnt vmcnt(0) lgkmcnt(0)
	v_lshlrev_b32_e32 v1, 23, v0
	v_cmp_ne_u32_e64 s0, 0xff, v0
	s_delay_alu instid0(VALU_DEP_1) | instskip(SKIP_1) | instid1(VALU_DEP_1)
	v_cndmask_b32_e64 v1, 0x7f800001, v1, s0
	v_cmp_ne_u32_e64 s0, 0, v0
	v_cndmask_b32_e64 v13, 0x400000, v1, s0
.LBB25_1556:                            ;   in Loop: Header=BB25_17 Depth=1
	s_or_b32 exec_lo, exec_lo, s37
	s_delay_alu instid0(SALU_CYCLE_1)
	s_and_not1_b32 s0, s35, exec_lo
	s_and_b32 s35, s39, exec_lo
	s_and_not1_b32 s31, s31, exec_lo
	s_or_b32 s36, s36, exec_lo
	s_or_b32 s35, s0, s35
.LBB25_1557:                            ;   in Loop: Header=BB25_17 Depth=1
	s_or_b32 exec_lo, exec_lo, s34
	s_delay_alu instid0(SALU_CYCLE_1)
	s_and_b32 s34, s31, exec_lo
	s_and_b32 s31, s36, exec_lo
	;; [unrolled: 1-line block ×3, first 2 shown]
                                        ; implicit-def: $vgpr0_vgpr1
.LBB25_1558:                            ;   in Loop: Header=BB25_17 Depth=1
	s_and_not1_saveexec_b32 s30, s30
	s_cbranch_execz .LBB25_1562
; %bb.1559:                             ;   in Loop: Header=BB25_17 Depth=1
	s_mov_b32 s37, s35
	s_mov_b32 s36, exec_lo
                                        ; implicit-def: $vgpr13
	v_cmpx_eq_u16_e32 29, v2
	s_cbranch_execz .LBB25_1561
; %bb.1560:                             ;   in Loop: Header=BB25_17 Depth=1
	flat_load_b64 v[0:1], v[0:1]
	s_or_b32 s37, s35, exec_lo
	s_waitcnt vmcnt(0) lgkmcnt(0)
	v_clz_i32_u32_e32 v8, v1
	s_delay_alu instid0(VALU_DEP_1) | instskip(NEXT) | instid1(VALU_DEP_1)
	v_min_u32_e32 v8, 32, v8
	v_lshlrev_b64 v[0:1], v8, v[0:1]
	s_delay_alu instid0(VALU_DEP_1) | instskip(NEXT) | instid1(VALU_DEP_1)
	v_min_u32_e32 v0, 1, v0
	v_or_b32_e32 v0, v1, v0
	v_sub_nc_u32_e32 v1, 32, v8
	s_delay_alu instid0(VALU_DEP_2) | instskip(NEXT) | instid1(VALU_DEP_1)
	v_cvt_f32_u32_e32 v0, v0
	v_ldexp_f32 v13, v0, v1
.LBB25_1561:                            ;   in Loop: Header=BB25_17 Depth=1
	s_or_b32 exec_lo, exec_lo, s36
	s_delay_alu instid0(SALU_CYCLE_1)
	s_and_not1_b32 s0, s35, exec_lo
	s_and_b32 s35, s37, exec_lo
	s_and_not1_b32 s34, s34, exec_lo
	s_or_b32 s31, s31, exec_lo
	s_or_b32 s35, s0, s35
.LBB25_1562:                            ;   in Loop: Header=BB25_17 Depth=1
	s_or_b32 exec_lo, exec_lo, s30
	s_delay_alu instid0(SALU_CYCLE_1)
	s_and_b32 s34, s34, exec_lo
	s_and_b32 s31, s31, exec_lo
	;; [unrolled: 1-line block ×3, first 2 shown]
                                        ; implicit-def: $vgpr0_vgpr1
.LBB25_1563:                            ;   in Loop: Header=BB25_17 Depth=1
	s_and_not1_saveexec_b32 s27, s27
	s_cbranch_execz .LBB25_1577
; %bb.1564:                             ;   in Loop: Header=BB25_17 Depth=1
	s_mov_b32 s35, exec_lo
                                        ; implicit-def: $vgpr13
	v_cmpx_lt_i16_e32 26, v2
	s_xor_b32 s35, exec_lo, s35
	s_cbranch_execz .LBB25_1570
; %bb.1565:                             ;   in Loop: Header=BB25_17 Depth=1
	v_cmp_lt_i16_e64 s0, 27, v2
                                        ; implicit-def: $vgpr13
	s_delay_alu instid0(VALU_DEP_1) | instskip(NEXT) | instid1(SALU_CYCLE_1)
	s_and_saveexec_b32 s36, s0
	s_xor_b32 s0, exec_lo, s36
	s_cbranch_execz .LBB25_1567
; %bb.1566:                             ;   in Loop: Header=BB25_17 Depth=1
	flat_load_b32 v0, v[0:1]
	s_waitcnt vmcnt(0) lgkmcnt(0)
	v_cvt_f32_u32_e32 v13, v0
                                        ; implicit-def: $vgpr0_vgpr1
.LBB25_1567:                            ;   in Loop: Header=BB25_17 Depth=1
	s_and_not1_saveexec_b32 s0, s0
	s_cbranch_execz .LBB25_1569
; %bb.1568:                             ;   in Loop: Header=BB25_17 Depth=1
	flat_load_u16 v0, v[0:1]
	s_waitcnt vmcnt(0) lgkmcnt(0)
	v_cvt_f32_u32_e32 v13, v0
.LBB25_1569:                            ;   in Loop: Header=BB25_17 Depth=1
	s_or_b32 exec_lo, exec_lo, s0
                                        ; implicit-def: $vgpr0_vgpr1
.LBB25_1570:                            ;   in Loop: Header=BB25_17 Depth=1
	s_and_not1_saveexec_b32 s35, s35
	s_cbranch_execz .LBB25_1576
; %bb.1571:                             ;   in Loop: Header=BB25_17 Depth=1
	flat_load_u8 v0, v[0:1]
	s_mov_b32 s36, 0
	s_mov_b32 s39, exec_lo
                                        ; implicit-def: $sgpr37
	s_waitcnt vmcnt(0) lgkmcnt(0)
	v_cmpx_lt_i16_e32 0x7f, v0
	s_xor_b32 s39, exec_lo, s39
	s_cbranch_execnz .LBB25_2350
; %bb.1572:                             ;   in Loop: Header=BB25_17 Depth=1
	s_or_saveexec_b32 s39, s39
	v_mov_b32_e32 v13, s37
	s_xor_b32 exec_lo, exec_lo, s39
	s_cbranch_execnz .LBB25_2353
.LBB25_1573:                            ;   in Loop: Header=BB25_17 Depth=1
	s_or_b32 exec_lo, exec_lo, s39
	s_and_saveexec_b32 s37, s36
	s_cbranch_execz .LBB25_1575
.LBB25_1574:                            ;   in Loop: Header=BB25_17 Depth=1
	v_and_b32_e32 v1, 0xffff, v0
	v_lshlrev_b32_e32 v0, 24, v0
	s_delay_alu instid0(VALU_DEP_2) | instskip(NEXT) | instid1(VALU_DEP_2)
	v_and_b32_e32 v8, 7, v1
	v_and_b32_e32 v0, 0x80000000, v0
	s_delay_alu instid0(VALU_DEP_2) | instskip(NEXT) | instid1(VALU_DEP_1)
	v_clz_i32_u32_e32 v13, v8
	v_min_u32_e32 v13, 32, v13
	s_delay_alu instid0(VALU_DEP_1) | instskip(SKIP_1) | instid1(VALU_DEP_2)
	v_subrev_nc_u32_e32 v14, 28, v13
	v_sub_nc_u32_e32 v13, 29, v13
	v_lshlrev_b32_e32 v14, v14, v1
	v_bfe_u32 v1, v1, 3, 4
	s_delay_alu instid0(VALU_DEP_2) | instskip(NEXT) | instid1(VALU_DEP_2)
	v_and_b32_e32 v14, 7, v14
	v_cmp_eq_u32_e64 s0, 0, v1
	s_delay_alu instid0(VALU_DEP_1) | instskip(NEXT) | instid1(VALU_DEP_3)
	v_cndmask_b32_e64 v1, v1, v13, s0
	v_cndmask_b32_e64 v8, v8, v14, s0
	s_delay_alu instid0(VALU_DEP_2) | instskip(NEXT) | instid1(VALU_DEP_2)
	v_lshl_add_u32 v1, v1, 23, 0x3b800000
	v_lshlrev_b32_e32 v8, 20, v8
	s_delay_alu instid0(VALU_DEP_1)
	v_or3_b32 v13, v0, v1, v8
.LBB25_1575:                            ;   in Loop: Header=BB25_17 Depth=1
	s_or_b32 exec_lo, exec_lo, s37
.LBB25_1576:                            ;   in Loop: Header=BB25_17 Depth=1
	s_delay_alu instid0(SALU_CYCLE_1) | instskip(NEXT) | instid1(SALU_CYCLE_1)
	s_or_b32 exec_lo, exec_lo, s35
	s_and_not1_b32 s34, s34, exec_lo
	s_and_not1_b32 s31, s31, exec_lo
	s_or_b32 s30, s30, exec_lo
.LBB25_1577:                            ;   in Loop: Header=BB25_17 Depth=1
	s_or_b32 exec_lo, exec_lo, s27
	s_delay_alu instid0(SALU_CYCLE_1)
	s_and_b32 s27, s34, exec_lo
	s_and_b32 s31, s31, exec_lo
	;; [unrolled: 1-line block ×3, first 2 shown]
                                        ; implicit-def: $vgpr0_vgpr1
.LBB25_1578:                            ;   in Loop: Header=BB25_17 Depth=1
	s_and_not1_saveexec_b32 s26, s26
	s_cbranch_execz .LBB25_1604
; %bb.1579:                             ;   in Loop: Header=BB25_17 Depth=1
	s_mov_b32 s35, s30
	s_mov_b32 s34, exec_lo
                                        ; implicit-def: $vgpr13
	v_cmpx_lt_i16_e32 22, v2
	s_xor_b32 s34, exec_lo, s34
	s_cbranch_execz .LBB25_1593
; %bb.1580:                             ;   in Loop: Header=BB25_17 Depth=1
	s_mov_b32 s35, exec_lo
                                        ; implicit-def: $vgpr13
	v_cmpx_lt_i16_e32 23, v2
	s_xor_b32 s35, exec_lo, s35
	s_cbranch_execz .LBB25_1590
; %bb.1581:                             ;   in Loop: Header=BB25_17 Depth=1
	;; [unrolled: 6-line block ×3, first 2 shown]
	flat_load_u8 v0, v[0:1]
	s_mov_b32 s37, 0
	s_mov_b32 s40, exec_lo
                                        ; implicit-def: $sgpr39
	s_waitcnt vmcnt(0) lgkmcnt(0)
	v_cmpx_lt_i16_e32 0x7f, v0
	s_xor_b32 s40, exec_lo, s40
	s_cbranch_execnz .LBB25_2569
; %bb.1583:                             ;   in Loop: Header=BB25_17 Depth=1
	s_or_saveexec_b32 s40, s40
	v_mov_b32_e32 v13, s39
	s_xor_b32 exec_lo, exec_lo, s40
	s_cbranch_execnz .LBB25_2572
.LBB25_1584:                            ;   in Loop: Header=BB25_17 Depth=1
	s_or_b32 exec_lo, exec_lo, s40
	s_and_saveexec_b32 s39, s37
	s_cbranch_execz .LBB25_1586
.LBB25_1585:                            ;   in Loop: Header=BB25_17 Depth=1
	v_and_b32_e32 v1, 0xffff, v0
	v_lshlrev_b32_e32 v0, 24, v0
	s_delay_alu instid0(VALU_DEP_2) | instskip(NEXT) | instid1(VALU_DEP_2)
	v_and_b32_e32 v8, 3, v1
	v_and_b32_e32 v0, 0x80000000, v0
	s_delay_alu instid0(VALU_DEP_2) | instskip(NEXT) | instid1(VALU_DEP_1)
	v_clz_i32_u32_e32 v13, v8
	v_min_u32_e32 v13, 32, v13
	s_delay_alu instid0(VALU_DEP_1) | instskip(SKIP_1) | instid1(VALU_DEP_2)
	v_subrev_nc_u32_e32 v14, 29, v13
	v_sub_nc_u32_e32 v13, 30, v13
	v_lshlrev_b32_e32 v14, v14, v1
	v_bfe_u32 v1, v1, 2, 5
	s_delay_alu instid0(VALU_DEP_2) | instskip(NEXT) | instid1(VALU_DEP_2)
	v_and_b32_e32 v14, 3, v14
	v_cmp_eq_u32_e64 s0, 0, v1
	s_delay_alu instid0(VALU_DEP_1) | instskip(NEXT) | instid1(VALU_DEP_3)
	v_cndmask_b32_e64 v1, v1, v13, s0
	v_cndmask_b32_e64 v8, v8, v14, s0
	s_delay_alu instid0(VALU_DEP_2) | instskip(NEXT) | instid1(VALU_DEP_2)
	v_lshl_add_u32 v1, v1, 23, 0x37800000
	v_lshlrev_b32_e32 v8, 21, v8
	s_delay_alu instid0(VALU_DEP_1)
	v_or3_b32 v13, v0, v1, v8
.LBB25_1586:                            ;   in Loop: Header=BB25_17 Depth=1
	s_or_b32 exec_lo, exec_lo, s39
                                        ; implicit-def: $vgpr0_vgpr1
.LBB25_1587:                            ;   in Loop: Header=BB25_17 Depth=1
	s_and_not1_saveexec_b32 s36, s36
	s_cbranch_execz .LBB25_1589
; %bb.1588:                             ;   in Loop: Header=BB25_17 Depth=1
	flat_load_u8 v0, v[0:1]
	s_waitcnt vmcnt(0) lgkmcnt(0)
	v_lshlrev_b32_e32 v0, 24, v0
	s_delay_alu instid0(VALU_DEP_1) | instskip(NEXT) | instid1(VALU_DEP_1)
	v_and_b32_e32 v1, 0x7f000000, v0
	v_clz_i32_u32_e32 v8, v1
	v_add_nc_u32_e32 v14, 0x1000000, v1
	v_cmp_ne_u32_e64 s0, 0, v1
	s_delay_alu instid0(VALU_DEP_3) | instskip(NEXT) | instid1(VALU_DEP_1)
	v_min_u32_e32 v8, 32, v8
	v_sub_nc_u32_e64 v8, v8, 4 clamp
	s_delay_alu instid0(VALU_DEP_1) | instskip(SKIP_1) | instid1(VALU_DEP_2)
	v_lshlrev_b32_e32 v13, v8, v1
	v_lshlrev_b32_e32 v8, 23, v8
	v_lshrrev_b32_e32 v13, 4, v13
	s_delay_alu instid0(VALU_DEP_1) | instskip(SKIP_1) | instid1(VALU_DEP_2)
	v_sub_nc_u32_e32 v8, v13, v8
	v_ashrrev_i32_e32 v13, 8, v14
	v_add_nc_u32_e32 v8, 0x3c000000, v8
	s_delay_alu instid0(VALU_DEP_1) | instskip(NEXT) | instid1(VALU_DEP_1)
	v_and_or_b32 v8, 0x7f800000, v13, v8
	v_cndmask_b32_e64 v1, 0, v8, s0
	s_delay_alu instid0(VALU_DEP_1)
	v_and_or_b32 v13, 0x80000000, v0, v1
.LBB25_1589:                            ;   in Loop: Header=BB25_17 Depth=1
	s_or_b32 exec_lo, exec_lo, s36
                                        ; implicit-def: $vgpr0_vgpr1
.LBB25_1590:                            ;   in Loop: Header=BB25_17 Depth=1
	s_and_not1_saveexec_b32 s35, s35
	s_cbranch_execz .LBB25_1592
; %bb.1591:                             ;   in Loop: Header=BB25_17 Depth=1
	flat_load_u8 v0, v[0:1]
	s_waitcnt vmcnt(0) lgkmcnt(0)
	v_lshlrev_b32_e32 v1, 25, v0
	v_lshlrev_b16 v0, 8, v0
	s_delay_alu instid0(VALU_DEP_2) | instskip(NEXT) | instid1(VALU_DEP_2)
	v_lshrrev_b32_e32 v8, 4, v1
	v_and_or_b32 v13, 0x7f00, v0, 0.5
	v_cmp_gt_u32_e64 s0, 0x8000000, v1
	v_bfe_i32 v0, v0, 0, 16
	s_delay_alu instid0(VALU_DEP_4) | instskip(NEXT) | instid1(VALU_DEP_1)
	v_or_b32_e32 v8, 0x70000000, v8
	v_dual_add_f32 v13, -0.5, v13 :: v_dual_mul_f32 v8, 0x7800000, v8
	s_delay_alu instid0(VALU_DEP_1) | instskip(NEXT) | instid1(VALU_DEP_1)
	v_cndmask_b32_e64 v1, v8, v13, s0
	v_and_or_b32 v13, 0x80000000, v0, v1
.LBB25_1592:                            ;   in Loop: Header=BB25_17 Depth=1
	s_or_b32 exec_lo, exec_lo, s35
	s_delay_alu instid0(SALU_CYCLE_1)
	s_or_b32 s35, s30, exec_lo
                                        ; implicit-def: $vgpr0_vgpr1
.LBB25_1593:                            ;   in Loop: Header=BB25_17 Depth=1
	s_or_saveexec_b32 s34, s34
                                        ; implicit-def: $sgpr36
                                        ; implicit-def: $sgpr0
	s_delay_alu instid0(SALU_CYCLE_1)
	s_xor_b32 exec_lo, exec_lo, s34
	s_cbranch_execz .LBB25_1603
; %bb.1594:                             ;   in Loop: Header=BB25_17 Depth=1
	s_mov_b32 s37, s35
	s_mov_b32 s40, exec_lo
                                        ; implicit-def: $sgpr39
                                        ; implicit-def: $sgpr36
                                        ; implicit-def: $vgpr13
	v_cmpx_lt_i16_e32 14, v2
	s_xor_b32 s40, exec_lo, s40
	s_cbranch_execz .LBB25_1598
; %bb.1595:                             ;   in Loop: Header=BB25_17 Depth=1
	s_mov_b32 s37, s35
	s_mov_b32 s36, exec_lo
                                        ; implicit-def: $vgpr13
	v_cmpx_eq_u16_e32 15, v2
	s_cbranch_execz .LBB25_1597
; %bb.1596:                             ;   in Loop: Header=BB25_17 Depth=1
	flat_load_u16 v0, v[0:1]
	s_or_b32 s37, s35, exec_lo
	s_waitcnt vmcnt(0) lgkmcnt(0)
	v_lshlrev_b32_e32 v13, 16, v0
.LBB25_1597:                            ;   in Loop: Header=BB25_17 Depth=1
	s_or_b32 exec_lo, exec_lo, s36
	s_delay_alu instid0(SALU_CYCLE_1)
	s_and_not1_b32 s0, s35, exec_lo
	s_and_b32 s37, s37, exec_lo
	s_mov_b32 s36, -1
	s_mov_b32 s39, 0
	s_or_b32 s37, s0, s37
                                        ; implicit-def: $vgpr0_vgpr1
.LBB25_1598:                            ;   in Loop: Header=BB25_17 Depth=1
	s_and_not1_saveexec_b32 s40, s40
	s_cbranch_execz .LBB25_1602
; %bb.1599:                             ;   in Loop: Header=BB25_17 Depth=1
	s_mov_b32 s41, s37
	s_mov_b32 s42, exec_lo
                                        ; implicit-def: $vgpr13
	v_cmpx_eq_u16_e32 11, v2
	s_cbranch_execz .LBB25_1601
; %bb.1600:                             ;   in Loop: Header=BB25_17 Depth=1
	flat_load_u8 v0, v[0:1]
	s_or_b32 s41, s37, exec_lo
	s_waitcnt vmcnt(0) lgkmcnt(0)
	v_cmp_ne_u16_e64 s0, 0, v0
	s_delay_alu instid0(VALU_DEP_1)
	v_cndmask_b32_e64 v13, 0, 1.0, s0
.LBB25_1601:                            ;   in Loop: Header=BB25_17 Depth=1
	s_or_b32 exec_lo, exec_lo, s42
	s_delay_alu instid0(SALU_CYCLE_1)
	s_and_not1_b32 s0, s37, exec_lo
	s_and_b32 s37, s41, exec_lo
	s_and_not1_b32 s39, s39, exec_lo
	s_or_b32 s36, s36, exec_lo
	s_or_b32 s37, s0, s37
.LBB25_1602:                            ;   in Loop: Header=BB25_17 Depth=1
	s_or_b32 exec_lo, exec_lo, s40
	s_delay_alu instid0(SALU_CYCLE_1)
	s_and_not1_b32 s35, s35, exec_lo
	s_and_b32 s37, s37, exec_lo
	s_and_b32 s0, s39, exec_lo
	;; [unrolled: 1-line block ×3, first 2 shown]
	s_or_b32 s35, s35, s37
.LBB25_1603:                            ;   in Loop: Header=BB25_17 Depth=1
	s_or_b32 exec_lo, exec_lo, s34
	s_delay_alu instid0(SALU_CYCLE_1)
	s_and_not1_b32 s27, s27, exec_lo
	s_and_b32 s0, s0, exec_lo
	s_and_not1_b32 s30, s30, exec_lo
	s_or_b32 s27, s27, s0
	s_and_not1_b32 s0, s31, exec_lo
	s_and_b32 s31, s36, exec_lo
	s_and_b32 s34, s35, exec_lo
	s_or_b32 s31, s0, s31
	s_or_b32 s30, s30, s34
.LBB25_1604:                            ;   in Loop: Header=BB25_17 Depth=1
	s_or_b32 exec_lo, exec_lo, s26
	s_delay_alu instid0(SALU_CYCLE_1)
	s_and_b32 s27, s27, exec_lo
	s_and_b32 s26, s31, exec_lo
	;; [unrolled: 1-line block ×3, first 2 shown]
                                        ; implicit-def: $vgpr0_vgpr1
	s_and_not1_saveexec_b32 vcc_hi, vcc_hi
	s_cbranch_execz .LBB25_1429
.LBB25_1605:                            ;   in Loop: Header=BB25_17 Depth=1
	s_mov_b32 s31, exec_lo
                                        ; implicit-def: $vgpr13
	v_cmpx_lt_i16_e32 4, v2
	s_xor_b32 s31, exec_lo, s31
	s_cbranch_execz .LBB25_1627
; %bb.1606:                             ;   in Loop: Header=BB25_17 Depth=1
	s_mov_b32 s34, exec_lo
                                        ; implicit-def: $vgpr13
	v_cmpx_lt_i16_e32 7, v2
	s_xor_b32 s34, exec_lo, s34
	s_cbranch_execz .LBB25_1616
; %bb.1607:                             ;   in Loop: Header=BB25_17 Depth=1
	;; [unrolled: 6-line block ×3, first 2 shown]
	v_cmp_lt_i16_e64 s0, 9, v2
                                        ; implicit-def: $vgpr13
	s_delay_alu instid0(VALU_DEP_1) | instskip(NEXT) | instid1(SALU_CYCLE_1)
	s_and_saveexec_b32 s36, s0
	s_xor_b32 s0, exec_lo, s36
	s_cbranch_execz .LBB25_1610
; %bb.1609:                             ;   in Loop: Header=BB25_17 Depth=1
	flat_load_b64 v[0:1], v[0:1]
	s_waitcnt vmcnt(0) lgkmcnt(0)
	v_cvt_f32_f64_e32 v13, v[0:1]
                                        ; implicit-def: $vgpr0_vgpr1
.LBB25_1610:                            ;   in Loop: Header=BB25_17 Depth=1
	s_and_not1_saveexec_b32 s0, s0
	s_cbranch_execz .LBB25_1612
; %bb.1611:                             ;   in Loop: Header=BB25_17 Depth=1
	flat_load_b32 v13, v[0:1]
.LBB25_1612:                            ;   in Loop: Header=BB25_17 Depth=1
	s_or_b32 exec_lo, exec_lo, s0
                                        ; implicit-def: $vgpr0_vgpr1
.LBB25_1613:                            ;   in Loop: Header=BB25_17 Depth=1
	s_and_not1_saveexec_b32 s0, s35
	s_cbranch_execz .LBB25_1615
; %bb.1614:                             ;   in Loop: Header=BB25_17 Depth=1
	flat_load_b32 v0, v[0:1]
	s_waitcnt vmcnt(0) lgkmcnt(0)
	v_cvt_f32_f16_e32 v13, v0
.LBB25_1615:                            ;   in Loop: Header=BB25_17 Depth=1
	s_or_b32 exec_lo, exec_lo, s0
                                        ; implicit-def: $vgpr0_vgpr1
.LBB25_1616:                            ;   in Loop: Header=BB25_17 Depth=1
	s_and_not1_saveexec_b32 s34, s34
	s_cbranch_execz .LBB25_1626
; %bb.1617:                             ;   in Loop: Header=BB25_17 Depth=1
	s_mov_b32 s35, exec_lo
                                        ; implicit-def: $vgpr13
	v_cmpx_lt_i16_e32 5, v2
	s_xor_b32 s35, exec_lo, s35
	s_cbranch_execz .LBB25_1623
; %bb.1618:                             ;   in Loop: Header=BB25_17 Depth=1
	v_cmp_lt_i16_e64 s0, 6, v2
                                        ; implicit-def: $vgpr13
	s_delay_alu instid0(VALU_DEP_1) | instskip(NEXT) | instid1(SALU_CYCLE_1)
	s_and_saveexec_b32 s36, s0
	s_xor_b32 s0, exec_lo, s36
	s_cbranch_execz .LBB25_1620
; %bb.1619:                             ;   in Loop: Header=BB25_17 Depth=1
	flat_load_b64 v[0:1], v[0:1]
	s_waitcnt vmcnt(0) lgkmcnt(0)
	v_cvt_f32_f64_e32 v13, v[0:1]
                                        ; implicit-def: $vgpr0_vgpr1
.LBB25_1620:                            ;   in Loop: Header=BB25_17 Depth=1
	s_and_not1_saveexec_b32 s0, s0
	s_cbranch_execz .LBB25_1622
; %bb.1621:                             ;   in Loop: Header=BB25_17 Depth=1
	s_waitcnt vmcnt(0) lgkmcnt(0)
	flat_load_b32 v13, v[0:1]
.LBB25_1622:                            ;   in Loop: Header=BB25_17 Depth=1
	s_or_b32 exec_lo, exec_lo, s0
                                        ; implicit-def: $vgpr0_vgpr1
.LBB25_1623:                            ;   in Loop: Header=BB25_17 Depth=1
	s_and_not1_saveexec_b32 s0, s35
	s_cbranch_execz .LBB25_1625
; %bb.1624:                             ;   in Loop: Header=BB25_17 Depth=1
	flat_load_u16 v0, v[0:1]
	s_waitcnt vmcnt(0) lgkmcnt(0)
	v_cvt_f32_f16_e32 v13, v0
.LBB25_1625:                            ;   in Loop: Header=BB25_17 Depth=1
	s_or_b32 exec_lo, exec_lo, s0
.LBB25_1626:                            ;   in Loop: Header=BB25_17 Depth=1
	s_delay_alu instid0(SALU_CYCLE_1)
	s_or_b32 exec_lo, exec_lo, s34
                                        ; implicit-def: $vgpr0_vgpr1
.LBB25_1627:                            ;   in Loop: Header=BB25_17 Depth=1
	s_and_not1_saveexec_b32 s31, s31
	s_cbranch_execz .LBB25_1645
; %bb.1628:                             ;   in Loop: Header=BB25_17 Depth=1
	s_mov_b32 s34, exec_lo
                                        ; implicit-def: $vgpr13
	v_cmpx_lt_i16_e32 1, v2
	s_xor_b32 s34, exec_lo, s34
	s_cbranch_execz .LBB25_1638
; %bb.1629:                             ;   in Loop: Header=BB25_17 Depth=1
	s_mov_b32 s35, exec_lo
                                        ; implicit-def: $vgpr13
	v_cmpx_lt_i16_e32 2, v2
	s_xor_b32 s35, exec_lo, s35
	s_cbranch_execz .LBB25_1635
; %bb.1630:                             ;   in Loop: Header=BB25_17 Depth=1
	v_cmp_lt_i16_e64 s0, 3, v2
                                        ; implicit-def: $vgpr13
	s_delay_alu instid0(VALU_DEP_1) | instskip(NEXT) | instid1(SALU_CYCLE_1)
	s_and_saveexec_b32 s36, s0
	s_xor_b32 s0, exec_lo, s36
	s_cbranch_execz .LBB25_1632
; %bb.1631:                             ;   in Loop: Header=BB25_17 Depth=1
	flat_load_b64 v[0:1], v[0:1]
	s_waitcnt vmcnt(0) lgkmcnt(0)
	v_xor_b32_e32 v8, v0, v1
	v_cls_i32_e32 v13, v1
	s_delay_alu instid0(VALU_DEP_2) | instskip(NEXT) | instid1(VALU_DEP_2)
	v_ashrrev_i32_e32 v8, 31, v8
	v_add_nc_u32_e32 v13, -1, v13
	s_delay_alu instid0(VALU_DEP_2) | instskip(NEXT) | instid1(VALU_DEP_1)
	v_add_nc_u32_e32 v8, 32, v8
	v_min_u32_e32 v8, v13, v8
	s_delay_alu instid0(VALU_DEP_1) | instskip(NEXT) | instid1(VALU_DEP_1)
	v_lshlrev_b64 v[0:1], v8, v[0:1]
	v_min_u32_e32 v0, 1, v0
	s_delay_alu instid0(VALU_DEP_1) | instskip(SKIP_1) | instid1(VALU_DEP_2)
	v_or_b32_e32 v0, v1, v0
	v_sub_nc_u32_e32 v1, 32, v8
	v_cvt_f32_i32_e32 v0, v0
	s_delay_alu instid0(VALU_DEP_1)
	v_ldexp_f32 v13, v0, v1
                                        ; implicit-def: $vgpr0_vgpr1
.LBB25_1632:                            ;   in Loop: Header=BB25_17 Depth=1
	s_and_not1_saveexec_b32 s0, s0
	s_cbranch_execz .LBB25_1634
; %bb.1633:                             ;   in Loop: Header=BB25_17 Depth=1
	flat_load_b32 v0, v[0:1]
	s_waitcnt vmcnt(0) lgkmcnt(0)
	v_cvt_f32_i32_e32 v13, v0
.LBB25_1634:                            ;   in Loop: Header=BB25_17 Depth=1
	s_or_b32 exec_lo, exec_lo, s0
                                        ; implicit-def: $vgpr0_vgpr1
.LBB25_1635:                            ;   in Loop: Header=BB25_17 Depth=1
	s_and_not1_saveexec_b32 s0, s35
	s_cbranch_execz .LBB25_1637
; %bb.1636:                             ;   in Loop: Header=BB25_17 Depth=1
	flat_load_i16 v0, v[0:1]
	s_waitcnt vmcnt(0) lgkmcnt(0)
	v_cvt_f32_i32_e32 v13, v0
.LBB25_1637:                            ;   in Loop: Header=BB25_17 Depth=1
	s_or_b32 exec_lo, exec_lo, s0
                                        ; implicit-def: $vgpr0_vgpr1
.LBB25_1638:                            ;   in Loop: Header=BB25_17 Depth=1
	s_and_not1_saveexec_b32 s34, s34
	s_cbranch_execz .LBB25_1644
; %bb.1639:                             ;   in Loop: Header=BB25_17 Depth=1
	v_cmp_lt_i16_e64 s0, 0, v2
                                        ; implicit-def: $vgpr13
	s_delay_alu instid0(VALU_DEP_1) | instskip(NEXT) | instid1(SALU_CYCLE_1)
	s_and_saveexec_b32 s35, s0
	s_xor_b32 s0, exec_lo, s35
	s_cbranch_execz .LBB25_1641
; %bb.1640:                             ;   in Loop: Header=BB25_17 Depth=1
	flat_load_i8 v0, v[0:1]
	s_waitcnt vmcnt(0) lgkmcnt(0)
	v_cvt_f32_i32_e32 v13, v0
                                        ; implicit-def: $vgpr0_vgpr1
.LBB25_1641:                            ;   in Loop: Header=BB25_17 Depth=1
	s_and_not1_saveexec_b32 s0, s0
	s_cbranch_execz .LBB25_1643
; %bb.1642:                             ;   in Loop: Header=BB25_17 Depth=1
	flat_load_u8 v0, v[0:1]
	s_waitcnt vmcnt(0) lgkmcnt(0)
	v_cvt_f32_ubyte0_e32 v13, v0
.LBB25_1643:                            ;   in Loop: Header=BB25_17 Depth=1
	s_or_b32 exec_lo, exec_lo, s0
.LBB25_1644:                            ;   in Loop: Header=BB25_17 Depth=1
	s_delay_alu instid0(SALU_CYCLE_1)
	s_or_b32 exec_lo, exec_lo, s34
.LBB25_1645:                            ;   in Loop: Header=BB25_17 Depth=1
	s_delay_alu instid0(SALU_CYCLE_1) | instskip(NEXT) | instid1(SALU_CYCLE_1)
	s_or_b32 exec_lo, exec_lo, s31
	s_and_not1_b32 s27, s27, exec_lo
	s_and_not1_b32 s26, s26, exec_lo
	s_or_b32 s30, s30, exec_lo
	s_or_b32 exec_lo, exec_lo, vcc_hi
	s_mov_b32 s0, 0
	s_and_saveexec_b32 vcc_hi, s30
	s_cbranch_execz .LBB25_1651
.LBB25_1646:                            ;   in Loop: Header=BB25_17 Depth=1
	s_add_i32 s0, s33, 16
	s_mov_b32 s35, 0
	v_add_nc_u32_e64 v8, s1, s0
	s_mov_b32 s30, exec_lo
                                        ; implicit-def: $sgpr31
                                        ; implicit-def: $sgpr34
	s_delay_alu instid0(VALU_DEP_1) | instskip(SKIP_4) | instid1(VALU_DEP_2)
	v_add_nc_u32_e32 v0, 60, v8
	s_waitcnt vmcnt(0) lgkmcnt(0)
	scratch_store_b32 v0, v13, off
	v_mul_lo_u32 v0, v12, v11
	v_and_b32_e32 v13, 0xff, v9
                                        ; implicit-def: $vgpr12
	v_add_co_u32 v0, s0, v5, v0
	s_delay_alu instid0(VALU_DEP_1) | instskip(NEXT) | instid1(VALU_DEP_3)
	v_add_co_ci_u32_e64 v1, s0, 0, v6, s0
	v_cmpx_lt_i16_e32 10, v13
	s_xor_b32 s30, exec_lo, s30
	s_cbranch_execnz .LBB25_1673
; %bb.1647:                             ;   in Loop: Header=BB25_17 Depth=1
	s_and_not1_saveexec_b32 s30, s30
	s_cbranch_execnz .LBB25_1732
.LBB25_1648:                            ;   in Loop: Header=BB25_17 Depth=1
	s_or_b32 exec_lo, exec_lo, s30
	s_mov_b32 s0, 0
	s_and_saveexec_b32 s30, s35
	s_cbranch_execz .LBB25_1650
.LBB25_1649:                            ;   in Loop: Header=BB25_17 Depth=1
	v_add_nc_u32_e32 v0, 56, v8
	v_add_nc_u32_e32 v7, 0x200, v7
	s_mov_b32 s0, exec_lo
	s_and_not1_b32 s34, s34, exec_lo
	s_and_not1_b32 s31, s31, exec_lo
	s_waitcnt vmcnt(0) lgkmcnt(0)
	scratch_store_b32 v0, v12, off
.LBB25_1650:                            ;   in Loop: Header=BB25_17 Depth=1
	s_or_b32 exec_lo, exec_lo, s30
	s_delay_alu instid0(SALU_CYCLE_1)
	s_and_not1_b32 s27, s27, exec_lo
	s_and_b32 s30, s34, exec_lo
	s_and_not1_b32 s26, s26, exec_lo
	s_and_b32 s31, s31, exec_lo
	s_or_b32 s27, s27, s30
	s_or_b32 s26, s26, s31
	s_and_b32 s0, s0, exec_lo
.LBB25_1651:                            ;   in Loop: Header=BB25_17 Depth=1
	s_or_b32 exec_lo, exec_lo, vcc_hi
	s_delay_alu instid0(SALU_CYCLE_1)
	s_and_b32 s27, s27, exec_lo
	s_and_b32 s26, s26, exec_lo
	s_or_not1_b32 vcc_hi, s0, exec_lo
.LBB25_1652:                            ;   in Loop: Header=BB25_17 Depth=1
	s_or_b32 exec_lo, exec_lo, s28
	s_and_saveexec_b32 s28, vcc_hi
	s_cbranch_execz .LBB25_9
; %bb.1653:                             ;   in Loop: Header=BB25_17 Depth=1
	s_mov_b32 s31, -1
	s_mov_b32 s34, -1
	s_mov_b32 s30, exec_lo
                                        ; implicit-def: $sgpr29
                                        ; implicit-def: $vcc_hi
	v_cmpx_lt_i32_e64 v7, v146
	s_cbranch_execz .LBB25_1879
; %bb.1654:                             ;   in Loop: Header=BB25_17 Depth=1
	s_waitcnt vmcnt(0) lgkmcnt(0)
	v_add_nc_u32_e32 v12, s38, v7
	s_mov_b32 s35, 0
	s_mov_b32 s34, exec_lo
                                        ; implicit-def: $sgpr29
                                        ; implicit-def: $vcc_hi
                                        ; implicit-def: $vgpr13
	s_delay_alu instid0(VALU_DEP_1) | instskip(NEXT) | instid1(VALU_DEP_1)
	v_mul_lo_u32 v0, v12, v10
	v_add_co_u32 v0, s0, v3, v0
	s_delay_alu instid0(VALU_DEP_1)
	v_add_co_ci_u32_e64 v1, s0, 0, v4, s0
	v_cmpx_lt_i16_e32 10, v2
	s_xor_b32 s34, exec_lo, s34
	s_cbranch_execnz .LBB25_1773
; %bb.1655:                             ;   in Loop: Header=BB25_17 Depth=1
	s_and_not1_saveexec_b32 s34, s34
	s_cbranch_execnz .LBB25_1832
.LBB25_1656:                            ;   in Loop: Header=BB25_17 Depth=1
	s_or_b32 exec_lo, exec_lo, s34
	s_mov_b32 s0, 0
	s_and_saveexec_b32 s34, s35
	s_cbranch_execnz .LBB25_1873
	s_branch .LBB25_1878
.LBB25_1657:                            ;   in Loop: Header=BB25_17 Depth=1
	s_mov_b32 s24, -1
	s_mov_b32 s27, exec_lo
                                        ; implicit-def: $sgpr25
	v_cmpx_eq_u16_e32 0x80, v0
; %bb.1658:                             ;   in Loop: Header=BB25_17 Depth=1
	s_mov_b32 s25, 0x7f800001
	s_xor_b32 s24, exec_lo, -1
; %bb.1659:                             ;   in Loop: Header=BB25_17 Depth=1
	s_or_b32 exec_lo, exec_lo, s27
	s_delay_alu instid0(SALU_CYCLE_1)
	s_and_b32 s24, s24, exec_lo
	s_or_saveexec_b32 s26, s26
	v_mov_b32_e32 v12, s25
	s_xor_b32 exec_lo, exec_lo, s26
	s_cbranch_execz .LBB25_592
.LBB25_1660:                            ;   in Loop: Header=BB25_17 Depth=1
	v_cmp_ne_u16_e64 s0, 0, v0
	v_mov_b32_e32 v12, 0
	s_and_not1_b32 s24, s24, exec_lo
	s_delay_alu instid0(VALU_DEP_2) | instskip(NEXT) | instid1(SALU_CYCLE_1)
	s_and_b32 s0, s0, exec_lo
	s_or_b32 s24, s24, s0
	s_or_b32 exec_lo, exec_lo, s26
	s_and_saveexec_b32 s25, s24
	s_cbranch_execnz .LBB25_593
	s_branch .LBB25_594
.LBB25_1661:                            ;   in Loop: Header=BB25_17 Depth=1
	s_mov_b32 s24, -1
	s_mov_b32 s27, exec_lo
                                        ; implicit-def: $sgpr25
	v_cmpx_eq_u16_e32 0x80, v0
; %bb.1662:                             ;   in Loop: Header=BB25_17 Depth=1
	s_mov_b32 s25, 0x7f800001
	s_xor_b32 s24, exec_lo, -1
; %bb.1663:                             ;   in Loop: Header=BB25_17 Depth=1
	s_or_b32 exec_lo, exec_lo, s27
	s_delay_alu instid0(SALU_CYCLE_1)
	s_and_b32 s24, s24, exec_lo
	s_or_saveexec_b32 s26, s26
	v_mov_b32_e32 v13, s25
	s_xor_b32 exec_lo, exec_lo, s26
	s_cbranch_execz .LBB25_692
.LBB25_1664:                            ;   in Loop: Header=BB25_17 Depth=1
	v_cmp_ne_u16_e64 s0, 0, v0
	v_mov_b32_e32 v13, 0
	s_and_not1_b32 s24, s24, exec_lo
	s_delay_alu instid0(VALU_DEP_2) | instskip(NEXT) | instid1(SALU_CYCLE_1)
	s_and_b32 s0, s0, exec_lo
	s_or_b32 s24, s24, s0
	s_or_b32 exec_lo, exec_lo, s26
	s_and_saveexec_b32 s25, s24
	s_cbranch_execnz .LBB25_693
	s_branch .LBB25_694
.LBB25_1665:                            ;   in Loop: Header=BB25_17 Depth=1
	s_mov_b32 s26, -1
	s_mov_b32 s29, exec_lo
                                        ; implicit-def: $sgpr27
	v_cmpx_eq_u16_e32 0x80, v0
; %bb.1666:                             ;   in Loop: Header=BB25_17 Depth=1
	s_mov_b32 s27, 0x7f800001
	s_xor_b32 s26, exec_lo, -1
; %bb.1667:                             ;   in Loop: Header=BB25_17 Depth=1
	s_or_b32 exec_lo, exec_lo, s29
	s_delay_alu instid0(SALU_CYCLE_1)
	s_and_b32 s26, s26, exec_lo
	s_or_saveexec_b32 s28, s28
	v_mov_b32_e32 v12, s27
	s_xor_b32 exec_lo, exec_lo, s28
	s_cbranch_execz .LBB25_796
.LBB25_1668:                            ;   in Loop: Header=BB25_17 Depth=1
	v_cmp_ne_u16_e64 s0, 0, v0
	v_mov_b32_e32 v12, 0
	s_and_not1_b32 s26, s26, exec_lo
	s_delay_alu instid0(VALU_DEP_2) | instskip(NEXT) | instid1(SALU_CYCLE_1)
	s_and_b32 s0, s0, exec_lo
	s_or_b32 s26, s26, s0
	s_or_b32 exec_lo, exec_lo, s28
	s_and_saveexec_b32 s27, s26
	s_cbranch_execnz .LBB25_797
	s_branch .LBB25_798
.LBB25_1669:                            ;   in Loop: Header=BB25_17 Depth=1
	s_mov_b32 s26, -1
	s_mov_b32 s29, exec_lo
                                        ; implicit-def: $sgpr27
	v_cmpx_eq_u16_e32 0x80, v0
; %bb.1670:                             ;   in Loop: Header=BB25_17 Depth=1
	s_mov_b32 s27, 0x7f800001
	s_xor_b32 s26, exec_lo, -1
; %bb.1671:                             ;   in Loop: Header=BB25_17 Depth=1
	s_or_b32 exec_lo, exec_lo, s29
	s_delay_alu instid0(SALU_CYCLE_1)
	s_and_b32 s26, s26, exec_lo
	s_or_saveexec_b32 s28, s28
	v_mov_b32_e32 v13, s27
	s_xor_b32 exec_lo, exec_lo, s28
	s_cbranch_execz .LBB25_896
.LBB25_1672:                            ;   in Loop: Header=BB25_17 Depth=1
	v_cmp_ne_u16_e64 s0, 0, v0
	v_mov_b32_e32 v13, 0
	s_and_not1_b32 s26, s26, exec_lo
	s_delay_alu instid0(VALU_DEP_2) | instskip(NEXT) | instid1(SALU_CYCLE_1)
	s_and_b32 s0, s0, exec_lo
	s_or_b32 s26, s26, s0
	s_or_b32 exec_lo, exec_lo, s28
	s_and_saveexec_b32 s27, s26
	s_cbranch_execnz .LBB25_897
	s_branch .LBB25_898
.LBB25_1673:                            ;   in Loop: Header=BB25_17 Depth=1
	s_mov_b32 s31, exec_lo
                                        ; implicit-def: $sgpr36
                                        ; implicit-def: $sgpr34
                                        ; implicit-def: $vgpr12
	v_cmpx_lt_i16_e32 25, v13
	s_xor_b32 s31, exec_lo, s31
	s_cbranch_execz .LBB25_1705
; %bb.1674:                             ;   in Loop: Header=BB25_17 Depth=1
	s_mov_b32 s34, exec_lo
                                        ; implicit-def: $sgpr36
                                        ; implicit-def: $sgpr37
                                        ; implicit-def: $vgpr12
	v_cmpx_lt_i16_e32 28, v13
	s_xor_b32 s34, exec_lo, s34
	s_cbranch_execz .LBB25_1690
; %bb.1675:                             ;   in Loop: Header=BB25_17 Depth=1
	s_mov_b32 s39, 0
	s_mov_b32 s35, exec_lo
                                        ; implicit-def: $sgpr36
                                        ; implicit-def: $sgpr37
                                        ; implicit-def: $vgpr12
	v_cmpx_lt_i16_e32 43, v13
	s_xor_b32 s35, exec_lo, s35
	s_cbranch_execz .LBB25_1685
; %bb.1676:                             ;   in Loop: Header=BB25_17 Depth=1
	s_mov_b32 s40, exec_lo
                                        ; implicit-def: $sgpr37
                                        ; implicit-def: $sgpr36
                                        ; implicit-def: $vgpr12
	v_cmpx_lt_i16_e32 45, v13
	s_xor_b32 s40, exec_lo, s40
	s_cbranch_execz .LBB25_1680
; %bb.1677:                             ;   in Loop: Header=BB25_17 Depth=1
	s_mov_b32 s36, 0
	s_mov_b32 s37, exec_lo
                                        ; implicit-def: $vgpr12
	v_cmpx_eq_u16_e32 46, v13
	s_cbranch_execz .LBB25_1679
; %bb.1678:                             ;   in Loop: Header=BB25_17 Depth=1
	flat_load_b32 v0, v[0:1]
	s_mov_b32 s39, exec_lo
	s_waitcnt vmcnt(0) lgkmcnt(0)
	v_lshlrev_b32_e32 v12, 16, v0
.LBB25_1679:                            ;   in Loop: Header=BB25_17 Depth=1
	s_or_b32 exec_lo, exec_lo, s37
	s_mov_b32 s37, -1
	s_and_b32 s39, s39, exec_lo
                                        ; implicit-def: $vgpr13
                                        ; implicit-def: $vgpr0_vgpr1
.LBB25_1680:                            ;   in Loop: Header=BB25_17 Depth=1
	s_and_not1_saveexec_b32 s40, s40
	s_cbranch_execz .LBB25_1684
; %bb.1681:                             ;   in Loop: Header=BB25_17 Depth=1
	s_mov_b32 s42, s39
	s_mov_b32 s41, exec_lo
                                        ; implicit-def: $vgpr12
	v_cmpx_eq_u16_e32 44, v13
	s_cbranch_execz .LBB25_1683
; %bb.1682:                             ;   in Loop: Header=BB25_17 Depth=1
	flat_load_u8 v0, v[0:1]
	s_or_b32 s42, s39, exec_lo
	s_waitcnt vmcnt(0) lgkmcnt(0)
	v_lshlrev_b32_e32 v1, 23, v0
	v_cmp_ne_u32_e64 s0, 0xff, v0
	s_delay_alu instid0(VALU_DEP_1) | instskip(SKIP_1) | instid1(VALU_DEP_1)
	v_cndmask_b32_e64 v1, 0x7f800001, v1, s0
	v_cmp_ne_u32_e64 s0, 0, v0
	v_cndmask_b32_e64 v12, 0x400000, v1, s0
.LBB25_1683:                            ;   in Loop: Header=BB25_17 Depth=1
	s_or_b32 exec_lo, exec_lo, s41
	s_delay_alu instid0(SALU_CYCLE_1)
	s_and_not1_b32 s0, s39, exec_lo
	s_and_b32 s39, s42, exec_lo
	s_or_b32 s37, s37, exec_lo
	s_and_not1_b32 s36, s36, exec_lo
	s_or_b32 s39, s0, s39
.LBB25_1684:                            ;   in Loop: Header=BB25_17 Depth=1
	s_or_b32 exec_lo, exec_lo, s40
	s_delay_alu instid0(SALU_CYCLE_1)
	s_and_b32 s37, s37, exec_lo
	s_and_b32 s36, s36, exec_lo
	;; [unrolled: 1-line block ×3, first 2 shown]
                                        ; implicit-def: $vgpr13
                                        ; implicit-def: $vgpr0_vgpr1
.LBB25_1685:                            ;   in Loop: Header=BB25_17 Depth=1
	s_and_not1_saveexec_b32 s35, s35
	s_cbranch_execz .LBB25_1689
; %bb.1686:                             ;   in Loop: Header=BB25_17 Depth=1
	s_mov_b32 s41, s39
	s_mov_b32 s40, exec_lo
                                        ; implicit-def: $vgpr12
	v_cmpx_eq_u16_e32 29, v13
	s_cbranch_execz .LBB25_1688
; %bb.1687:                             ;   in Loop: Header=BB25_17 Depth=1
	flat_load_b64 v[0:1], v[0:1]
	s_or_b32 s41, s39, exec_lo
	s_waitcnt vmcnt(0) lgkmcnt(0)
	v_clz_i32_u32_e32 v12, v1
	s_delay_alu instid0(VALU_DEP_1) | instskip(NEXT) | instid1(VALU_DEP_1)
	v_min_u32_e32 v12, 32, v12
	v_lshlrev_b64 v[0:1], v12, v[0:1]
	s_delay_alu instid0(VALU_DEP_1) | instskip(NEXT) | instid1(VALU_DEP_1)
	v_min_u32_e32 v0, 1, v0
	v_or_b32_e32 v0, v1, v0
	v_sub_nc_u32_e32 v1, 32, v12
	s_delay_alu instid0(VALU_DEP_2) | instskip(NEXT) | instid1(VALU_DEP_1)
	v_cvt_f32_u32_e32 v0, v0
	v_ldexp_f32 v12, v0, v1
.LBB25_1688:                            ;   in Loop: Header=BB25_17 Depth=1
	s_or_b32 exec_lo, exec_lo, s40
	s_delay_alu instid0(SALU_CYCLE_1)
	s_and_not1_b32 s0, s39, exec_lo
	s_and_b32 s39, s41, exec_lo
	s_or_b32 s37, s37, exec_lo
	s_and_not1_b32 s36, s36, exec_lo
	s_or_b32 s39, s0, s39
.LBB25_1689:                            ;   in Loop: Header=BB25_17 Depth=1
	s_or_b32 exec_lo, exec_lo, s35
	s_delay_alu instid0(SALU_CYCLE_1)
	s_and_b32 s37, s37, exec_lo
	s_and_b32 s36, s36, exec_lo
	;; [unrolled: 1-line block ×3, first 2 shown]
                                        ; implicit-def: $vgpr13
                                        ; implicit-def: $vgpr0_vgpr1
.LBB25_1690:                            ;   in Loop: Header=BB25_17 Depth=1
	s_and_not1_saveexec_b32 s34, s34
	s_cbranch_execz .LBB25_1704
; %bb.1691:                             ;   in Loop: Header=BB25_17 Depth=1
	s_mov_b32 s39, exec_lo
                                        ; implicit-def: $vgpr12
	v_cmpx_lt_i16_e32 26, v13
	s_xor_b32 s39, exec_lo, s39
	s_cbranch_execz .LBB25_1697
; %bb.1692:                             ;   in Loop: Header=BB25_17 Depth=1
	v_cmp_lt_i16_e64 s0, 27, v13
                                        ; implicit-def: $vgpr12
	s_delay_alu instid0(VALU_DEP_1) | instskip(NEXT) | instid1(SALU_CYCLE_1)
	s_and_saveexec_b32 s40, s0
	s_xor_b32 s0, exec_lo, s40
	s_cbranch_execz .LBB25_1694
; %bb.1693:                             ;   in Loop: Header=BB25_17 Depth=1
	flat_load_b32 v0, v[0:1]
	s_waitcnt vmcnt(0) lgkmcnt(0)
	v_cvt_f32_u32_e32 v12, v0
                                        ; implicit-def: $vgpr0_vgpr1
.LBB25_1694:                            ;   in Loop: Header=BB25_17 Depth=1
	s_and_not1_saveexec_b32 s0, s0
	s_cbranch_execz .LBB25_1696
; %bb.1695:                             ;   in Loop: Header=BB25_17 Depth=1
	flat_load_u16 v0, v[0:1]
	s_waitcnt vmcnt(0) lgkmcnt(0)
	v_cvt_f32_u32_e32 v12, v0
.LBB25_1696:                            ;   in Loop: Header=BB25_17 Depth=1
	s_or_b32 exec_lo, exec_lo, s0
                                        ; implicit-def: $vgpr0_vgpr1
.LBB25_1697:                            ;   in Loop: Header=BB25_17 Depth=1
	s_and_not1_saveexec_b32 s39, s39
	s_cbranch_execz .LBB25_1703
; %bb.1698:                             ;   in Loop: Header=BB25_17 Depth=1
	flat_load_u8 v0, v[0:1]
	s_mov_b32 s40, 0
	s_mov_b32 s42, exec_lo
                                        ; implicit-def: $sgpr41
	s_waitcnt vmcnt(0) lgkmcnt(0)
	v_cmpx_lt_i16_e32 0x7f, v0
	s_xor_b32 s42, exec_lo, s42
	s_cbranch_execnz .LBB25_2573
; %bb.1699:                             ;   in Loop: Header=BB25_17 Depth=1
	s_or_saveexec_b32 s42, s42
	v_mov_b32_e32 v12, s41
	s_xor_b32 exec_lo, exec_lo, s42
	s_cbranch_execnz .LBB25_2576
.LBB25_1700:                            ;   in Loop: Header=BB25_17 Depth=1
	s_or_b32 exec_lo, exec_lo, s42
	s_and_saveexec_b32 s41, s40
	s_cbranch_execz .LBB25_1702
.LBB25_1701:                            ;   in Loop: Header=BB25_17 Depth=1
	v_and_b32_e32 v1, 0xffff, v0
	v_lshlrev_b32_e32 v0, 24, v0
	s_delay_alu instid0(VALU_DEP_2) | instskip(NEXT) | instid1(VALU_DEP_2)
	v_and_b32_e32 v12, 7, v1
	v_and_b32_e32 v0, 0x80000000, v0
	s_delay_alu instid0(VALU_DEP_2) | instskip(NEXT) | instid1(VALU_DEP_1)
	v_clz_i32_u32_e32 v13, v12
	v_min_u32_e32 v13, 32, v13
	s_delay_alu instid0(VALU_DEP_1) | instskip(SKIP_1) | instid1(VALU_DEP_2)
	v_subrev_nc_u32_e32 v14, 28, v13
	v_sub_nc_u32_e32 v13, 29, v13
	v_lshlrev_b32_e32 v14, v14, v1
	v_bfe_u32 v1, v1, 3, 4
	s_delay_alu instid0(VALU_DEP_2) | instskip(NEXT) | instid1(VALU_DEP_2)
	v_and_b32_e32 v14, 7, v14
	v_cmp_eq_u32_e64 s0, 0, v1
	s_delay_alu instid0(VALU_DEP_1) | instskip(NEXT) | instid1(VALU_DEP_3)
	v_cndmask_b32_e64 v1, v1, v13, s0
	v_cndmask_b32_e64 v12, v12, v14, s0
	s_delay_alu instid0(VALU_DEP_2) | instskip(NEXT) | instid1(VALU_DEP_2)
	v_lshl_add_u32 v1, v1, 23, 0x3b800000
	v_lshlrev_b32_e32 v12, 20, v12
	s_delay_alu instid0(VALU_DEP_1)
	v_or3_b32 v12, v0, v1, v12
.LBB25_1702:                            ;   in Loop: Header=BB25_17 Depth=1
	s_or_b32 exec_lo, exec_lo, s41
.LBB25_1703:                            ;   in Loop: Header=BB25_17 Depth=1
	s_delay_alu instid0(SALU_CYCLE_1) | instskip(NEXT) | instid1(SALU_CYCLE_1)
	s_or_b32 exec_lo, exec_lo, s39
	s_and_not1_b32 s37, s37, exec_lo
	s_and_not1_b32 s36, s36, exec_lo
	s_or_b32 s35, s35, exec_lo
.LBB25_1704:                            ;   in Loop: Header=BB25_17 Depth=1
	s_or_b32 exec_lo, exec_lo, s34
	s_delay_alu instid0(SALU_CYCLE_1)
	s_and_b32 s34, s37, exec_lo
	s_and_b32 s36, s36, exec_lo
	;; [unrolled: 1-line block ×3, first 2 shown]
                                        ; implicit-def: $vgpr13
                                        ; implicit-def: $vgpr0_vgpr1
.LBB25_1705:                            ;   in Loop: Header=BB25_17 Depth=1
	s_and_not1_saveexec_b32 s31, s31
	s_cbranch_execz .LBB25_1731
; %bb.1706:                             ;   in Loop: Header=BB25_17 Depth=1
	s_mov_b32 s39, s35
	s_mov_b32 s37, exec_lo
                                        ; implicit-def: $vgpr12
	v_cmpx_lt_i16_e32 22, v13
	s_xor_b32 s37, exec_lo, s37
	s_cbranch_execz .LBB25_1720
; %bb.1707:                             ;   in Loop: Header=BB25_17 Depth=1
	s_mov_b32 s39, exec_lo
                                        ; implicit-def: $vgpr12
	v_cmpx_lt_i16_e32 23, v13
	s_xor_b32 s39, exec_lo, s39
	s_cbranch_execz .LBB25_1717
; %bb.1708:                             ;   in Loop: Header=BB25_17 Depth=1
	;; [unrolled: 6-line block ×3, first 2 shown]
	flat_load_u8 v0, v[0:1]
	s_mov_b32 s41, 0
	s_mov_b32 s43, exec_lo
                                        ; implicit-def: $sgpr42
	s_waitcnt vmcnt(0) lgkmcnt(0)
	v_cmpx_lt_i16_e32 0x7f, v0
	s_xor_b32 s43, exec_lo, s43
	s_cbranch_execnz .LBB25_2792
; %bb.1710:                             ;   in Loop: Header=BB25_17 Depth=1
	s_or_saveexec_b32 s43, s43
	v_mov_b32_e32 v12, s42
	s_xor_b32 exec_lo, exec_lo, s43
	s_cbranch_execnz .LBB25_2795
.LBB25_1711:                            ;   in Loop: Header=BB25_17 Depth=1
	s_or_b32 exec_lo, exec_lo, s43
	s_and_saveexec_b32 s42, s41
	s_cbranch_execz .LBB25_1713
.LBB25_1712:                            ;   in Loop: Header=BB25_17 Depth=1
	v_and_b32_e32 v1, 0xffff, v0
	v_lshlrev_b32_e32 v0, 24, v0
	s_delay_alu instid0(VALU_DEP_2) | instskip(NEXT) | instid1(VALU_DEP_2)
	v_and_b32_e32 v12, 3, v1
	v_and_b32_e32 v0, 0x80000000, v0
	s_delay_alu instid0(VALU_DEP_2) | instskip(NEXT) | instid1(VALU_DEP_1)
	v_clz_i32_u32_e32 v13, v12
	v_min_u32_e32 v13, 32, v13
	s_delay_alu instid0(VALU_DEP_1) | instskip(SKIP_1) | instid1(VALU_DEP_2)
	v_subrev_nc_u32_e32 v14, 29, v13
	v_sub_nc_u32_e32 v13, 30, v13
	v_lshlrev_b32_e32 v14, v14, v1
	v_bfe_u32 v1, v1, 2, 5
	s_delay_alu instid0(VALU_DEP_2) | instskip(NEXT) | instid1(VALU_DEP_2)
	v_and_b32_e32 v14, 3, v14
	v_cmp_eq_u32_e64 s0, 0, v1
	s_delay_alu instid0(VALU_DEP_1) | instskip(NEXT) | instid1(VALU_DEP_3)
	v_cndmask_b32_e64 v1, v1, v13, s0
	v_cndmask_b32_e64 v12, v12, v14, s0
	s_delay_alu instid0(VALU_DEP_2) | instskip(NEXT) | instid1(VALU_DEP_2)
	v_lshl_add_u32 v1, v1, 23, 0x37800000
	v_lshlrev_b32_e32 v12, 21, v12
	s_delay_alu instid0(VALU_DEP_1)
	v_or3_b32 v12, v0, v1, v12
.LBB25_1713:                            ;   in Loop: Header=BB25_17 Depth=1
	s_or_b32 exec_lo, exec_lo, s42
                                        ; implicit-def: $vgpr0_vgpr1
.LBB25_1714:                            ;   in Loop: Header=BB25_17 Depth=1
	s_and_not1_saveexec_b32 s40, s40
	s_cbranch_execz .LBB25_1716
; %bb.1715:                             ;   in Loop: Header=BB25_17 Depth=1
	flat_load_u8 v0, v[0:1]
	s_waitcnt vmcnt(0) lgkmcnt(0)
	v_lshlrev_b32_e32 v0, 24, v0
	s_delay_alu instid0(VALU_DEP_1) | instskip(NEXT) | instid1(VALU_DEP_1)
	v_and_b32_e32 v1, 0x7f000000, v0
	v_clz_i32_u32_e32 v12, v1
	v_add_nc_u32_e32 v14, 0x1000000, v1
	v_cmp_ne_u32_e64 s0, 0, v1
	s_delay_alu instid0(VALU_DEP_3) | instskip(NEXT) | instid1(VALU_DEP_1)
	v_min_u32_e32 v12, 32, v12
	v_sub_nc_u32_e64 v12, v12, 4 clamp
	s_delay_alu instid0(VALU_DEP_1) | instskip(SKIP_1) | instid1(VALU_DEP_2)
	v_lshlrev_b32_e32 v13, v12, v1
	v_lshlrev_b32_e32 v12, 23, v12
	v_lshrrev_b32_e32 v13, 4, v13
	s_delay_alu instid0(VALU_DEP_1) | instskip(SKIP_1) | instid1(VALU_DEP_2)
	v_sub_nc_u32_e32 v12, v13, v12
	v_ashrrev_i32_e32 v13, 8, v14
	v_add_nc_u32_e32 v12, 0x3c000000, v12
	s_delay_alu instid0(VALU_DEP_1) | instskip(NEXT) | instid1(VALU_DEP_1)
	v_and_or_b32 v12, 0x7f800000, v13, v12
	v_cndmask_b32_e64 v1, 0, v12, s0
	s_delay_alu instid0(VALU_DEP_1)
	v_and_or_b32 v12, 0x80000000, v0, v1
.LBB25_1716:                            ;   in Loop: Header=BB25_17 Depth=1
	s_or_b32 exec_lo, exec_lo, s40
                                        ; implicit-def: $vgpr0_vgpr1
.LBB25_1717:                            ;   in Loop: Header=BB25_17 Depth=1
	s_and_not1_saveexec_b32 s39, s39
	s_cbranch_execz .LBB25_1719
; %bb.1718:                             ;   in Loop: Header=BB25_17 Depth=1
	flat_load_u8 v0, v[0:1]
	s_waitcnt vmcnt(0) lgkmcnt(0)
	v_lshlrev_b32_e32 v1, 25, v0
	v_lshlrev_b16 v0, 8, v0
	s_delay_alu instid0(VALU_DEP_2) | instskip(NEXT) | instid1(VALU_DEP_2)
	v_lshrrev_b32_e32 v12, 4, v1
	v_and_or_b32 v13, 0x7f00, v0, 0.5
	v_cmp_gt_u32_e64 s0, 0x8000000, v1
	v_bfe_i32 v0, v0, 0, 16
	s_delay_alu instid0(VALU_DEP_4) | instskip(NEXT) | instid1(VALU_DEP_1)
	v_or_b32_e32 v12, 0x70000000, v12
	v_dual_add_f32 v13, -0.5, v13 :: v_dual_mul_f32 v12, 0x7800000, v12
	s_delay_alu instid0(VALU_DEP_1) | instskip(NEXT) | instid1(VALU_DEP_1)
	v_cndmask_b32_e64 v1, v12, v13, s0
	v_and_or_b32 v12, 0x80000000, v0, v1
.LBB25_1719:                            ;   in Loop: Header=BB25_17 Depth=1
	s_or_b32 exec_lo, exec_lo, s39
	s_delay_alu instid0(SALU_CYCLE_1)
	s_or_b32 s39, s35, exec_lo
                                        ; implicit-def: $vgpr13
                                        ; implicit-def: $vgpr0_vgpr1
.LBB25_1720:                            ;   in Loop: Header=BB25_17 Depth=1
	s_or_saveexec_b32 s37, s37
                                        ; implicit-def: $sgpr40
                                        ; implicit-def: $sgpr0
	s_delay_alu instid0(SALU_CYCLE_1)
	s_xor_b32 exec_lo, exec_lo, s37
	s_cbranch_execz .LBB25_1730
; %bb.1721:                             ;   in Loop: Header=BB25_17 Depth=1
	s_mov_b32 s41, s39
	s_mov_b32 s43, exec_lo
                                        ; implicit-def: $sgpr42
                                        ; implicit-def: $sgpr40
                                        ; implicit-def: $vgpr12
	v_cmpx_lt_i16_e32 14, v13
	s_xor_b32 s43, exec_lo, s43
	s_cbranch_execz .LBB25_1725
; %bb.1722:                             ;   in Loop: Header=BB25_17 Depth=1
	s_mov_b32 s41, s39
	s_mov_b32 s40, exec_lo
                                        ; implicit-def: $vgpr12
	v_cmpx_eq_u16_e32 15, v13
	s_cbranch_execz .LBB25_1724
; %bb.1723:                             ;   in Loop: Header=BB25_17 Depth=1
	flat_load_u16 v0, v[0:1]
	s_or_b32 s41, s39, exec_lo
	s_waitcnt vmcnt(0) lgkmcnt(0)
	v_lshlrev_b32_e32 v12, 16, v0
.LBB25_1724:                            ;   in Loop: Header=BB25_17 Depth=1
	s_or_b32 exec_lo, exec_lo, s40
	s_delay_alu instid0(SALU_CYCLE_1)
	s_and_not1_b32 s0, s39, exec_lo
	s_and_b32 s41, s41, exec_lo
	s_mov_b32 s40, 0
	s_mov_b32 s42, -1
	s_or_b32 s41, s0, s41
                                        ; implicit-def: $vgpr13
                                        ; implicit-def: $vgpr0_vgpr1
.LBB25_1725:                            ;   in Loop: Header=BB25_17 Depth=1
	s_and_not1_saveexec_b32 s43, s43
	s_cbranch_execz .LBB25_1729
; %bb.1726:                             ;   in Loop: Header=BB25_17 Depth=1
	s_mov_b32 s44, s41
	s_mov_b32 s45, exec_lo
                                        ; implicit-def: $vgpr12
	v_cmpx_eq_u16_e32 11, v13
	s_cbranch_execz .LBB25_1728
; %bb.1727:                             ;   in Loop: Header=BB25_17 Depth=1
	flat_load_u8 v0, v[0:1]
	s_or_b32 s44, s41, exec_lo
	s_waitcnt vmcnt(0) lgkmcnt(0)
	v_cmp_ne_u16_e64 s0, 0, v0
	s_delay_alu instid0(VALU_DEP_1)
	v_cndmask_b32_e64 v12, 0, 1.0, s0
.LBB25_1728:                            ;   in Loop: Header=BB25_17 Depth=1
	s_or_b32 exec_lo, exec_lo, s45
	s_delay_alu instid0(SALU_CYCLE_1)
	s_and_not1_b32 s0, s41, exec_lo
	s_and_b32 s41, s44, exec_lo
	s_or_b32 s42, s42, exec_lo
	s_and_not1_b32 s40, s40, exec_lo
	s_or_b32 s41, s0, s41
.LBB25_1729:                            ;   in Loop: Header=BB25_17 Depth=1
	s_or_b32 exec_lo, exec_lo, s43
	s_delay_alu instid0(SALU_CYCLE_1)
	s_and_not1_b32 s39, s39, exec_lo
	s_and_b32 s41, s41, exec_lo
	s_and_b32 s0, s42, exec_lo
	;; [unrolled: 1-line block ×3, first 2 shown]
	s_or_b32 s39, s39, s41
.LBB25_1730:                            ;   in Loop: Header=BB25_17 Depth=1
	s_or_b32 exec_lo, exec_lo, s37
	s_delay_alu instid0(SALU_CYCLE_1)
	s_and_not1_b32 s34, s34, exec_lo
	s_and_b32 s0, s0, exec_lo
	s_and_not1_b32 s35, s35, exec_lo
	s_or_b32 s34, s34, s0
	s_and_not1_b32 s0, s36, exec_lo
	s_and_b32 s36, s40, exec_lo
	s_and_b32 s37, s39, exec_lo
	s_or_b32 s36, s0, s36
	s_or_b32 s35, s35, s37
.LBB25_1731:                            ;   in Loop: Header=BB25_17 Depth=1
	s_or_b32 exec_lo, exec_lo, s31
	s_delay_alu instid0(SALU_CYCLE_1)
	s_and_b32 s34, s34, exec_lo
	s_and_b32 s31, s36, exec_lo
	;; [unrolled: 1-line block ×3, first 2 shown]
                                        ; implicit-def: $vgpr13
                                        ; implicit-def: $vgpr0_vgpr1
	s_and_not1_saveexec_b32 s30, s30
	s_cbranch_execz .LBB25_1648
.LBB25_1732:                            ;   in Loop: Header=BB25_17 Depth=1
	s_mov_b32 s36, exec_lo
                                        ; implicit-def: $vgpr12
	v_cmpx_lt_i16_e32 4, v13
	s_xor_b32 s36, exec_lo, s36
	s_cbranch_execz .LBB25_1754
; %bb.1733:                             ;   in Loop: Header=BB25_17 Depth=1
	s_mov_b32 s37, exec_lo
                                        ; implicit-def: $vgpr12
	v_cmpx_lt_i16_e32 7, v13
	s_xor_b32 s37, exec_lo, s37
	s_cbranch_execz .LBB25_1743
; %bb.1734:                             ;   in Loop: Header=BB25_17 Depth=1
	;; [unrolled: 6-line block ×3, first 2 shown]
	v_cmp_lt_i16_e64 s0, 9, v13
                                        ; implicit-def: $vgpr12
	s_delay_alu instid0(VALU_DEP_1) | instskip(NEXT) | instid1(SALU_CYCLE_1)
	s_and_saveexec_b32 s40, s0
	s_xor_b32 s0, exec_lo, s40
	s_cbranch_execz .LBB25_1737
; %bb.1736:                             ;   in Loop: Header=BB25_17 Depth=1
	flat_load_b64 v[0:1], v[0:1]
	s_waitcnt vmcnt(0) lgkmcnt(0)
	v_cvt_f32_f64_e32 v12, v[0:1]
                                        ; implicit-def: $vgpr0_vgpr1
.LBB25_1737:                            ;   in Loop: Header=BB25_17 Depth=1
	s_and_not1_saveexec_b32 s0, s0
	s_cbranch_execz .LBB25_1739
; %bb.1738:                             ;   in Loop: Header=BB25_17 Depth=1
	flat_load_b32 v12, v[0:1]
.LBB25_1739:                            ;   in Loop: Header=BB25_17 Depth=1
	s_or_b32 exec_lo, exec_lo, s0
                                        ; implicit-def: $vgpr0_vgpr1
.LBB25_1740:                            ;   in Loop: Header=BB25_17 Depth=1
	s_and_not1_saveexec_b32 s0, s39
	s_cbranch_execz .LBB25_1742
; %bb.1741:                             ;   in Loop: Header=BB25_17 Depth=1
	flat_load_b32 v0, v[0:1]
	s_waitcnt vmcnt(0) lgkmcnt(0)
	v_cvt_f32_f16_e32 v12, v0
.LBB25_1742:                            ;   in Loop: Header=BB25_17 Depth=1
	s_or_b32 exec_lo, exec_lo, s0
                                        ; implicit-def: $vgpr0_vgpr1
                                        ; implicit-def: $vgpr13
.LBB25_1743:                            ;   in Loop: Header=BB25_17 Depth=1
	s_and_not1_saveexec_b32 s37, s37
	s_cbranch_execz .LBB25_1753
; %bb.1744:                             ;   in Loop: Header=BB25_17 Depth=1
	s_mov_b32 s39, exec_lo
                                        ; implicit-def: $vgpr12
	v_cmpx_lt_i16_e32 5, v13
	s_xor_b32 s39, exec_lo, s39
	s_cbranch_execz .LBB25_1750
; %bb.1745:                             ;   in Loop: Header=BB25_17 Depth=1
	v_cmp_lt_i16_e64 s0, 6, v13
                                        ; implicit-def: $vgpr12
	s_delay_alu instid0(VALU_DEP_1) | instskip(NEXT) | instid1(SALU_CYCLE_1)
	s_and_saveexec_b32 s40, s0
	s_xor_b32 s0, exec_lo, s40
	s_cbranch_execz .LBB25_1747
; %bb.1746:                             ;   in Loop: Header=BB25_17 Depth=1
	flat_load_b64 v[0:1], v[0:1]
	s_waitcnt vmcnt(0) lgkmcnt(0)
	v_cvt_f32_f64_e32 v12, v[0:1]
                                        ; implicit-def: $vgpr0_vgpr1
.LBB25_1747:                            ;   in Loop: Header=BB25_17 Depth=1
	s_and_not1_saveexec_b32 s0, s0
	s_cbranch_execz .LBB25_1749
; %bb.1748:                             ;   in Loop: Header=BB25_17 Depth=1
	s_waitcnt vmcnt(0) lgkmcnt(0)
	flat_load_b32 v12, v[0:1]
.LBB25_1749:                            ;   in Loop: Header=BB25_17 Depth=1
	s_or_b32 exec_lo, exec_lo, s0
                                        ; implicit-def: $vgpr0_vgpr1
.LBB25_1750:                            ;   in Loop: Header=BB25_17 Depth=1
	s_and_not1_saveexec_b32 s0, s39
	s_cbranch_execz .LBB25_1752
; %bb.1751:                             ;   in Loop: Header=BB25_17 Depth=1
	flat_load_u16 v0, v[0:1]
	s_waitcnt vmcnt(0) lgkmcnt(0)
	v_cvt_f32_f16_e32 v12, v0
.LBB25_1752:                            ;   in Loop: Header=BB25_17 Depth=1
	s_or_b32 exec_lo, exec_lo, s0
.LBB25_1753:                            ;   in Loop: Header=BB25_17 Depth=1
	s_delay_alu instid0(SALU_CYCLE_1)
	s_or_b32 exec_lo, exec_lo, s37
                                        ; implicit-def: $vgpr13
                                        ; implicit-def: $vgpr0_vgpr1
.LBB25_1754:                            ;   in Loop: Header=BB25_17 Depth=1
	s_and_not1_saveexec_b32 s36, s36
	s_cbranch_execz .LBB25_1772
; %bb.1755:                             ;   in Loop: Header=BB25_17 Depth=1
	s_mov_b32 s37, exec_lo
                                        ; implicit-def: $vgpr12
	v_cmpx_lt_i16_e32 1, v13
	s_xor_b32 s37, exec_lo, s37
	s_cbranch_execz .LBB25_1765
; %bb.1756:                             ;   in Loop: Header=BB25_17 Depth=1
	s_mov_b32 s39, exec_lo
                                        ; implicit-def: $vgpr12
	v_cmpx_lt_i16_e32 2, v13
	s_xor_b32 s39, exec_lo, s39
	s_cbranch_execz .LBB25_1762
; %bb.1757:                             ;   in Loop: Header=BB25_17 Depth=1
	v_cmp_lt_i16_e64 s0, 3, v13
                                        ; implicit-def: $vgpr12
	s_delay_alu instid0(VALU_DEP_1) | instskip(NEXT) | instid1(SALU_CYCLE_1)
	s_and_saveexec_b32 s40, s0
	s_xor_b32 s0, exec_lo, s40
	s_cbranch_execz .LBB25_1759
; %bb.1758:                             ;   in Loop: Header=BB25_17 Depth=1
	flat_load_b64 v[0:1], v[0:1]
	s_waitcnt vmcnt(0) lgkmcnt(0)
	v_xor_b32_e32 v12, v0, v1
	v_cls_i32_e32 v13, v1
	s_delay_alu instid0(VALU_DEP_2) | instskip(NEXT) | instid1(VALU_DEP_2)
	v_ashrrev_i32_e32 v12, 31, v12
	v_add_nc_u32_e32 v13, -1, v13
	s_delay_alu instid0(VALU_DEP_2) | instskip(NEXT) | instid1(VALU_DEP_1)
	v_add_nc_u32_e32 v12, 32, v12
	v_min_u32_e32 v12, v13, v12
	s_delay_alu instid0(VALU_DEP_1) | instskip(NEXT) | instid1(VALU_DEP_1)
	v_lshlrev_b64 v[0:1], v12, v[0:1]
	v_min_u32_e32 v0, 1, v0
	s_delay_alu instid0(VALU_DEP_1) | instskip(SKIP_1) | instid1(VALU_DEP_2)
	v_or_b32_e32 v0, v1, v0
	v_sub_nc_u32_e32 v1, 32, v12
	v_cvt_f32_i32_e32 v0, v0
	s_delay_alu instid0(VALU_DEP_1)
	v_ldexp_f32 v12, v0, v1
                                        ; implicit-def: $vgpr0_vgpr1
.LBB25_1759:                            ;   in Loop: Header=BB25_17 Depth=1
	s_and_not1_saveexec_b32 s0, s0
	s_cbranch_execz .LBB25_1761
; %bb.1760:                             ;   in Loop: Header=BB25_17 Depth=1
	flat_load_b32 v0, v[0:1]
	s_waitcnt vmcnt(0) lgkmcnt(0)
	v_cvt_f32_i32_e32 v12, v0
.LBB25_1761:                            ;   in Loop: Header=BB25_17 Depth=1
	s_or_b32 exec_lo, exec_lo, s0
                                        ; implicit-def: $vgpr0_vgpr1
.LBB25_1762:                            ;   in Loop: Header=BB25_17 Depth=1
	s_and_not1_saveexec_b32 s0, s39
	s_cbranch_execz .LBB25_1764
; %bb.1763:                             ;   in Loop: Header=BB25_17 Depth=1
	flat_load_i16 v0, v[0:1]
	s_waitcnt vmcnt(0) lgkmcnt(0)
	v_cvt_f32_i32_e32 v12, v0
.LBB25_1764:                            ;   in Loop: Header=BB25_17 Depth=1
	s_or_b32 exec_lo, exec_lo, s0
                                        ; implicit-def: $vgpr0_vgpr1
                                        ; implicit-def: $vgpr13
.LBB25_1765:                            ;   in Loop: Header=BB25_17 Depth=1
	s_and_not1_saveexec_b32 s37, s37
	s_cbranch_execz .LBB25_1771
; %bb.1766:                             ;   in Loop: Header=BB25_17 Depth=1
	v_cmp_lt_i16_e64 s0, 0, v13
                                        ; implicit-def: $vgpr12
	s_delay_alu instid0(VALU_DEP_1) | instskip(NEXT) | instid1(SALU_CYCLE_1)
	s_and_saveexec_b32 s39, s0
	s_xor_b32 s0, exec_lo, s39
	s_cbranch_execz .LBB25_1768
; %bb.1767:                             ;   in Loop: Header=BB25_17 Depth=1
	flat_load_i8 v0, v[0:1]
	s_waitcnt vmcnt(0) lgkmcnt(0)
	v_cvt_f32_i32_e32 v12, v0
                                        ; implicit-def: $vgpr0_vgpr1
.LBB25_1768:                            ;   in Loop: Header=BB25_17 Depth=1
	s_and_not1_saveexec_b32 s0, s0
	s_cbranch_execz .LBB25_1770
; %bb.1769:                             ;   in Loop: Header=BB25_17 Depth=1
	flat_load_u8 v0, v[0:1]
	s_waitcnt vmcnt(0) lgkmcnt(0)
	v_cvt_f32_ubyte0_e32 v12, v0
.LBB25_1770:                            ;   in Loop: Header=BB25_17 Depth=1
	s_or_b32 exec_lo, exec_lo, s0
.LBB25_1771:                            ;   in Loop: Header=BB25_17 Depth=1
	s_delay_alu instid0(SALU_CYCLE_1)
	s_or_b32 exec_lo, exec_lo, s37
.LBB25_1772:                            ;   in Loop: Header=BB25_17 Depth=1
	s_delay_alu instid0(SALU_CYCLE_1) | instskip(NEXT) | instid1(SALU_CYCLE_1)
	s_or_b32 exec_lo, exec_lo, s36
	s_and_not1_b32 s34, s34, exec_lo
	s_and_not1_b32 s31, s31, exec_lo
	s_or_b32 s35, s35, exec_lo
	s_or_b32 exec_lo, exec_lo, s30
	s_mov_b32 s0, 0
	s_and_saveexec_b32 s30, s35
	s_cbranch_execnz .LBB25_1649
	s_branch .LBB25_1650
.LBB25_1773:                            ;   in Loop: Header=BB25_17 Depth=1
	s_mov_b32 s29, exec_lo
                                        ; implicit-def: $sgpr36
                                        ; implicit-def: $vcc_hi
                                        ; implicit-def: $vgpr13
	v_cmpx_lt_i16_e32 25, v2
	s_xor_b32 s29, exec_lo, s29
	s_cbranch_execz .LBB25_1805
; %bb.1774:                             ;   in Loop: Header=BB25_17 Depth=1
	s_mov_b32 vcc_hi, exec_lo
                                        ; implicit-def: $sgpr36
                                        ; implicit-def: $sgpr37
                                        ; implicit-def: $vgpr13
	v_cmpx_lt_i16_e32 28, v2
	s_xor_b32 vcc_hi, exec_lo, vcc_hi
	s_cbranch_execz .LBB25_1790
; %bb.1775:                             ;   in Loop: Header=BB25_17 Depth=1
	s_mov_b32 s39, 0
	s_mov_b32 s35, exec_lo
                                        ; implicit-def: $sgpr36
                                        ; implicit-def: $sgpr37
                                        ; implicit-def: $vgpr13
	v_cmpx_lt_i16_e32 43, v2
	s_xor_b32 s35, exec_lo, s35
	s_cbranch_execz .LBB25_1785
; %bb.1776:                             ;   in Loop: Header=BB25_17 Depth=1
	s_mov_b32 s37, exec_lo
                                        ; implicit-def: $sgpr36
                                        ; implicit-def: $sgpr40
                                        ; implicit-def: $vgpr13
	v_cmpx_lt_i16_e32 45, v2
	s_xor_b32 s37, exec_lo, s37
	s_cbranch_execz .LBB25_1780
; %bb.1777:                             ;   in Loop: Header=BB25_17 Depth=1
	s_mov_b32 s36, 0
	s_mov_b32 s40, exec_lo
                                        ; implicit-def: $vgpr13
	v_cmpx_eq_u16_e32 46, v2
	s_cbranch_execz .LBB25_1779
; %bb.1778:                             ;   in Loop: Header=BB25_17 Depth=1
	flat_load_b32 v0, v[0:1]
	s_mov_b32 s39, exec_lo
	s_waitcnt vmcnt(0) lgkmcnt(0)
	v_lshlrev_b32_e32 v13, 16, v0
.LBB25_1779:                            ;   in Loop: Header=BB25_17 Depth=1
	s_or_b32 exec_lo, exec_lo, s40
	s_mov_b32 s40, -1
	s_and_b32 s39, s39, exec_lo
                                        ; implicit-def: $vgpr0_vgpr1
.LBB25_1780:                            ;   in Loop: Header=BB25_17 Depth=1
	s_and_not1_saveexec_b32 s37, s37
	s_cbranch_execz .LBB25_1784
; %bb.1781:                             ;   in Loop: Header=BB25_17 Depth=1
	s_mov_b32 s42, s39
	s_mov_b32 s41, exec_lo
                                        ; implicit-def: $vgpr13
	v_cmpx_eq_u16_e32 44, v2
	s_cbranch_execz .LBB25_1783
; %bb.1782:                             ;   in Loop: Header=BB25_17 Depth=1
	flat_load_u8 v0, v[0:1]
	s_or_b32 s42, s39, exec_lo
	s_waitcnt vmcnt(0) lgkmcnt(0)
	v_lshlrev_b32_e32 v1, 23, v0
	v_cmp_ne_u32_e64 s0, 0xff, v0
	s_delay_alu instid0(VALU_DEP_1) | instskip(SKIP_1) | instid1(VALU_DEP_1)
	v_cndmask_b32_e64 v1, 0x7f800001, v1, s0
	v_cmp_ne_u32_e64 s0, 0, v0
	v_cndmask_b32_e64 v13, 0x400000, v1, s0
.LBB25_1783:                            ;   in Loop: Header=BB25_17 Depth=1
	s_or_b32 exec_lo, exec_lo, s41
	s_delay_alu instid0(SALU_CYCLE_1)
	s_and_not1_b32 s0, s39, exec_lo
	s_and_b32 s39, s42, exec_lo
	s_and_not1_b32 s36, s36, exec_lo
	s_or_b32 s40, s40, exec_lo
	s_or_b32 s39, s0, s39
.LBB25_1784:                            ;   in Loop: Header=BB25_17 Depth=1
	s_or_b32 exec_lo, exec_lo, s37
	s_delay_alu instid0(SALU_CYCLE_1)
	s_and_b32 s37, s36, exec_lo
	s_and_b32 s36, s40, exec_lo
	;; [unrolled: 1-line block ×3, first 2 shown]
                                        ; implicit-def: $vgpr0_vgpr1
.LBB25_1785:                            ;   in Loop: Header=BB25_17 Depth=1
	s_and_not1_saveexec_b32 s35, s35
	s_cbranch_execz .LBB25_1789
; %bb.1786:                             ;   in Loop: Header=BB25_17 Depth=1
	s_mov_b32 s41, s39
	s_mov_b32 s40, exec_lo
                                        ; implicit-def: $vgpr13
	v_cmpx_eq_u16_e32 29, v2
	s_cbranch_execz .LBB25_1788
; %bb.1787:                             ;   in Loop: Header=BB25_17 Depth=1
	flat_load_b64 v[0:1], v[0:1]
	s_or_b32 s41, s39, exec_lo
	s_waitcnt vmcnt(0) lgkmcnt(0)
	v_clz_i32_u32_e32 v8, v1
	s_delay_alu instid0(VALU_DEP_1) | instskip(NEXT) | instid1(VALU_DEP_1)
	v_min_u32_e32 v8, 32, v8
	v_lshlrev_b64 v[0:1], v8, v[0:1]
	s_delay_alu instid0(VALU_DEP_1) | instskip(NEXT) | instid1(VALU_DEP_1)
	v_min_u32_e32 v0, 1, v0
	v_or_b32_e32 v0, v1, v0
	v_sub_nc_u32_e32 v1, 32, v8
	s_delay_alu instid0(VALU_DEP_2) | instskip(NEXT) | instid1(VALU_DEP_1)
	v_cvt_f32_u32_e32 v0, v0
	v_ldexp_f32 v13, v0, v1
.LBB25_1788:                            ;   in Loop: Header=BB25_17 Depth=1
	s_or_b32 exec_lo, exec_lo, s40
	s_delay_alu instid0(SALU_CYCLE_1)
	s_and_not1_b32 s0, s39, exec_lo
	s_and_b32 s39, s41, exec_lo
	s_and_not1_b32 s37, s37, exec_lo
	s_or_b32 s36, s36, exec_lo
	s_or_b32 s39, s0, s39
.LBB25_1789:                            ;   in Loop: Header=BB25_17 Depth=1
	s_or_b32 exec_lo, exec_lo, s35
	s_delay_alu instid0(SALU_CYCLE_1)
	s_and_b32 s37, s37, exec_lo
	s_and_b32 s36, s36, exec_lo
	;; [unrolled: 1-line block ×3, first 2 shown]
                                        ; implicit-def: $vgpr0_vgpr1
.LBB25_1790:                            ;   in Loop: Header=BB25_17 Depth=1
	s_and_not1_saveexec_b32 vcc_hi, vcc_hi
	s_cbranch_execz .LBB25_1804
; %bb.1791:                             ;   in Loop: Header=BB25_17 Depth=1
	s_mov_b32 s39, exec_lo
                                        ; implicit-def: $vgpr13
	v_cmpx_lt_i16_e32 26, v2
	s_xor_b32 s39, exec_lo, s39
	s_cbranch_execz .LBB25_1797
; %bb.1792:                             ;   in Loop: Header=BB25_17 Depth=1
	v_cmp_lt_i16_e64 s0, 27, v2
                                        ; implicit-def: $vgpr13
	s_delay_alu instid0(VALU_DEP_1) | instskip(NEXT) | instid1(SALU_CYCLE_1)
	s_and_saveexec_b32 s40, s0
	s_xor_b32 s0, exec_lo, s40
	s_cbranch_execz .LBB25_1794
; %bb.1793:                             ;   in Loop: Header=BB25_17 Depth=1
	flat_load_b32 v0, v[0:1]
	s_waitcnt vmcnt(0) lgkmcnt(0)
	v_cvt_f32_u32_e32 v13, v0
                                        ; implicit-def: $vgpr0_vgpr1
.LBB25_1794:                            ;   in Loop: Header=BB25_17 Depth=1
	s_and_not1_saveexec_b32 s0, s0
	s_cbranch_execz .LBB25_1796
; %bb.1795:                             ;   in Loop: Header=BB25_17 Depth=1
	flat_load_u16 v0, v[0:1]
	s_waitcnt vmcnt(0) lgkmcnt(0)
	v_cvt_f32_u32_e32 v13, v0
.LBB25_1796:                            ;   in Loop: Header=BB25_17 Depth=1
	s_or_b32 exec_lo, exec_lo, s0
                                        ; implicit-def: $vgpr0_vgpr1
.LBB25_1797:                            ;   in Loop: Header=BB25_17 Depth=1
	s_and_not1_saveexec_b32 s39, s39
	s_cbranch_execz .LBB25_1803
; %bb.1798:                             ;   in Loop: Header=BB25_17 Depth=1
	flat_load_u8 v0, v[0:1]
	s_mov_b32 s40, 0
	s_mov_b32 s42, exec_lo
                                        ; implicit-def: $sgpr41
	s_waitcnt vmcnt(0) lgkmcnt(0)
	v_cmpx_lt_i16_e32 0x7f, v0
	s_xor_b32 s42, exec_lo, s42
	s_cbranch_execnz .LBB25_2577
; %bb.1799:                             ;   in Loop: Header=BB25_17 Depth=1
	s_or_saveexec_b32 s42, s42
	v_mov_b32_e32 v13, s41
	s_xor_b32 exec_lo, exec_lo, s42
	s_cbranch_execnz .LBB25_2580
.LBB25_1800:                            ;   in Loop: Header=BB25_17 Depth=1
	s_or_b32 exec_lo, exec_lo, s42
	s_and_saveexec_b32 s41, s40
	s_cbranch_execz .LBB25_1802
.LBB25_1801:                            ;   in Loop: Header=BB25_17 Depth=1
	v_and_b32_e32 v1, 0xffff, v0
	v_lshlrev_b32_e32 v0, 24, v0
	s_delay_alu instid0(VALU_DEP_2) | instskip(NEXT) | instid1(VALU_DEP_2)
	v_and_b32_e32 v8, 7, v1
	v_and_b32_e32 v0, 0x80000000, v0
	s_delay_alu instid0(VALU_DEP_2) | instskip(NEXT) | instid1(VALU_DEP_1)
	v_clz_i32_u32_e32 v13, v8
	v_min_u32_e32 v13, 32, v13
	s_delay_alu instid0(VALU_DEP_1) | instskip(SKIP_1) | instid1(VALU_DEP_2)
	v_subrev_nc_u32_e32 v14, 28, v13
	v_sub_nc_u32_e32 v13, 29, v13
	v_lshlrev_b32_e32 v14, v14, v1
	v_bfe_u32 v1, v1, 3, 4
	s_delay_alu instid0(VALU_DEP_2) | instskip(NEXT) | instid1(VALU_DEP_2)
	v_and_b32_e32 v14, 7, v14
	v_cmp_eq_u32_e64 s0, 0, v1
	s_delay_alu instid0(VALU_DEP_1) | instskip(NEXT) | instid1(VALU_DEP_3)
	v_cndmask_b32_e64 v1, v1, v13, s0
	v_cndmask_b32_e64 v8, v8, v14, s0
	s_delay_alu instid0(VALU_DEP_2) | instskip(NEXT) | instid1(VALU_DEP_2)
	v_lshl_add_u32 v1, v1, 23, 0x3b800000
	v_lshlrev_b32_e32 v8, 20, v8
	s_delay_alu instid0(VALU_DEP_1)
	v_or3_b32 v13, v0, v1, v8
.LBB25_1802:                            ;   in Loop: Header=BB25_17 Depth=1
	s_or_b32 exec_lo, exec_lo, s41
.LBB25_1803:                            ;   in Loop: Header=BB25_17 Depth=1
	s_delay_alu instid0(SALU_CYCLE_1) | instskip(NEXT) | instid1(SALU_CYCLE_1)
	s_or_b32 exec_lo, exec_lo, s39
	s_and_not1_b32 s37, s37, exec_lo
	s_and_not1_b32 s36, s36, exec_lo
	s_or_b32 s35, s35, exec_lo
.LBB25_1804:                            ;   in Loop: Header=BB25_17 Depth=1
	s_or_b32 exec_lo, exec_lo, vcc_hi
	s_delay_alu instid0(SALU_CYCLE_1)
	s_and_b32 vcc_hi, s37, exec_lo
	s_and_b32 s36, s36, exec_lo
	s_and_b32 s35, s35, exec_lo
                                        ; implicit-def: $vgpr0_vgpr1
.LBB25_1805:                            ;   in Loop: Header=BB25_17 Depth=1
	s_and_not1_saveexec_b32 s29, s29
	s_cbranch_execz .LBB25_1831
; %bb.1806:                             ;   in Loop: Header=BB25_17 Depth=1
	s_mov_b32 s39, s35
	s_mov_b32 s37, exec_lo
                                        ; implicit-def: $vgpr13
	v_cmpx_lt_i16_e32 22, v2
	s_xor_b32 s37, exec_lo, s37
	s_cbranch_execz .LBB25_1820
; %bb.1807:                             ;   in Loop: Header=BB25_17 Depth=1
	s_mov_b32 s39, exec_lo
                                        ; implicit-def: $vgpr13
	v_cmpx_lt_i16_e32 23, v2
	s_xor_b32 s39, exec_lo, s39
	s_cbranch_execz .LBB25_1817
; %bb.1808:                             ;   in Loop: Header=BB25_17 Depth=1
	;; [unrolled: 6-line block ×3, first 2 shown]
	flat_load_u8 v0, v[0:1]
	s_mov_b32 s41, 0
	s_mov_b32 s43, exec_lo
                                        ; implicit-def: $sgpr42
	s_waitcnt vmcnt(0) lgkmcnt(0)
	v_cmpx_lt_i16_e32 0x7f, v0
	s_xor_b32 s43, exec_lo, s43
	s_cbranch_execnz .LBB25_2796
; %bb.1810:                             ;   in Loop: Header=BB25_17 Depth=1
	s_or_saveexec_b32 s43, s43
	v_mov_b32_e32 v13, s42
	s_xor_b32 exec_lo, exec_lo, s43
	s_cbranch_execnz .LBB25_2799
.LBB25_1811:                            ;   in Loop: Header=BB25_17 Depth=1
	s_or_b32 exec_lo, exec_lo, s43
	s_and_saveexec_b32 s42, s41
	s_cbranch_execz .LBB25_1813
.LBB25_1812:                            ;   in Loop: Header=BB25_17 Depth=1
	v_and_b32_e32 v1, 0xffff, v0
	v_lshlrev_b32_e32 v0, 24, v0
	s_delay_alu instid0(VALU_DEP_2) | instskip(NEXT) | instid1(VALU_DEP_2)
	v_and_b32_e32 v8, 3, v1
	v_and_b32_e32 v0, 0x80000000, v0
	s_delay_alu instid0(VALU_DEP_2) | instskip(NEXT) | instid1(VALU_DEP_1)
	v_clz_i32_u32_e32 v13, v8
	v_min_u32_e32 v13, 32, v13
	s_delay_alu instid0(VALU_DEP_1) | instskip(SKIP_1) | instid1(VALU_DEP_2)
	v_subrev_nc_u32_e32 v14, 29, v13
	v_sub_nc_u32_e32 v13, 30, v13
	v_lshlrev_b32_e32 v14, v14, v1
	v_bfe_u32 v1, v1, 2, 5
	s_delay_alu instid0(VALU_DEP_2) | instskip(NEXT) | instid1(VALU_DEP_2)
	v_and_b32_e32 v14, 3, v14
	v_cmp_eq_u32_e64 s0, 0, v1
	s_delay_alu instid0(VALU_DEP_1) | instskip(NEXT) | instid1(VALU_DEP_3)
	v_cndmask_b32_e64 v1, v1, v13, s0
	v_cndmask_b32_e64 v8, v8, v14, s0
	s_delay_alu instid0(VALU_DEP_2) | instskip(NEXT) | instid1(VALU_DEP_2)
	v_lshl_add_u32 v1, v1, 23, 0x37800000
	v_lshlrev_b32_e32 v8, 21, v8
	s_delay_alu instid0(VALU_DEP_1)
	v_or3_b32 v13, v0, v1, v8
.LBB25_1813:                            ;   in Loop: Header=BB25_17 Depth=1
	s_or_b32 exec_lo, exec_lo, s42
                                        ; implicit-def: $vgpr0_vgpr1
.LBB25_1814:                            ;   in Loop: Header=BB25_17 Depth=1
	s_and_not1_saveexec_b32 s40, s40
	s_cbranch_execz .LBB25_1816
; %bb.1815:                             ;   in Loop: Header=BB25_17 Depth=1
	flat_load_u8 v0, v[0:1]
	s_waitcnt vmcnt(0) lgkmcnt(0)
	v_lshlrev_b32_e32 v0, 24, v0
	s_delay_alu instid0(VALU_DEP_1) | instskip(NEXT) | instid1(VALU_DEP_1)
	v_and_b32_e32 v1, 0x7f000000, v0
	v_clz_i32_u32_e32 v8, v1
	v_add_nc_u32_e32 v14, 0x1000000, v1
	v_cmp_ne_u32_e64 s0, 0, v1
	s_delay_alu instid0(VALU_DEP_3) | instskip(NEXT) | instid1(VALU_DEP_1)
	v_min_u32_e32 v8, 32, v8
	v_sub_nc_u32_e64 v8, v8, 4 clamp
	s_delay_alu instid0(VALU_DEP_1) | instskip(SKIP_1) | instid1(VALU_DEP_2)
	v_lshlrev_b32_e32 v13, v8, v1
	v_lshlrev_b32_e32 v8, 23, v8
	v_lshrrev_b32_e32 v13, 4, v13
	s_delay_alu instid0(VALU_DEP_1) | instskip(SKIP_1) | instid1(VALU_DEP_2)
	v_sub_nc_u32_e32 v8, v13, v8
	v_ashrrev_i32_e32 v13, 8, v14
	v_add_nc_u32_e32 v8, 0x3c000000, v8
	s_delay_alu instid0(VALU_DEP_1) | instskip(NEXT) | instid1(VALU_DEP_1)
	v_and_or_b32 v8, 0x7f800000, v13, v8
	v_cndmask_b32_e64 v1, 0, v8, s0
	s_delay_alu instid0(VALU_DEP_1)
	v_and_or_b32 v13, 0x80000000, v0, v1
.LBB25_1816:                            ;   in Loop: Header=BB25_17 Depth=1
	s_or_b32 exec_lo, exec_lo, s40
                                        ; implicit-def: $vgpr0_vgpr1
.LBB25_1817:                            ;   in Loop: Header=BB25_17 Depth=1
	s_and_not1_saveexec_b32 s39, s39
	s_cbranch_execz .LBB25_1819
; %bb.1818:                             ;   in Loop: Header=BB25_17 Depth=1
	flat_load_u8 v0, v[0:1]
	s_waitcnt vmcnt(0) lgkmcnt(0)
	v_lshlrev_b32_e32 v1, 25, v0
	v_lshlrev_b16 v0, 8, v0
	s_delay_alu instid0(VALU_DEP_2) | instskip(NEXT) | instid1(VALU_DEP_2)
	v_lshrrev_b32_e32 v8, 4, v1
	v_and_or_b32 v13, 0x7f00, v0, 0.5
	v_cmp_gt_u32_e64 s0, 0x8000000, v1
	v_bfe_i32 v0, v0, 0, 16
	s_delay_alu instid0(VALU_DEP_4) | instskip(NEXT) | instid1(VALU_DEP_1)
	v_or_b32_e32 v8, 0x70000000, v8
	v_dual_add_f32 v13, -0.5, v13 :: v_dual_mul_f32 v8, 0x7800000, v8
	s_delay_alu instid0(VALU_DEP_1) | instskip(NEXT) | instid1(VALU_DEP_1)
	v_cndmask_b32_e64 v1, v8, v13, s0
	v_and_or_b32 v13, 0x80000000, v0, v1
.LBB25_1819:                            ;   in Loop: Header=BB25_17 Depth=1
	s_or_b32 exec_lo, exec_lo, s39
	s_delay_alu instid0(SALU_CYCLE_1)
	s_or_b32 s39, s35, exec_lo
                                        ; implicit-def: $vgpr0_vgpr1
.LBB25_1820:                            ;   in Loop: Header=BB25_17 Depth=1
	s_or_saveexec_b32 s37, s37
                                        ; implicit-def: $sgpr40
                                        ; implicit-def: $sgpr0
	s_delay_alu instid0(SALU_CYCLE_1)
	s_xor_b32 exec_lo, exec_lo, s37
	s_cbranch_execz .LBB25_1830
; %bb.1821:                             ;   in Loop: Header=BB25_17 Depth=1
	s_mov_b32 s41, s39
	s_mov_b32 s43, exec_lo
                                        ; implicit-def: $sgpr42
                                        ; implicit-def: $sgpr40
                                        ; implicit-def: $vgpr13
	v_cmpx_lt_i16_e32 14, v2
	s_xor_b32 s43, exec_lo, s43
	s_cbranch_execz .LBB25_1825
; %bb.1822:                             ;   in Loop: Header=BB25_17 Depth=1
	s_mov_b32 s41, s39
	s_mov_b32 s40, exec_lo
                                        ; implicit-def: $vgpr13
	v_cmpx_eq_u16_e32 15, v2
	s_cbranch_execz .LBB25_1824
; %bb.1823:                             ;   in Loop: Header=BB25_17 Depth=1
	flat_load_u16 v0, v[0:1]
	s_or_b32 s41, s39, exec_lo
	s_waitcnt vmcnt(0) lgkmcnt(0)
	v_lshlrev_b32_e32 v13, 16, v0
.LBB25_1824:                            ;   in Loop: Header=BB25_17 Depth=1
	s_or_b32 exec_lo, exec_lo, s40
	s_delay_alu instid0(SALU_CYCLE_1)
	s_and_not1_b32 s0, s39, exec_lo
	s_and_b32 s41, s41, exec_lo
	s_mov_b32 s40, -1
	s_mov_b32 s42, 0
	s_or_b32 s41, s0, s41
                                        ; implicit-def: $vgpr0_vgpr1
.LBB25_1825:                            ;   in Loop: Header=BB25_17 Depth=1
	s_and_not1_saveexec_b32 s43, s43
	s_cbranch_execz .LBB25_1829
; %bb.1826:                             ;   in Loop: Header=BB25_17 Depth=1
	s_mov_b32 s44, s41
	s_mov_b32 s45, exec_lo
                                        ; implicit-def: $vgpr13
	v_cmpx_eq_u16_e32 11, v2
	s_cbranch_execz .LBB25_1828
; %bb.1827:                             ;   in Loop: Header=BB25_17 Depth=1
	flat_load_u8 v0, v[0:1]
	s_or_b32 s44, s41, exec_lo
	s_waitcnt vmcnt(0) lgkmcnt(0)
	v_cmp_ne_u16_e64 s0, 0, v0
	s_delay_alu instid0(VALU_DEP_1)
	v_cndmask_b32_e64 v13, 0, 1.0, s0
.LBB25_1828:                            ;   in Loop: Header=BB25_17 Depth=1
	s_or_b32 exec_lo, exec_lo, s45
	s_delay_alu instid0(SALU_CYCLE_1)
	s_and_not1_b32 s0, s41, exec_lo
	s_and_b32 s41, s44, exec_lo
	s_and_not1_b32 s42, s42, exec_lo
	s_or_b32 s40, s40, exec_lo
	s_or_b32 s41, s0, s41
.LBB25_1829:                            ;   in Loop: Header=BB25_17 Depth=1
	s_or_b32 exec_lo, exec_lo, s43
	s_delay_alu instid0(SALU_CYCLE_1)
	s_and_not1_b32 s39, s39, exec_lo
	s_and_b32 s41, s41, exec_lo
	s_and_b32 s0, s42, exec_lo
	;; [unrolled: 1-line block ×3, first 2 shown]
	s_or_b32 s39, s39, s41
.LBB25_1830:                            ;   in Loop: Header=BB25_17 Depth=1
	s_or_b32 exec_lo, exec_lo, s37
	s_delay_alu instid0(SALU_CYCLE_1)
	s_and_not1_b32 vcc_hi, vcc_hi, exec_lo
	s_and_b32 s0, s0, exec_lo
	s_and_not1_b32 s35, s35, exec_lo
	s_or_b32 vcc_hi, vcc_hi, s0
	s_and_not1_b32 s0, s36, exec_lo
	s_and_b32 s36, s40, exec_lo
	s_and_b32 s37, s39, exec_lo
	s_or_b32 s36, s0, s36
	s_or_b32 s35, s35, s37
.LBB25_1831:                            ;   in Loop: Header=BB25_17 Depth=1
	s_or_b32 exec_lo, exec_lo, s29
	s_delay_alu instid0(SALU_CYCLE_1)
	s_and_b32 vcc_hi, vcc_hi, exec_lo
	s_and_b32 s29, s36, exec_lo
	s_and_b32 s35, s35, exec_lo
                                        ; implicit-def: $vgpr0_vgpr1
	s_and_not1_saveexec_b32 s34, s34
	s_cbranch_execz .LBB25_1656
.LBB25_1832:                            ;   in Loop: Header=BB25_17 Depth=1
	s_mov_b32 s36, exec_lo
                                        ; implicit-def: $vgpr13
	v_cmpx_lt_i16_e32 4, v2
	s_xor_b32 s36, exec_lo, s36
	s_cbranch_execz .LBB25_1854
; %bb.1833:                             ;   in Loop: Header=BB25_17 Depth=1
	s_mov_b32 s37, exec_lo
                                        ; implicit-def: $vgpr13
	v_cmpx_lt_i16_e32 7, v2
	s_xor_b32 s37, exec_lo, s37
	s_cbranch_execz .LBB25_1843
; %bb.1834:                             ;   in Loop: Header=BB25_17 Depth=1
	;; [unrolled: 6-line block ×3, first 2 shown]
	v_cmp_lt_i16_e64 s0, 9, v2
                                        ; implicit-def: $vgpr13
	s_delay_alu instid0(VALU_DEP_1) | instskip(NEXT) | instid1(SALU_CYCLE_1)
	s_and_saveexec_b32 s40, s0
	s_xor_b32 s0, exec_lo, s40
	s_cbranch_execz .LBB25_1837
; %bb.1836:                             ;   in Loop: Header=BB25_17 Depth=1
	flat_load_b64 v[0:1], v[0:1]
	s_waitcnt vmcnt(0) lgkmcnt(0)
	v_cvt_f32_f64_e32 v13, v[0:1]
                                        ; implicit-def: $vgpr0_vgpr1
.LBB25_1837:                            ;   in Loop: Header=BB25_17 Depth=1
	s_and_not1_saveexec_b32 s0, s0
	s_cbranch_execz .LBB25_1839
; %bb.1838:                             ;   in Loop: Header=BB25_17 Depth=1
	flat_load_b32 v13, v[0:1]
.LBB25_1839:                            ;   in Loop: Header=BB25_17 Depth=1
	s_or_b32 exec_lo, exec_lo, s0
                                        ; implicit-def: $vgpr0_vgpr1
.LBB25_1840:                            ;   in Loop: Header=BB25_17 Depth=1
	s_and_not1_saveexec_b32 s0, s39
	s_cbranch_execz .LBB25_1842
; %bb.1841:                             ;   in Loop: Header=BB25_17 Depth=1
	flat_load_b32 v0, v[0:1]
	s_waitcnt vmcnt(0) lgkmcnt(0)
	v_cvt_f32_f16_e32 v13, v0
.LBB25_1842:                            ;   in Loop: Header=BB25_17 Depth=1
	s_or_b32 exec_lo, exec_lo, s0
                                        ; implicit-def: $vgpr0_vgpr1
.LBB25_1843:                            ;   in Loop: Header=BB25_17 Depth=1
	s_and_not1_saveexec_b32 s37, s37
	s_cbranch_execz .LBB25_1853
; %bb.1844:                             ;   in Loop: Header=BB25_17 Depth=1
	s_mov_b32 s39, exec_lo
                                        ; implicit-def: $vgpr13
	v_cmpx_lt_i16_e32 5, v2
	s_xor_b32 s39, exec_lo, s39
	s_cbranch_execz .LBB25_1850
; %bb.1845:                             ;   in Loop: Header=BB25_17 Depth=1
	v_cmp_lt_i16_e64 s0, 6, v2
                                        ; implicit-def: $vgpr13
	s_delay_alu instid0(VALU_DEP_1) | instskip(NEXT) | instid1(SALU_CYCLE_1)
	s_and_saveexec_b32 s40, s0
	s_xor_b32 s0, exec_lo, s40
	s_cbranch_execz .LBB25_1847
; %bb.1846:                             ;   in Loop: Header=BB25_17 Depth=1
	flat_load_b64 v[0:1], v[0:1]
	s_waitcnt vmcnt(0) lgkmcnt(0)
	v_cvt_f32_f64_e32 v13, v[0:1]
                                        ; implicit-def: $vgpr0_vgpr1
.LBB25_1847:                            ;   in Loop: Header=BB25_17 Depth=1
	s_and_not1_saveexec_b32 s0, s0
	s_cbranch_execz .LBB25_1849
; %bb.1848:                             ;   in Loop: Header=BB25_17 Depth=1
	s_waitcnt vmcnt(0) lgkmcnt(0)
	flat_load_b32 v13, v[0:1]
.LBB25_1849:                            ;   in Loop: Header=BB25_17 Depth=1
	s_or_b32 exec_lo, exec_lo, s0
                                        ; implicit-def: $vgpr0_vgpr1
.LBB25_1850:                            ;   in Loop: Header=BB25_17 Depth=1
	s_and_not1_saveexec_b32 s0, s39
	s_cbranch_execz .LBB25_1852
; %bb.1851:                             ;   in Loop: Header=BB25_17 Depth=1
	flat_load_u16 v0, v[0:1]
	s_waitcnt vmcnt(0) lgkmcnt(0)
	v_cvt_f32_f16_e32 v13, v0
.LBB25_1852:                            ;   in Loop: Header=BB25_17 Depth=1
	s_or_b32 exec_lo, exec_lo, s0
.LBB25_1853:                            ;   in Loop: Header=BB25_17 Depth=1
	s_delay_alu instid0(SALU_CYCLE_1)
	s_or_b32 exec_lo, exec_lo, s37
                                        ; implicit-def: $vgpr0_vgpr1
.LBB25_1854:                            ;   in Loop: Header=BB25_17 Depth=1
	s_and_not1_saveexec_b32 s36, s36
	s_cbranch_execz .LBB25_1872
; %bb.1855:                             ;   in Loop: Header=BB25_17 Depth=1
	s_mov_b32 s37, exec_lo
                                        ; implicit-def: $vgpr13
	v_cmpx_lt_i16_e32 1, v2
	s_xor_b32 s37, exec_lo, s37
	s_cbranch_execz .LBB25_1865
; %bb.1856:                             ;   in Loop: Header=BB25_17 Depth=1
	s_mov_b32 s39, exec_lo
                                        ; implicit-def: $vgpr13
	v_cmpx_lt_i16_e32 2, v2
	s_xor_b32 s39, exec_lo, s39
	s_cbranch_execz .LBB25_1862
; %bb.1857:                             ;   in Loop: Header=BB25_17 Depth=1
	v_cmp_lt_i16_e64 s0, 3, v2
                                        ; implicit-def: $vgpr13
	s_delay_alu instid0(VALU_DEP_1) | instskip(NEXT) | instid1(SALU_CYCLE_1)
	s_and_saveexec_b32 s40, s0
	s_xor_b32 s0, exec_lo, s40
	s_cbranch_execz .LBB25_1859
; %bb.1858:                             ;   in Loop: Header=BB25_17 Depth=1
	flat_load_b64 v[0:1], v[0:1]
	s_waitcnt vmcnt(0) lgkmcnt(0)
	v_xor_b32_e32 v8, v0, v1
	v_cls_i32_e32 v13, v1
	s_delay_alu instid0(VALU_DEP_2) | instskip(NEXT) | instid1(VALU_DEP_2)
	v_ashrrev_i32_e32 v8, 31, v8
	v_add_nc_u32_e32 v13, -1, v13
	s_delay_alu instid0(VALU_DEP_2) | instskip(NEXT) | instid1(VALU_DEP_1)
	v_add_nc_u32_e32 v8, 32, v8
	v_min_u32_e32 v8, v13, v8
	s_delay_alu instid0(VALU_DEP_1) | instskip(NEXT) | instid1(VALU_DEP_1)
	v_lshlrev_b64 v[0:1], v8, v[0:1]
	v_min_u32_e32 v0, 1, v0
	s_delay_alu instid0(VALU_DEP_1) | instskip(SKIP_1) | instid1(VALU_DEP_2)
	v_or_b32_e32 v0, v1, v0
	v_sub_nc_u32_e32 v1, 32, v8
	v_cvt_f32_i32_e32 v0, v0
	s_delay_alu instid0(VALU_DEP_1)
	v_ldexp_f32 v13, v0, v1
                                        ; implicit-def: $vgpr0_vgpr1
.LBB25_1859:                            ;   in Loop: Header=BB25_17 Depth=1
	s_and_not1_saveexec_b32 s0, s0
	s_cbranch_execz .LBB25_1861
; %bb.1860:                             ;   in Loop: Header=BB25_17 Depth=1
	flat_load_b32 v0, v[0:1]
	s_waitcnt vmcnt(0) lgkmcnt(0)
	v_cvt_f32_i32_e32 v13, v0
.LBB25_1861:                            ;   in Loop: Header=BB25_17 Depth=1
	s_or_b32 exec_lo, exec_lo, s0
                                        ; implicit-def: $vgpr0_vgpr1
.LBB25_1862:                            ;   in Loop: Header=BB25_17 Depth=1
	s_and_not1_saveexec_b32 s0, s39
	s_cbranch_execz .LBB25_1864
; %bb.1863:                             ;   in Loop: Header=BB25_17 Depth=1
	flat_load_i16 v0, v[0:1]
	s_waitcnt vmcnt(0) lgkmcnt(0)
	v_cvt_f32_i32_e32 v13, v0
.LBB25_1864:                            ;   in Loop: Header=BB25_17 Depth=1
	s_or_b32 exec_lo, exec_lo, s0
                                        ; implicit-def: $vgpr0_vgpr1
.LBB25_1865:                            ;   in Loop: Header=BB25_17 Depth=1
	s_and_not1_saveexec_b32 s37, s37
	s_cbranch_execz .LBB25_1871
; %bb.1866:                             ;   in Loop: Header=BB25_17 Depth=1
	v_cmp_lt_i16_e64 s0, 0, v2
                                        ; implicit-def: $vgpr13
	s_delay_alu instid0(VALU_DEP_1) | instskip(NEXT) | instid1(SALU_CYCLE_1)
	s_and_saveexec_b32 s39, s0
	s_xor_b32 s0, exec_lo, s39
	s_cbranch_execz .LBB25_1868
; %bb.1867:                             ;   in Loop: Header=BB25_17 Depth=1
	flat_load_i8 v0, v[0:1]
	s_waitcnt vmcnt(0) lgkmcnt(0)
	v_cvt_f32_i32_e32 v13, v0
                                        ; implicit-def: $vgpr0_vgpr1
.LBB25_1868:                            ;   in Loop: Header=BB25_17 Depth=1
	s_and_not1_saveexec_b32 s0, s0
	s_cbranch_execz .LBB25_1870
; %bb.1869:                             ;   in Loop: Header=BB25_17 Depth=1
	flat_load_u8 v0, v[0:1]
	s_waitcnt vmcnt(0) lgkmcnt(0)
	v_cvt_f32_ubyte0_e32 v13, v0
.LBB25_1870:                            ;   in Loop: Header=BB25_17 Depth=1
	s_or_b32 exec_lo, exec_lo, s0
.LBB25_1871:                            ;   in Loop: Header=BB25_17 Depth=1
	s_delay_alu instid0(SALU_CYCLE_1)
	s_or_b32 exec_lo, exec_lo, s37
.LBB25_1872:                            ;   in Loop: Header=BB25_17 Depth=1
	s_delay_alu instid0(SALU_CYCLE_1) | instskip(NEXT) | instid1(SALU_CYCLE_1)
	s_or_b32 exec_lo, exec_lo, s36
	s_and_not1_b32 vcc_hi, vcc_hi, exec_lo
	s_and_not1_b32 s29, s29, exec_lo
	s_or_b32 s35, s35, exec_lo
	s_or_b32 exec_lo, exec_lo, s34
	s_mov_b32 s0, 0
	s_and_saveexec_b32 s34, s35
	s_cbranch_execz .LBB25_1878
.LBB25_1873:                            ;   in Loop: Header=BB25_17 Depth=1
	s_add_i32 s0, s33, 16
	s_mov_b32 s39, 0
	v_add_nc_u32_e64 v8, s1, s0
	s_mov_b32 s35, exec_lo
                                        ; implicit-def: $sgpr36
                                        ; implicit-def: $sgpr37
	s_delay_alu instid0(VALU_DEP_1) | instskip(SKIP_4) | instid1(VALU_DEP_2)
	v_add_nc_u32_e32 v0, 0x44, v8
	s_waitcnt vmcnt(0) lgkmcnt(0)
	scratch_store_b32 v0, v13, off
	v_mul_lo_u32 v0, v12, v11
	v_and_b32_e32 v13, 0xff, v9
                                        ; implicit-def: $vgpr12
	v_add_co_u32 v0, s0, v5, v0
	s_delay_alu instid0(VALU_DEP_1) | instskip(NEXT) | instid1(VALU_DEP_3)
	v_add_co_ci_u32_e64 v1, s0, 0, v6, s0
	v_cmpx_lt_i16_e32 10, v13
	s_xor_b32 s35, exec_lo, s35
	s_cbranch_execnz .LBB25_1900
; %bb.1874:                             ;   in Loop: Header=BB25_17 Depth=1
	s_and_not1_saveexec_b32 s35, s35
	s_cbranch_execnz .LBB25_1959
.LBB25_1875:                            ;   in Loop: Header=BB25_17 Depth=1
	s_or_b32 exec_lo, exec_lo, s35
	s_mov_b32 s0, 0
	s_and_saveexec_b32 s35, s39
	s_cbranch_execz .LBB25_1877
.LBB25_1876:                            ;   in Loop: Header=BB25_17 Depth=1
	v_add_nc_u32_e32 v0, 64, v8
	v_add_nc_u32_e32 v7, 0x200, v7
	s_mov_b32 s0, exec_lo
	s_and_not1_b32 s37, s37, exec_lo
	s_and_not1_b32 s36, s36, exec_lo
	s_waitcnt vmcnt(0) lgkmcnt(0)
	scratch_store_b32 v0, v12, off
.LBB25_1877:                            ;   in Loop: Header=BB25_17 Depth=1
	s_or_b32 exec_lo, exec_lo, s35
	s_delay_alu instid0(SALU_CYCLE_1)
	s_and_not1_b32 vcc_hi, vcc_hi, exec_lo
	s_and_b32 s35, s37, exec_lo
	s_and_not1_b32 s29, s29, exec_lo
	s_and_b32 s36, s36, exec_lo
	s_or_b32 vcc_hi, vcc_hi, s35
	s_or_b32 s29, s29, s36
	s_and_b32 s0, s0, exec_lo
.LBB25_1878:                            ;   in Loop: Header=BB25_17 Depth=1
	s_or_b32 exec_lo, exec_lo, s34
	s_delay_alu instid0(SALU_CYCLE_1)
	s_and_b32 vcc_hi, vcc_hi, exec_lo
	s_and_b32 s29, s29, exec_lo
	s_or_not1_b32 s34, s0, exec_lo
.LBB25_1879:                            ;   in Loop: Header=BB25_17 Depth=1
	s_or_b32 exec_lo, exec_lo, s30
	s_and_saveexec_b32 s30, s34
	s_cbranch_execz .LBB25_8
; %bb.1880:                             ;   in Loop: Header=BB25_17 Depth=1
	s_mov_b32 s36, -1
	s_mov_b32 s37, -1
	s_mov_b32 s35, exec_lo
                                        ; implicit-def: $sgpr31
                                        ; implicit-def: $sgpr34
	v_cmpx_lt_i32_e64 v7, v146
	s_cbranch_execz .LBB25_2106
; %bb.1881:                             ;   in Loop: Header=BB25_17 Depth=1
	s_waitcnt vmcnt(0) lgkmcnt(0)
	v_add_nc_u32_e32 v12, s38, v7
	s_mov_b32 s39, 0
	s_mov_b32 s37, exec_lo
                                        ; implicit-def: $sgpr31
                                        ; implicit-def: $sgpr34
                                        ; implicit-def: $vgpr13
	s_delay_alu instid0(VALU_DEP_1) | instskip(NEXT) | instid1(VALU_DEP_1)
	v_mul_lo_u32 v0, v12, v10
	v_add_co_u32 v0, s0, v3, v0
	s_delay_alu instid0(VALU_DEP_1)
	v_add_co_ci_u32_e64 v1, s0, 0, v4, s0
	v_cmpx_lt_i16_e32 10, v2
	s_xor_b32 s37, exec_lo, s37
	s_cbranch_execnz .LBB25_2000
; %bb.1882:                             ;   in Loop: Header=BB25_17 Depth=1
	s_and_not1_saveexec_b32 s37, s37
	s_cbranch_execnz .LBB25_2059
.LBB25_1883:                            ;   in Loop: Header=BB25_17 Depth=1
	s_or_b32 exec_lo, exec_lo, s37
	s_mov_b32 s0, 0
	s_and_saveexec_b32 s37, s39
	s_cbranch_execnz .LBB25_2100
	s_branch .LBB25_2105
.LBB25_1884:                            ;   in Loop: Header=BB25_17 Depth=1
	s_mov_b32 s27, -1
	s_mov_b32 vcc_hi, exec_lo
                                        ; implicit-def: $sgpr28
	v_cmpx_eq_u16_e32 0x80, v0
; %bb.1885:                             ;   in Loop: Header=BB25_17 Depth=1
	s_mov_b32 s28, 0x7f800001
	s_xor_b32 s27, exec_lo, -1
; %bb.1886:                             ;   in Loop: Header=BB25_17 Depth=1
	s_or_b32 exec_lo, exec_lo, vcc_hi
	s_delay_alu instid0(SALU_CYCLE_1)
	s_and_b32 s27, s27, exec_lo
	s_or_saveexec_b32 s29, s29
	v_mov_b32_e32 v12, s28
	s_xor_b32 exec_lo, exec_lo, s29
	s_cbranch_execz .LBB25_807
.LBB25_1887:                            ;   in Loop: Header=BB25_17 Depth=1
	v_cmp_ne_u16_e64 s0, 0, v0
	v_mov_b32_e32 v12, 0
	s_and_not1_b32 s27, s27, exec_lo
	s_delay_alu instid0(VALU_DEP_2) | instskip(NEXT) | instid1(SALU_CYCLE_1)
	s_and_b32 s0, s0, exec_lo
	s_or_b32 s27, s27, s0
	s_or_b32 exec_lo, exec_lo, s29
	s_and_saveexec_b32 s28, s27
	s_cbranch_execnz .LBB25_808
	s_branch .LBB25_809
.LBB25_1888:                            ;   in Loop: Header=BB25_17 Depth=1
	s_mov_b32 s27, -1
	s_mov_b32 vcc_hi, exec_lo
                                        ; implicit-def: $sgpr28
	v_cmpx_eq_u16_e32 0x80, v0
; %bb.1889:                             ;   in Loop: Header=BB25_17 Depth=1
	s_mov_b32 s28, 0x7f800001
	s_xor_b32 s27, exec_lo, -1
; %bb.1890:                             ;   in Loop: Header=BB25_17 Depth=1
	s_or_b32 exec_lo, exec_lo, vcc_hi
	s_delay_alu instid0(SALU_CYCLE_1)
	s_and_b32 s27, s27, exec_lo
	s_or_saveexec_b32 s29, s29
	v_mov_b32_e32 v13, s28
	s_xor_b32 exec_lo, exec_lo, s29
	s_cbranch_execz .LBB25_907
.LBB25_1891:                            ;   in Loop: Header=BB25_17 Depth=1
	v_cmp_ne_u16_e64 s0, 0, v0
	v_mov_b32_e32 v13, 0
	s_and_not1_b32 s27, s27, exec_lo
	s_delay_alu instid0(VALU_DEP_2) | instskip(NEXT) | instid1(SALU_CYCLE_1)
	s_and_b32 s0, s0, exec_lo
	s_or_b32 s27, s27, s0
	s_or_b32 exec_lo, exec_lo, s29
	s_and_saveexec_b32 s28, s27
	s_cbranch_execnz .LBB25_908
	s_branch .LBB25_909
.LBB25_1892:                            ;   in Loop: Header=BB25_17 Depth=1
	s_mov_b32 s29, -1
	s_mov_b32 s31, exec_lo
                                        ; implicit-def: $sgpr30
	v_cmpx_eq_u16_e32 0x80, v0
; %bb.1893:                             ;   in Loop: Header=BB25_17 Depth=1
	s_mov_b32 s30, 0x7f800001
	s_xor_b32 s29, exec_lo, -1
; %bb.1894:                             ;   in Loop: Header=BB25_17 Depth=1
	s_or_b32 exec_lo, exec_lo, s31
	s_delay_alu instid0(SALU_CYCLE_1)
	s_and_b32 s29, s29, exec_lo
	s_or_saveexec_b32 vcc_hi, vcc_hi
	v_mov_b32_e32 v12, s30
	s_xor_b32 exec_lo, exec_lo, vcc_hi
	s_cbranch_execz .LBB25_1019
.LBB25_1895:                            ;   in Loop: Header=BB25_17 Depth=1
	v_cmp_ne_u16_e64 s0, 0, v0
	v_mov_b32_e32 v12, 0
	s_and_not1_b32 s29, s29, exec_lo
	s_delay_alu instid0(VALU_DEP_2) | instskip(NEXT) | instid1(SALU_CYCLE_1)
	s_and_b32 s0, s0, exec_lo
	s_or_b32 s29, s29, s0
	s_or_b32 exec_lo, exec_lo, vcc_hi
	s_and_saveexec_b32 vcc_hi, s29
	s_cbranch_execnz .LBB25_1020
	s_branch .LBB25_1021
.LBB25_1896:                            ;   in Loop: Header=BB25_17 Depth=1
	s_mov_b32 s29, -1
	s_mov_b32 s31, exec_lo
                                        ; implicit-def: $sgpr30
	v_cmpx_eq_u16_e32 0x80, v0
; %bb.1897:                             ;   in Loop: Header=BB25_17 Depth=1
	s_mov_b32 s30, 0x7f800001
	s_xor_b32 s29, exec_lo, -1
; %bb.1898:                             ;   in Loop: Header=BB25_17 Depth=1
	s_or_b32 exec_lo, exec_lo, s31
	s_delay_alu instid0(SALU_CYCLE_1)
	s_and_b32 s29, s29, exec_lo
	s_or_saveexec_b32 vcc_hi, vcc_hi
	v_mov_b32_e32 v13, s30
	s_xor_b32 exec_lo, exec_lo, vcc_hi
	s_cbranch_execz .LBB25_1119
.LBB25_1899:                            ;   in Loop: Header=BB25_17 Depth=1
	v_cmp_ne_u16_e64 s0, 0, v0
	v_mov_b32_e32 v13, 0
	s_and_not1_b32 s29, s29, exec_lo
	s_delay_alu instid0(VALU_DEP_2) | instskip(NEXT) | instid1(SALU_CYCLE_1)
	s_and_b32 s0, s0, exec_lo
	s_or_b32 s29, s29, s0
	s_or_b32 exec_lo, exec_lo, vcc_hi
	s_and_saveexec_b32 vcc_hi, s29
	s_cbranch_execnz .LBB25_1120
	s_branch .LBB25_1121
.LBB25_1900:                            ;   in Loop: Header=BB25_17 Depth=1
	s_mov_b32 s36, exec_lo
                                        ; implicit-def: $sgpr40
                                        ; implicit-def: $sgpr37
                                        ; implicit-def: $vgpr12
	v_cmpx_lt_i16_e32 25, v13
	s_xor_b32 s36, exec_lo, s36
	s_cbranch_execz .LBB25_1932
; %bb.1901:                             ;   in Loop: Header=BB25_17 Depth=1
	s_mov_b32 s37, exec_lo
                                        ; implicit-def: $sgpr40
                                        ; implicit-def: $sgpr41
                                        ; implicit-def: $vgpr12
	v_cmpx_lt_i16_e32 28, v13
	s_xor_b32 s37, exec_lo, s37
	s_cbranch_execz .LBB25_1917
; %bb.1902:                             ;   in Loop: Header=BB25_17 Depth=1
	s_mov_b32 s42, 0
	s_mov_b32 s39, exec_lo
                                        ; implicit-def: $sgpr40
                                        ; implicit-def: $sgpr41
                                        ; implicit-def: $vgpr12
	v_cmpx_lt_i16_e32 43, v13
	s_xor_b32 s39, exec_lo, s39
	s_cbranch_execz .LBB25_1912
; %bb.1903:                             ;   in Loop: Header=BB25_17 Depth=1
	s_mov_b32 s43, exec_lo
                                        ; implicit-def: $sgpr41
                                        ; implicit-def: $sgpr40
                                        ; implicit-def: $vgpr12
	v_cmpx_lt_i16_e32 45, v13
	s_xor_b32 s43, exec_lo, s43
	s_cbranch_execz .LBB25_1907
; %bb.1904:                             ;   in Loop: Header=BB25_17 Depth=1
	s_mov_b32 s40, 0
	s_mov_b32 s41, exec_lo
                                        ; implicit-def: $vgpr12
	v_cmpx_eq_u16_e32 46, v13
	s_cbranch_execz .LBB25_1906
; %bb.1905:                             ;   in Loop: Header=BB25_17 Depth=1
	flat_load_b32 v0, v[0:1]
	s_mov_b32 s42, exec_lo
	s_waitcnt vmcnt(0) lgkmcnt(0)
	v_lshlrev_b32_e32 v12, 16, v0
.LBB25_1906:                            ;   in Loop: Header=BB25_17 Depth=1
	s_or_b32 exec_lo, exec_lo, s41
	s_mov_b32 s41, -1
	s_and_b32 s42, s42, exec_lo
                                        ; implicit-def: $vgpr13
                                        ; implicit-def: $vgpr0_vgpr1
.LBB25_1907:                            ;   in Loop: Header=BB25_17 Depth=1
	s_and_not1_saveexec_b32 s43, s43
	s_cbranch_execz .LBB25_1911
; %bb.1908:                             ;   in Loop: Header=BB25_17 Depth=1
	s_mov_b32 s45, s42
	s_mov_b32 s44, exec_lo
                                        ; implicit-def: $vgpr12
	v_cmpx_eq_u16_e32 44, v13
	s_cbranch_execz .LBB25_1910
; %bb.1909:                             ;   in Loop: Header=BB25_17 Depth=1
	flat_load_u8 v0, v[0:1]
	s_or_b32 s45, s42, exec_lo
	s_waitcnt vmcnt(0) lgkmcnt(0)
	v_lshlrev_b32_e32 v1, 23, v0
	v_cmp_ne_u32_e64 s0, 0xff, v0
	s_delay_alu instid0(VALU_DEP_1) | instskip(SKIP_1) | instid1(VALU_DEP_1)
	v_cndmask_b32_e64 v1, 0x7f800001, v1, s0
	v_cmp_ne_u32_e64 s0, 0, v0
	v_cndmask_b32_e64 v12, 0x400000, v1, s0
.LBB25_1910:                            ;   in Loop: Header=BB25_17 Depth=1
	s_or_b32 exec_lo, exec_lo, s44
	s_delay_alu instid0(SALU_CYCLE_1)
	s_and_not1_b32 s0, s42, exec_lo
	s_and_b32 s42, s45, exec_lo
	s_or_b32 s41, s41, exec_lo
	s_and_not1_b32 s40, s40, exec_lo
	s_or_b32 s42, s0, s42
.LBB25_1911:                            ;   in Loop: Header=BB25_17 Depth=1
	s_or_b32 exec_lo, exec_lo, s43
	s_delay_alu instid0(SALU_CYCLE_1)
	s_and_b32 s41, s41, exec_lo
	s_and_b32 s40, s40, exec_lo
	;; [unrolled: 1-line block ×3, first 2 shown]
                                        ; implicit-def: $vgpr13
                                        ; implicit-def: $vgpr0_vgpr1
.LBB25_1912:                            ;   in Loop: Header=BB25_17 Depth=1
	s_and_not1_saveexec_b32 s39, s39
	s_cbranch_execz .LBB25_1916
; %bb.1913:                             ;   in Loop: Header=BB25_17 Depth=1
	s_mov_b32 s44, s42
	s_mov_b32 s43, exec_lo
                                        ; implicit-def: $vgpr12
	v_cmpx_eq_u16_e32 29, v13
	s_cbranch_execz .LBB25_1915
; %bb.1914:                             ;   in Loop: Header=BB25_17 Depth=1
	flat_load_b64 v[0:1], v[0:1]
	s_or_b32 s44, s42, exec_lo
	s_waitcnt vmcnt(0) lgkmcnt(0)
	v_clz_i32_u32_e32 v12, v1
	s_delay_alu instid0(VALU_DEP_1) | instskip(NEXT) | instid1(VALU_DEP_1)
	v_min_u32_e32 v12, 32, v12
	v_lshlrev_b64 v[0:1], v12, v[0:1]
	s_delay_alu instid0(VALU_DEP_1) | instskip(NEXT) | instid1(VALU_DEP_1)
	v_min_u32_e32 v0, 1, v0
	v_or_b32_e32 v0, v1, v0
	v_sub_nc_u32_e32 v1, 32, v12
	s_delay_alu instid0(VALU_DEP_2) | instskip(NEXT) | instid1(VALU_DEP_1)
	v_cvt_f32_u32_e32 v0, v0
	v_ldexp_f32 v12, v0, v1
.LBB25_1915:                            ;   in Loop: Header=BB25_17 Depth=1
	s_or_b32 exec_lo, exec_lo, s43
	s_delay_alu instid0(SALU_CYCLE_1)
	s_and_not1_b32 s0, s42, exec_lo
	s_and_b32 s42, s44, exec_lo
	s_or_b32 s41, s41, exec_lo
	s_and_not1_b32 s40, s40, exec_lo
	s_or_b32 s42, s0, s42
.LBB25_1916:                            ;   in Loop: Header=BB25_17 Depth=1
	s_or_b32 exec_lo, exec_lo, s39
	s_delay_alu instid0(SALU_CYCLE_1)
	s_and_b32 s41, s41, exec_lo
	s_and_b32 s40, s40, exec_lo
	;; [unrolled: 1-line block ×3, first 2 shown]
                                        ; implicit-def: $vgpr13
                                        ; implicit-def: $vgpr0_vgpr1
.LBB25_1917:                            ;   in Loop: Header=BB25_17 Depth=1
	s_and_not1_saveexec_b32 s37, s37
	s_cbranch_execz .LBB25_1931
; %bb.1918:                             ;   in Loop: Header=BB25_17 Depth=1
	s_mov_b32 s42, exec_lo
                                        ; implicit-def: $vgpr12
	v_cmpx_lt_i16_e32 26, v13
	s_xor_b32 s42, exec_lo, s42
	s_cbranch_execz .LBB25_1924
; %bb.1919:                             ;   in Loop: Header=BB25_17 Depth=1
	v_cmp_lt_i16_e64 s0, 27, v13
                                        ; implicit-def: $vgpr12
	s_delay_alu instid0(VALU_DEP_1) | instskip(NEXT) | instid1(SALU_CYCLE_1)
	s_and_saveexec_b32 s43, s0
	s_xor_b32 s0, exec_lo, s43
	s_cbranch_execz .LBB25_1921
; %bb.1920:                             ;   in Loop: Header=BB25_17 Depth=1
	flat_load_b32 v0, v[0:1]
	s_waitcnt vmcnt(0) lgkmcnt(0)
	v_cvt_f32_u32_e32 v12, v0
                                        ; implicit-def: $vgpr0_vgpr1
.LBB25_1921:                            ;   in Loop: Header=BB25_17 Depth=1
	s_and_not1_saveexec_b32 s0, s0
	s_cbranch_execz .LBB25_1923
; %bb.1922:                             ;   in Loop: Header=BB25_17 Depth=1
	flat_load_u16 v0, v[0:1]
	s_waitcnt vmcnt(0) lgkmcnt(0)
	v_cvt_f32_u32_e32 v12, v0
.LBB25_1923:                            ;   in Loop: Header=BB25_17 Depth=1
	s_or_b32 exec_lo, exec_lo, s0
                                        ; implicit-def: $vgpr0_vgpr1
.LBB25_1924:                            ;   in Loop: Header=BB25_17 Depth=1
	s_and_not1_saveexec_b32 s42, s42
	s_cbranch_execz .LBB25_1930
; %bb.1925:                             ;   in Loop: Header=BB25_17 Depth=1
	flat_load_u8 v0, v[0:1]
	s_mov_b32 s43, 0
	s_mov_b32 s45, exec_lo
                                        ; implicit-def: $sgpr44
	s_waitcnt vmcnt(0) lgkmcnt(0)
	v_cmpx_lt_i16_e32 0x7f, v0
	s_xor_b32 s45, exec_lo, s45
	s_cbranch_execnz .LBB25_2800
; %bb.1926:                             ;   in Loop: Header=BB25_17 Depth=1
	s_or_saveexec_b32 s45, s45
	v_mov_b32_e32 v12, s44
	s_xor_b32 exec_lo, exec_lo, s45
	s_cbranch_execnz .LBB25_2803
.LBB25_1927:                            ;   in Loop: Header=BB25_17 Depth=1
	s_or_b32 exec_lo, exec_lo, s45
	s_and_saveexec_b32 s44, s43
	s_cbranch_execz .LBB25_1929
.LBB25_1928:                            ;   in Loop: Header=BB25_17 Depth=1
	v_and_b32_e32 v1, 0xffff, v0
	v_lshlrev_b32_e32 v0, 24, v0
	s_delay_alu instid0(VALU_DEP_2) | instskip(NEXT) | instid1(VALU_DEP_2)
	v_and_b32_e32 v12, 7, v1
	v_and_b32_e32 v0, 0x80000000, v0
	s_delay_alu instid0(VALU_DEP_2) | instskip(NEXT) | instid1(VALU_DEP_1)
	v_clz_i32_u32_e32 v13, v12
	v_min_u32_e32 v13, 32, v13
	s_delay_alu instid0(VALU_DEP_1) | instskip(SKIP_1) | instid1(VALU_DEP_2)
	v_subrev_nc_u32_e32 v14, 28, v13
	v_sub_nc_u32_e32 v13, 29, v13
	v_lshlrev_b32_e32 v14, v14, v1
	v_bfe_u32 v1, v1, 3, 4
	s_delay_alu instid0(VALU_DEP_2) | instskip(NEXT) | instid1(VALU_DEP_2)
	v_and_b32_e32 v14, 7, v14
	v_cmp_eq_u32_e64 s0, 0, v1
	s_delay_alu instid0(VALU_DEP_1) | instskip(NEXT) | instid1(VALU_DEP_3)
	v_cndmask_b32_e64 v1, v1, v13, s0
	v_cndmask_b32_e64 v12, v12, v14, s0
	s_delay_alu instid0(VALU_DEP_2) | instskip(NEXT) | instid1(VALU_DEP_2)
	v_lshl_add_u32 v1, v1, 23, 0x3b800000
	v_lshlrev_b32_e32 v12, 20, v12
	s_delay_alu instid0(VALU_DEP_1)
	v_or3_b32 v12, v0, v1, v12
.LBB25_1929:                            ;   in Loop: Header=BB25_17 Depth=1
	s_or_b32 exec_lo, exec_lo, s44
.LBB25_1930:                            ;   in Loop: Header=BB25_17 Depth=1
	s_delay_alu instid0(SALU_CYCLE_1) | instskip(NEXT) | instid1(SALU_CYCLE_1)
	s_or_b32 exec_lo, exec_lo, s42
	s_and_not1_b32 s41, s41, exec_lo
	s_and_not1_b32 s40, s40, exec_lo
	s_or_b32 s39, s39, exec_lo
.LBB25_1931:                            ;   in Loop: Header=BB25_17 Depth=1
	s_or_b32 exec_lo, exec_lo, s37
	s_delay_alu instid0(SALU_CYCLE_1)
	s_and_b32 s37, s41, exec_lo
	s_and_b32 s40, s40, exec_lo
	;; [unrolled: 1-line block ×3, first 2 shown]
                                        ; implicit-def: $vgpr13
                                        ; implicit-def: $vgpr0_vgpr1
.LBB25_1932:                            ;   in Loop: Header=BB25_17 Depth=1
	s_and_not1_saveexec_b32 s36, s36
	s_cbranch_execz .LBB25_1958
; %bb.1933:                             ;   in Loop: Header=BB25_17 Depth=1
	s_mov_b32 s42, s39
	s_mov_b32 s41, exec_lo
                                        ; implicit-def: $vgpr12
	v_cmpx_lt_i16_e32 22, v13
	s_xor_b32 s41, exec_lo, s41
	s_cbranch_execz .LBB25_1947
; %bb.1934:                             ;   in Loop: Header=BB25_17 Depth=1
	s_mov_b32 s42, exec_lo
                                        ; implicit-def: $vgpr12
	v_cmpx_lt_i16_e32 23, v13
	s_xor_b32 s42, exec_lo, s42
	s_cbranch_execz .LBB25_1944
; %bb.1935:                             ;   in Loop: Header=BB25_17 Depth=1
	;; [unrolled: 6-line block ×3, first 2 shown]
	flat_load_u8 v0, v[0:1]
	s_mov_b32 s44, 0
	s_mov_b32 s46, exec_lo
                                        ; implicit-def: $sgpr45
	s_waitcnt vmcnt(0) lgkmcnt(0)
	v_cmpx_lt_i16_e32 0x7f, v0
	s_xor_b32 s46, exec_lo, s46
	s_cbranch_execnz .LBB25_3019
; %bb.1937:                             ;   in Loop: Header=BB25_17 Depth=1
	s_or_saveexec_b32 s46, s46
	v_mov_b32_e32 v12, s45
	s_xor_b32 exec_lo, exec_lo, s46
	s_cbranch_execnz .LBB25_3022
.LBB25_1938:                            ;   in Loop: Header=BB25_17 Depth=1
	s_or_b32 exec_lo, exec_lo, s46
	s_and_saveexec_b32 s45, s44
	s_cbranch_execz .LBB25_1940
.LBB25_1939:                            ;   in Loop: Header=BB25_17 Depth=1
	v_and_b32_e32 v1, 0xffff, v0
	v_lshlrev_b32_e32 v0, 24, v0
	s_delay_alu instid0(VALU_DEP_2) | instskip(NEXT) | instid1(VALU_DEP_2)
	v_and_b32_e32 v12, 3, v1
	v_and_b32_e32 v0, 0x80000000, v0
	s_delay_alu instid0(VALU_DEP_2) | instskip(NEXT) | instid1(VALU_DEP_1)
	v_clz_i32_u32_e32 v13, v12
	v_min_u32_e32 v13, 32, v13
	s_delay_alu instid0(VALU_DEP_1) | instskip(SKIP_1) | instid1(VALU_DEP_2)
	v_subrev_nc_u32_e32 v14, 29, v13
	v_sub_nc_u32_e32 v13, 30, v13
	v_lshlrev_b32_e32 v14, v14, v1
	v_bfe_u32 v1, v1, 2, 5
	s_delay_alu instid0(VALU_DEP_2) | instskip(NEXT) | instid1(VALU_DEP_2)
	v_and_b32_e32 v14, 3, v14
	v_cmp_eq_u32_e64 s0, 0, v1
	s_delay_alu instid0(VALU_DEP_1) | instskip(NEXT) | instid1(VALU_DEP_3)
	v_cndmask_b32_e64 v1, v1, v13, s0
	v_cndmask_b32_e64 v12, v12, v14, s0
	s_delay_alu instid0(VALU_DEP_2) | instskip(NEXT) | instid1(VALU_DEP_2)
	v_lshl_add_u32 v1, v1, 23, 0x37800000
	v_lshlrev_b32_e32 v12, 21, v12
	s_delay_alu instid0(VALU_DEP_1)
	v_or3_b32 v12, v0, v1, v12
.LBB25_1940:                            ;   in Loop: Header=BB25_17 Depth=1
	s_or_b32 exec_lo, exec_lo, s45
                                        ; implicit-def: $vgpr0_vgpr1
.LBB25_1941:                            ;   in Loop: Header=BB25_17 Depth=1
	s_and_not1_saveexec_b32 s43, s43
	s_cbranch_execz .LBB25_1943
; %bb.1942:                             ;   in Loop: Header=BB25_17 Depth=1
	flat_load_u8 v0, v[0:1]
	s_waitcnt vmcnt(0) lgkmcnt(0)
	v_lshlrev_b32_e32 v0, 24, v0
	s_delay_alu instid0(VALU_DEP_1) | instskip(NEXT) | instid1(VALU_DEP_1)
	v_and_b32_e32 v1, 0x7f000000, v0
	v_clz_i32_u32_e32 v12, v1
	v_add_nc_u32_e32 v14, 0x1000000, v1
	v_cmp_ne_u32_e64 s0, 0, v1
	s_delay_alu instid0(VALU_DEP_3) | instskip(NEXT) | instid1(VALU_DEP_1)
	v_min_u32_e32 v12, 32, v12
	v_sub_nc_u32_e64 v12, v12, 4 clamp
	s_delay_alu instid0(VALU_DEP_1) | instskip(SKIP_1) | instid1(VALU_DEP_2)
	v_lshlrev_b32_e32 v13, v12, v1
	v_lshlrev_b32_e32 v12, 23, v12
	v_lshrrev_b32_e32 v13, 4, v13
	s_delay_alu instid0(VALU_DEP_1) | instskip(SKIP_1) | instid1(VALU_DEP_2)
	v_sub_nc_u32_e32 v12, v13, v12
	v_ashrrev_i32_e32 v13, 8, v14
	v_add_nc_u32_e32 v12, 0x3c000000, v12
	s_delay_alu instid0(VALU_DEP_1) | instskip(NEXT) | instid1(VALU_DEP_1)
	v_and_or_b32 v12, 0x7f800000, v13, v12
	v_cndmask_b32_e64 v1, 0, v12, s0
	s_delay_alu instid0(VALU_DEP_1)
	v_and_or_b32 v12, 0x80000000, v0, v1
.LBB25_1943:                            ;   in Loop: Header=BB25_17 Depth=1
	s_or_b32 exec_lo, exec_lo, s43
                                        ; implicit-def: $vgpr0_vgpr1
.LBB25_1944:                            ;   in Loop: Header=BB25_17 Depth=1
	s_and_not1_saveexec_b32 s42, s42
	s_cbranch_execz .LBB25_1946
; %bb.1945:                             ;   in Loop: Header=BB25_17 Depth=1
	flat_load_u8 v0, v[0:1]
	s_waitcnt vmcnt(0) lgkmcnt(0)
	v_lshlrev_b32_e32 v1, 25, v0
	v_lshlrev_b16 v0, 8, v0
	s_delay_alu instid0(VALU_DEP_2) | instskip(NEXT) | instid1(VALU_DEP_2)
	v_lshrrev_b32_e32 v12, 4, v1
	v_and_or_b32 v13, 0x7f00, v0, 0.5
	v_cmp_gt_u32_e64 s0, 0x8000000, v1
	v_bfe_i32 v0, v0, 0, 16
	s_delay_alu instid0(VALU_DEP_4) | instskip(NEXT) | instid1(VALU_DEP_1)
	v_or_b32_e32 v12, 0x70000000, v12
	v_dual_add_f32 v13, -0.5, v13 :: v_dual_mul_f32 v12, 0x7800000, v12
	s_delay_alu instid0(VALU_DEP_1) | instskip(NEXT) | instid1(VALU_DEP_1)
	v_cndmask_b32_e64 v1, v12, v13, s0
	v_and_or_b32 v12, 0x80000000, v0, v1
.LBB25_1946:                            ;   in Loop: Header=BB25_17 Depth=1
	s_or_b32 exec_lo, exec_lo, s42
	s_delay_alu instid0(SALU_CYCLE_1)
	s_or_b32 s42, s39, exec_lo
                                        ; implicit-def: $vgpr13
                                        ; implicit-def: $vgpr0_vgpr1
.LBB25_1947:                            ;   in Loop: Header=BB25_17 Depth=1
	s_or_saveexec_b32 s41, s41
                                        ; implicit-def: $sgpr43
                                        ; implicit-def: $sgpr0
	s_delay_alu instid0(SALU_CYCLE_1)
	s_xor_b32 exec_lo, exec_lo, s41
	s_cbranch_execz .LBB25_1957
; %bb.1948:                             ;   in Loop: Header=BB25_17 Depth=1
	s_mov_b32 s44, s42
	s_mov_b32 s46, exec_lo
                                        ; implicit-def: $sgpr45
                                        ; implicit-def: $sgpr43
                                        ; implicit-def: $vgpr12
	v_cmpx_lt_i16_e32 14, v13
	s_xor_b32 s46, exec_lo, s46
	s_cbranch_execz .LBB25_1952
; %bb.1949:                             ;   in Loop: Header=BB25_17 Depth=1
	s_mov_b32 s44, s42
	s_mov_b32 s43, exec_lo
                                        ; implicit-def: $vgpr12
	v_cmpx_eq_u16_e32 15, v13
	s_cbranch_execz .LBB25_1951
; %bb.1950:                             ;   in Loop: Header=BB25_17 Depth=1
	flat_load_u16 v0, v[0:1]
	s_or_b32 s44, s42, exec_lo
	s_waitcnt vmcnt(0) lgkmcnt(0)
	v_lshlrev_b32_e32 v12, 16, v0
.LBB25_1951:                            ;   in Loop: Header=BB25_17 Depth=1
	s_or_b32 exec_lo, exec_lo, s43
	s_delay_alu instid0(SALU_CYCLE_1)
	s_and_not1_b32 s0, s42, exec_lo
	s_and_b32 s44, s44, exec_lo
	s_mov_b32 s43, 0
	s_mov_b32 s45, -1
	s_or_b32 s44, s0, s44
                                        ; implicit-def: $vgpr13
                                        ; implicit-def: $vgpr0_vgpr1
.LBB25_1952:                            ;   in Loop: Header=BB25_17 Depth=1
	s_and_not1_saveexec_b32 s46, s46
	s_cbranch_execz .LBB25_1956
; %bb.1953:                             ;   in Loop: Header=BB25_17 Depth=1
	s_mov_b32 s47, s44
	s_mov_b32 s48, exec_lo
                                        ; implicit-def: $vgpr12
	v_cmpx_eq_u16_e32 11, v13
	s_cbranch_execz .LBB25_1955
; %bb.1954:                             ;   in Loop: Header=BB25_17 Depth=1
	flat_load_u8 v0, v[0:1]
	s_or_b32 s47, s44, exec_lo
	s_waitcnt vmcnt(0) lgkmcnt(0)
	v_cmp_ne_u16_e64 s0, 0, v0
	s_delay_alu instid0(VALU_DEP_1)
	v_cndmask_b32_e64 v12, 0, 1.0, s0
.LBB25_1955:                            ;   in Loop: Header=BB25_17 Depth=1
	s_or_b32 exec_lo, exec_lo, s48
	s_delay_alu instid0(SALU_CYCLE_1)
	s_and_not1_b32 s0, s44, exec_lo
	s_and_b32 s44, s47, exec_lo
	s_or_b32 s45, s45, exec_lo
	s_and_not1_b32 s43, s43, exec_lo
	s_or_b32 s44, s0, s44
.LBB25_1956:                            ;   in Loop: Header=BB25_17 Depth=1
	s_or_b32 exec_lo, exec_lo, s46
	s_delay_alu instid0(SALU_CYCLE_1)
	s_and_not1_b32 s42, s42, exec_lo
	s_and_b32 s44, s44, exec_lo
	s_and_b32 s0, s45, exec_lo
	;; [unrolled: 1-line block ×3, first 2 shown]
	s_or_b32 s42, s42, s44
.LBB25_1957:                            ;   in Loop: Header=BB25_17 Depth=1
	s_or_b32 exec_lo, exec_lo, s41
	s_delay_alu instid0(SALU_CYCLE_1)
	s_and_not1_b32 s37, s37, exec_lo
	s_and_b32 s0, s0, exec_lo
	s_and_not1_b32 s39, s39, exec_lo
	s_or_b32 s37, s37, s0
	s_and_not1_b32 s0, s40, exec_lo
	s_and_b32 s40, s43, exec_lo
	s_and_b32 s41, s42, exec_lo
	s_or_b32 s40, s0, s40
	s_or_b32 s39, s39, s41
.LBB25_1958:                            ;   in Loop: Header=BB25_17 Depth=1
	s_or_b32 exec_lo, exec_lo, s36
	s_delay_alu instid0(SALU_CYCLE_1)
	s_and_b32 s37, s37, exec_lo
	s_and_b32 s36, s40, exec_lo
	;; [unrolled: 1-line block ×3, first 2 shown]
                                        ; implicit-def: $vgpr13
                                        ; implicit-def: $vgpr0_vgpr1
	s_and_not1_saveexec_b32 s35, s35
	s_cbranch_execz .LBB25_1875
.LBB25_1959:                            ;   in Loop: Header=BB25_17 Depth=1
	s_mov_b32 s40, exec_lo
                                        ; implicit-def: $vgpr12
	v_cmpx_lt_i16_e32 4, v13
	s_xor_b32 s40, exec_lo, s40
	s_cbranch_execz .LBB25_1981
; %bb.1960:                             ;   in Loop: Header=BB25_17 Depth=1
	s_mov_b32 s41, exec_lo
                                        ; implicit-def: $vgpr12
	v_cmpx_lt_i16_e32 7, v13
	s_xor_b32 s41, exec_lo, s41
	s_cbranch_execz .LBB25_1970
; %bb.1961:                             ;   in Loop: Header=BB25_17 Depth=1
	;; [unrolled: 6-line block ×3, first 2 shown]
	v_cmp_lt_i16_e64 s0, 9, v13
                                        ; implicit-def: $vgpr12
	s_delay_alu instid0(VALU_DEP_1) | instskip(NEXT) | instid1(SALU_CYCLE_1)
	s_and_saveexec_b32 s43, s0
	s_xor_b32 s0, exec_lo, s43
	s_cbranch_execz .LBB25_1964
; %bb.1963:                             ;   in Loop: Header=BB25_17 Depth=1
	flat_load_b64 v[0:1], v[0:1]
	s_waitcnt vmcnt(0) lgkmcnt(0)
	v_cvt_f32_f64_e32 v12, v[0:1]
                                        ; implicit-def: $vgpr0_vgpr1
.LBB25_1964:                            ;   in Loop: Header=BB25_17 Depth=1
	s_and_not1_saveexec_b32 s0, s0
	s_cbranch_execz .LBB25_1966
; %bb.1965:                             ;   in Loop: Header=BB25_17 Depth=1
	flat_load_b32 v12, v[0:1]
.LBB25_1966:                            ;   in Loop: Header=BB25_17 Depth=1
	s_or_b32 exec_lo, exec_lo, s0
                                        ; implicit-def: $vgpr0_vgpr1
.LBB25_1967:                            ;   in Loop: Header=BB25_17 Depth=1
	s_and_not1_saveexec_b32 s0, s42
	s_cbranch_execz .LBB25_1969
; %bb.1968:                             ;   in Loop: Header=BB25_17 Depth=1
	flat_load_b32 v0, v[0:1]
	s_waitcnt vmcnt(0) lgkmcnt(0)
	v_cvt_f32_f16_e32 v12, v0
.LBB25_1969:                            ;   in Loop: Header=BB25_17 Depth=1
	s_or_b32 exec_lo, exec_lo, s0
                                        ; implicit-def: $vgpr0_vgpr1
                                        ; implicit-def: $vgpr13
.LBB25_1970:                            ;   in Loop: Header=BB25_17 Depth=1
	s_and_not1_saveexec_b32 s41, s41
	s_cbranch_execz .LBB25_1980
; %bb.1971:                             ;   in Loop: Header=BB25_17 Depth=1
	s_mov_b32 s42, exec_lo
                                        ; implicit-def: $vgpr12
	v_cmpx_lt_i16_e32 5, v13
	s_xor_b32 s42, exec_lo, s42
	s_cbranch_execz .LBB25_1977
; %bb.1972:                             ;   in Loop: Header=BB25_17 Depth=1
	v_cmp_lt_i16_e64 s0, 6, v13
                                        ; implicit-def: $vgpr12
	s_delay_alu instid0(VALU_DEP_1) | instskip(NEXT) | instid1(SALU_CYCLE_1)
	s_and_saveexec_b32 s43, s0
	s_xor_b32 s0, exec_lo, s43
	s_cbranch_execz .LBB25_1974
; %bb.1973:                             ;   in Loop: Header=BB25_17 Depth=1
	flat_load_b64 v[0:1], v[0:1]
	s_waitcnt vmcnt(0) lgkmcnt(0)
	v_cvt_f32_f64_e32 v12, v[0:1]
                                        ; implicit-def: $vgpr0_vgpr1
.LBB25_1974:                            ;   in Loop: Header=BB25_17 Depth=1
	s_and_not1_saveexec_b32 s0, s0
	s_cbranch_execz .LBB25_1976
; %bb.1975:                             ;   in Loop: Header=BB25_17 Depth=1
	s_waitcnt vmcnt(0) lgkmcnt(0)
	flat_load_b32 v12, v[0:1]
.LBB25_1976:                            ;   in Loop: Header=BB25_17 Depth=1
	s_or_b32 exec_lo, exec_lo, s0
                                        ; implicit-def: $vgpr0_vgpr1
.LBB25_1977:                            ;   in Loop: Header=BB25_17 Depth=1
	s_and_not1_saveexec_b32 s0, s42
	s_cbranch_execz .LBB25_1979
; %bb.1978:                             ;   in Loop: Header=BB25_17 Depth=1
	flat_load_u16 v0, v[0:1]
	s_waitcnt vmcnt(0) lgkmcnt(0)
	v_cvt_f32_f16_e32 v12, v0
.LBB25_1979:                            ;   in Loop: Header=BB25_17 Depth=1
	s_or_b32 exec_lo, exec_lo, s0
.LBB25_1980:                            ;   in Loop: Header=BB25_17 Depth=1
	s_delay_alu instid0(SALU_CYCLE_1)
	s_or_b32 exec_lo, exec_lo, s41
                                        ; implicit-def: $vgpr13
                                        ; implicit-def: $vgpr0_vgpr1
.LBB25_1981:                            ;   in Loop: Header=BB25_17 Depth=1
	s_and_not1_saveexec_b32 s40, s40
	s_cbranch_execz .LBB25_1999
; %bb.1982:                             ;   in Loop: Header=BB25_17 Depth=1
	s_mov_b32 s41, exec_lo
                                        ; implicit-def: $vgpr12
	v_cmpx_lt_i16_e32 1, v13
	s_xor_b32 s41, exec_lo, s41
	s_cbranch_execz .LBB25_1992
; %bb.1983:                             ;   in Loop: Header=BB25_17 Depth=1
	s_mov_b32 s42, exec_lo
                                        ; implicit-def: $vgpr12
	v_cmpx_lt_i16_e32 2, v13
	s_xor_b32 s42, exec_lo, s42
	s_cbranch_execz .LBB25_1989
; %bb.1984:                             ;   in Loop: Header=BB25_17 Depth=1
	v_cmp_lt_i16_e64 s0, 3, v13
                                        ; implicit-def: $vgpr12
	s_delay_alu instid0(VALU_DEP_1) | instskip(NEXT) | instid1(SALU_CYCLE_1)
	s_and_saveexec_b32 s43, s0
	s_xor_b32 s0, exec_lo, s43
	s_cbranch_execz .LBB25_1986
; %bb.1985:                             ;   in Loop: Header=BB25_17 Depth=1
	flat_load_b64 v[0:1], v[0:1]
	s_waitcnt vmcnt(0) lgkmcnt(0)
	v_xor_b32_e32 v12, v0, v1
	v_cls_i32_e32 v13, v1
	s_delay_alu instid0(VALU_DEP_2) | instskip(NEXT) | instid1(VALU_DEP_2)
	v_ashrrev_i32_e32 v12, 31, v12
	v_add_nc_u32_e32 v13, -1, v13
	s_delay_alu instid0(VALU_DEP_2) | instskip(NEXT) | instid1(VALU_DEP_1)
	v_add_nc_u32_e32 v12, 32, v12
	v_min_u32_e32 v12, v13, v12
	s_delay_alu instid0(VALU_DEP_1) | instskip(NEXT) | instid1(VALU_DEP_1)
	v_lshlrev_b64 v[0:1], v12, v[0:1]
	v_min_u32_e32 v0, 1, v0
	s_delay_alu instid0(VALU_DEP_1) | instskip(SKIP_1) | instid1(VALU_DEP_2)
	v_or_b32_e32 v0, v1, v0
	v_sub_nc_u32_e32 v1, 32, v12
	v_cvt_f32_i32_e32 v0, v0
	s_delay_alu instid0(VALU_DEP_1)
	v_ldexp_f32 v12, v0, v1
                                        ; implicit-def: $vgpr0_vgpr1
.LBB25_1986:                            ;   in Loop: Header=BB25_17 Depth=1
	s_and_not1_saveexec_b32 s0, s0
	s_cbranch_execz .LBB25_1988
; %bb.1987:                             ;   in Loop: Header=BB25_17 Depth=1
	flat_load_b32 v0, v[0:1]
	s_waitcnt vmcnt(0) lgkmcnt(0)
	v_cvt_f32_i32_e32 v12, v0
.LBB25_1988:                            ;   in Loop: Header=BB25_17 Depth=1
	s_or_b32 exec_lo, exec_lo, s0
                                        ; implicit-def: $vgpr0_vgpr1
.LBB25_1989:                            ;   in Loop: Header=BB25_17 Depth=1
	s_and_not1_saveexec_b32 s0, s42
	s_cbranch_execz .LBB25_1991
; %bb.1990:                             ;   in Loop: Header=BB25_17 Depth=1
	flat_load_i16 v0, v[0:1]
	s_waitcnt vmcnt(0) lgkmcnt(0)
	v_cvt_f32_i32_e32 v12, v0
.LBB25_1991:                            ;   in Loop: Header=BB25_17 Depth=1
	s_or_b32 exec_lo, exec_lo, s0
                                        ; implicit-def: $vgpr0_vgpr1
                                        ; implicit-def: $vgpr13
.LBB25_1992:                            ;   in Loop: Header=BB25_17 Depth=1
	s_and_not1_saveexec_b32 s41, s41
	s_cbranch_execz .LBB25_1998
; %bb.1993:                             ;   in Loop: Header=BB25_17 Depth=1
	v_cmp_lt_i16_e64 s0, 0, v13
                                        ; implicit-def: $vgpr12
	s_delay_alu instid0(VALU_DEP_1) | instskip(NEXT) | instid1(SALU_CYCLE_1)
	s_and_saveexec_b32 s42, s0
	s_xor_b32 s0, exec_lo, s42
	s_cbranch_execz .LBB25_1995
; %bb.1994:                             ;   in Loop: Header=BB25_17 Depth=1
	flat_load_i8 v0, v[0:1]
	s_waitcnt vmcnt(0) lgkmcnt(0)
	v_cvt_f32_i32_e32 v12, v0
                                        ; implicit-def: $vgpr0_vgpr1
.LBB25_1995:                            ;   in Loop: Header=BB25_17 Depth=1
	s_and_not1_saveexec_b32 s0, s0
	s_cbranch_execz .LBB25_1997
; %bb.1996:                             ;   in Loop: Header=BB25_17 Depth=1
	flat_load_u8 v0, v[0:1]
	s_waitcnt vmcnt(0) lgkmcnt(0)
	v_cvt_f32_ubyte0_e32 v12, v0
.LBB25_1997:                            ;   in Loop: Header=BB25_17 Depth=1
	s_or_b32 exec_lo, exec_lo, s0
.LBB25_1998:                            ;   in Loop: Header=BB25_17 Depth=1
	s_delay_alu instid0(SALU_CYCLE_1)
	s_or_b32 exec_lo, exec_lo, s41
.LBB25_1999:                            ;   in Loop: Header=BB25_17 Depth=1
	s_delay_alu instid0(SALU_CYCLE_1) | instskip(NEXT) | instid1(SALU_CYCLE_1)
	s_or_b32 exec_lo, exec_lo, s40
	s_and_not1_b32 s37, s37, exec_lo
	s_and_not1_b32 s36, s36, exec_lo
	s_or_b32 s39, s39, exec_lo
	s_or_b32 exec_lo, exec_lo, s35
	s_mov_b32 s0, 0
	s_and_saveexec_b32 s35, s39
	s_cbranch_execnz .LBB25_1876
	s_branch .LBB25_1877
.LBB25_2000:                            ;   in Loop: Header=BB25_17 Depth=1
	s_mov_b32 s31, exec_lo
                                        ; implicit-def: $sgpr40
                                        ; implicit-def: $sgpr34
                                        ; implicit-def: $vgpr13
	v_cmpx_lt_i16_e32 25, v2
	s_xor_b32 s31, exec_lo, s31
	s_cbranch_execz .LBB25_2032
; %bb.2001:                             ;   in Loop: Header=BB25_17 Depth=1
	s_mov_b32 s34, exec_lo
                                        ; implicit-def: $sgpr40
                                        ; implicit-def: $sgpr41
                                        ; implicit-def: $vgpr13
	v_cmpx_lt_i16_e32 28, v2
	s_xor_b32 s34, exec_lo, s34
	s_cbranch_execz .LBB25_2017
; %bb.2002:                             ;   in Loop: Header=BB25_17 Depth=1
	s_mov_b32 s42, 0
	s_mov_b32 s39, exec_lo
                                        ; implicit-def: $sgpr40
                                        ; implicit-def: $sgpr41
                                        ; implicit-def: $vgpr13
	v_cmpx_lt_i16_e32 43, v2
	s_xor_b32 s39, exec_lo, s39
	s_cbranch_execz .LBB25_2012
; %bb.2003:                             ;   in Loop: Header=BB25_17 Depth=1
	s_mov_b32 s41, exec_lo
                                        ; implicit-def: $sgpr40
                                        ; implicit-def: $sgpr43
                                        ; implicit-def: $vgpr13
	v_cmpx_lt_i16_e32 45, v2
	s_xor_b32 s41, exec_lo, s41
	s_cbranch_execz .LBB25_2007
; %bb.2004:                             ;   in Loop: Header=BB25_17 Depth=1
	s_mov_b32 s40, 0
	s_mov_b32 s43, exec_lo
                                        ; implicit-def: $vgpr13
	v_cmpx_eq_u16_e32 46, v2
	s_cbranch_execz .LBB25_2006
; %bb.2005:                             ;   in Loop: Header=BB25_17 Depth=1
	flat_load_b32 v0, v[0:1]
	s_mov_b32 s42, exec_lo
	s_waitcnt vmcnt(0) lgkmcnt(0)
	v_lshlrev_b32_e32 v13, 16, v0
.LBB25_2006:                            ;   in Loop: Header=BB25_17 Depth=1
	s_or_b32 exec_lo, exec_lo, s43
	s_mov_b32 s43, -1
	s_and_b32 s42, s42, exec_lo
                                        ; implicit-def: $vgpr0_vgpr1
.LBB25_2007:                            ;   in Loop: Header=BB25_17 Depth=1
	s_and_not1_saveexec_b32 s41, s41
	s_cbranch_execz .LBB25_2011
; %bb.2008:                             ;   in Loop: Header=BB25_17 Depth=1
	s_mov_b32 s45, s42
	s_mov_b32 s44, exec_lo
                                        ; implicit-def: $vgpr13
	v_cmpx_eq_u16_e32 44, v2
	s_cbranch_execz .LBB25_2010
; %bb.2009:                             ;   in Loop: Header=BB25_17 Depth=1
	flat_load_u8 v0, v[0:1]
	s_or_b32 s45, s42, exec_lo
	s_waitcnt vmcnt(0) lgkmcnt(0)
	v_lshlrev_b32_e32 v1, 23, v0
	v_cmp_ne_u32_e64 s0, 0xff, v0
	s_delay_alu instid0(VALU_DEP_1) | instskip(SKIP_1) | instid1(VALU_DEP_1)
	v_cndmask_b32_e64 v1, 0x7f800001, v1, s0
	v_cmp_ne_u32_e64 s0, 0, v0
	v_cndmask_b32_e64 v13, 0x400000, v1, s0
.LBB25_2010:                            ;   in Loop: Header=BB25_17 Depth=1
	s_or_b32 exec_lo, exec_lo, s44
	s_delay_alu instid0(SALU_CYCLE_1)
	s_and_not1_b32 s0, s42, exec_lo
	s_and_b32 s42, s45, exec_lo
	s_and_not1_b32 s40, s40, exec_lo
	s_or_b32 s43, s43, exec_lo
	s_or_b32 s42, s0, s42
.LBB25_2011:                            ;   in Loop: Header=BB25_17 Depth=1
	s_or_b32 exec_lo, exec_lo, s41
	s_delay_alu instid0(SALU_CYCLE_1)
	s_and_b32 s41, s40, exec_lo
	s_and_b32 s40, s43, exec_lo
	;; [unrolled: 1-line block ×3, first 2 shown]
                                        ; implicit-def: $vgpr0_vgpr1
.LBB25_2012:                            ;   in Loop: Header=BB25_17 Depth=1
	s_and_not1_saveexec_b32 s39, s39
	s_cbranch_execz .LBB25_2016
; %bb.2013:                             ;   in Loop: Header=BB25_17 Depth=1
	s_mov_b32 s44, s42
	s_mov_b32 s43, exec_lo
                                        ; implicit-def: $vgpr13
	v_cmpx_eq_u16_e32 29, v2
	s_cbranch_execz .LBB25_2015
; %bb.2014:                             ;   in Loop: Header=BB25_17 Depth=1
	flat_load_b64 v[0:1], v[0:1]
	s_or_b32 s44, s42, exec_lo
	s_waitcnt vmcnt(0) lgkmcnt(0)
	v_clz_i32_u32_e32 v8, v1
	s_delay_alu instid0(VALU_DEP_1) | instskip(NEXT) | instid1(VALU_DEP_1)
	v_min_u32_e32 v8, 32, v8
	v_lshlrev_b64 v[0:1], v8, v[0:1]
	s_delay_alu instid0(VALU_DEP_1) | instskip(NEXT) | instid1(VALU_DEP_1)
	v_min_u32_e32 v0, 1, v0
	v_or_b32_e32 v0, v1, v0
	v_sub_nc_u32_e32 v1, 32, v8
	s_delay_alu instid0(VALU_DEP_2) | instskip(NEXT) | instid1(VALU_DEP_1)
	v_cvt_f32_u32_e32 v0, v0
	v_ldexp_f32 v13, v0, v1
.LBB25_2015:                            ;   in Loop: Header=BB25_17 Depth=1
	s_or_b32 exec_lo, exec_lo, s43
	s_delay_alu instid0(SALU_CYCLE_1)
	s_and_not1_b32 s0, s42, exec_lo
	s_and_b32 s42, s44, exec_lo
	s_and_not1_b32 s41, s41, exec_lo
	s_or_b32 s40, s40, exec_lo
	s_or_b32 s42, s0, s42
.LBB25_2016:                            ;   in Loop: Header=BB25_17 Depth=1
	s_or_b32 exec_lo, exec_lo, s39
	s_delay_alu instid0(SALU_CYCLE_1)
	s_and_b32 s41, s41, exec_lo
	s_and_b32 s40, s40, exec_lo
	;; [unrolled: 1-line block ×3, first 2 shown]
                                        ; implicit-def: $vgpr0_vgpr1
.LBB25_2017:                            ;   in Loop: Header=BB25_17 Depth=1
	s_and_not1_saveexec_b32 s34, s34
	s_cbranch_execz .LBB25_2031
; %bb.2018:                             ;   in Loop: Header=BB25_17 Depth=1
	s_mov_b32 s42, exec_lo
                                        ; implicit-def: $vgpr13
	v_cmpx_lt_i16_e32 26, v2
	s_xor_b32 s42, exec_lo, s42
	s_cbranch_execz .LBB25_2024
; %bb.2019:                             ;   in Loop: Header=BB25_17 Depth=1
	v_cmp_lt_i16_e64 s0, 27, v2
                                        ; implicit-def: $vgpr13
	s_delay_alu instid0(VALU_DEP_1) | instskip(NEXT) | instid1(SALU_CYCLE_1)
	s_and_saveexec_b32 s43, s0
	s_xor_b32 s0, exec_lo, s43
	s_cbranch_execz .LBB25_2021
; %bb.2020:                             ;   in Loop: Header=BB25_17 Depth=1
	flat_load_b32 v0, v[0:1]
	s_waitcnt vmcnt(0) lgkmcnt(0)
	v_cvt_f32_u32_e32 v13, v0
                                        ; implicit-def: $vgpr0_vgpr1
.LBB25_2021:                            ;   in Loop: Header=BB25_17 Depth=1
	s_and_not1_saveexec_b32 s0, s0
	s_cbranch_execz .LBB25_2023
; %bb.2022:                             ;   in Loop: Header=BB25_17 Depth=1
	flat_load_u16 v0, v[0:1]
	s_waitcnt vmcnt(0) lgkmcnt(0)
	v_cvt_f32_u32_e32 v13, v0
.LBB25_2023:                            ;   in Loop: Header=BB25_17 Depth=1
	s_or_b32 exec_lo, exec_lo, s0
                                        ; implicit-def: $vgpr0_vgpr1
.LBB25_2024:                            ;   in Loop: Header=BB25_17 Depth=1
	s_and_not1_saveexec_b32 s42, s42
	s_cbranch_execz .LBB25_2030
; %bb.2025:                             ;   in Loop: Header=BB25_17 Depth=1
	flat_load_u8 v0, v[0:1]
	s_mov_b32 s43, 0
	s_mov_b32 s45, exec_lo
                                        ; implicit-def: $sgpr44
	s_waitcnt vmcnt(0) lgkmcnt(0)
	v_cmpx_lt_i16_e32 0x7f, v0
	s_xor_b32 s45, exec_lo, s45
	s_cbranch_execnz .LBB25_2804
; %bb.2026:                             ;   in Loop: Header=BB25_17 Depth=1
	s_or_saveexec_b32 s45, s45
	v_mov_b32_e32 v13, s44
	s_xor_b32 exec_lo, exec_lo, s45
	s_cbranch_execnz .LBB25_2807
.LBB25_2027:                            ;   in Loop: Header=BB25_17 Depth=1
	s_or_b32 exec_lo, exec_lo, s45
	s_and_saveexec_b32 s44, s43
	s_cbranch_execz .LBB25_2029
.LBB25_2028:                            ;   in Loop: Header=BB25_17 Depth=1
	v_and_b32_e32 v1, 0xffff, v0
	v_lshlrev_b32_e32 v0, 24, v0
	s_delay_alu instid0(VALU_DEP_2) | instskip(NEXT) | instid1(VALU_DEP_2)
	v_and_b32_e32 v8, 7, v1
	v_and_b32_e32 v0, 0x80000000, v0
	s_delay_alu instid0(VALU_DEP_2) | instskip(NEXT) | instid1(VALU_DEP_1)
	v_clz_i32_u32_e32 v13, v8
	v_min_u32_e32 v13, 32, v13
	s_delay_alu instid0(VALU_DEP_1) | instskip(SKIP_1) | instid1(VALU_DEP_2)
	v_subrev_nc_u32_e32 v14, 28, v13
	v_sub_nc_u32_e32 v13, 29, v13
	v_lshlrev_b32_e32 v14, v14, v1
	v_bfe_u32 v1, v1, 3, 4
	s_delay_alu instid0(VALU_DEP_2) | instskip(NEXT) | instid1(VALU_DEP_2)
	v_and_b32_e32 v14, 7, v14
	v_cmp_eq_u32_e64 s0, 0, v1
	s_delay_alu instid0(VALU_DEP_1) | instskip(NEXT) | instid1(VALU_DEP_3)
	v_cndmask_b32_e64 v1, v1, v13, s0
	v_cndmask_b32_e64 v8, v8, v14, s0
	s_delay_alu instid0(VALU_DEP_2) | instskip(NEXT) | instid1(VALU_DEP_2)
	v_lshl_add_u32 v1, v1, 23, 0x3b800000
	v_lshlrev_b32_e32 v8, 20, v8
	s_delay_alu instid0(VALU_DEP_1)
	v_or3_b32 v13, v0, v1, v8
.LBB25_2029:                            ;   in Loop: Header=BB25_17 Depth=1
	s_or_b32 exec_lo, exec_lo, s44
.LBB25_2030:                            ;   in Loop: Header=BB25_17 Depth=1
	s_delay_alu instid0(SALU_CYCLE_1) | instskip(NEXT) | instid1(SALU_CYCLE_1)
	s_or_b32 exec_lo, exec_lo, s42
	s_and_not1_b32 s41, s41, exec_lo
	s_and_not1_b32 s40, s40, exec_lo
	s_or_b32 s39, s39, exec_lo
.LBB25_2031:                            ;   in Loop: Header=BB25_17 Depth=1
	s_or_b32 exec_lo, exec_lo, s34
	s_delay_alu instid0(SALU_CYCLE_1)
	s_and_b32 s34, s41, exec_lo
	s_and_b32 s40, s40, exec_lo
	;; [unrolled: 1-line block ×3, first 2 shown]
                                        ; implicit-def: $vgpr0_vgpr1
.LBB25_2032:                            ;   in Loop: Header=BB25_17 Depth=1
	s_and_not1_saveexec_b32 s31, s31
	s_cbranch_execz .LBB25_2058
; %bb.2033:                             ;   in Loop: Header=BB25_17 Depth=1
	s_mov_b32 s42, s39
	s_mov_b32 s41, exec_lo
                                        ; implicit-def: $vgpr13
	v_cmpx_lt_i16_e32 22, v2
	s_xor_b32 s41, exec_lo, s41
	s_cbranch_execz .LBB25_2047
; %bb.2034:                             ;   in Loop: Header=BB25_17 Depth=1
	s_mov_b32 s42, exec_lo
                                        ; implicit-def: $vgpr13
	v_cmpx_lt_i16_e32 23, v2
	s_xor_b32 s42, exec_lo, s42
	s_cbranch_execz .LBB25_2044
; %bb.2035:                             ;   in Loop: Header=BB25_17 Depth=1
	;; [unrolled: 6-line block ×3, first 2 shown]
	flat_load_u8 v0, v[0:1]
	s_mov_b32 s44, 0
	s_mov_b32 s46, exec_lo
                                        ; implicit-def: $sgpr45
	s_waitcnt vmcnt(0) lgkmcnt(0)
	v_cmpx_lt_i16_e32 0x7f, v0
	s_xor_b32 s46, exec_lo, s46
	s_cbranch_execnz .LBB25_3023
; %bb.2037:                             ;   in Loop: Header=BB25_17 Depth=1
	s_or_saveexec_b32 s46, s46
	v_mov_b32_e32 v13, s45
	s_xor_b32 exec_lo, exec_lo, s46
	s_cbranch_execnz .LBB25_3026
.LBB25_2038:                            ;   in Loop: Header=BB25_17 Depth=1
	s_or_b32 exec_lo, exec_lo, s46
	s_and_saveexec_b32 s45, s44
	s_cbranch_execz .LBB25_2040
.LBB25_2039:                            ;   in Loop: Header=BB25_17 Depth=1
	v_and_b32_e32 v1, 0xffff, v0
	v_lshlrev_b32_e32 v0, 24, v0
	s_delay_alu instid0(VALU_DEP_2) | instskip(NEXT) | instid1(VALU_DEP_2)
	v_and_b32_e32 v8, 3, v1
	v_and_b32_e32 v0, 0x80000000, v0
	s_delay_alu instid0(VALU_DEP_2) | instskip(NEXT) | instid1(VALU_DEP_1)
	v_clz_i32_u32_e32 v13, v8
	v_min_u32_e32 v13, 32, v13
	s_delay_alu instid0(VALU_DEP_1) | instskip(SKIP_1) | instid1(VALU_DEP_2)
	v_subrev_nc_u32_e32 v14, 29, v13
	v_sub_nc_u32_e32 v13, 30, v13
	v_lshlrev_b32_e32 v14, v14, v1
	v_bfe_u32 v1, v1, 2, 5
	s_delay_alu instid0(VALU_DEP_2) | instskip(NEXT) | instid1(VALU_DEP_2)
	v_and_b32_e32 v14, 3, v14
	v_cmp_eq_u32_e64 s0, 0, v1
	s_delay_alu instid0(VALU_DEP_1) | instskip(NEXT) | instid1(VALU_DEP_3)
	v_cndmask_b32_e64 v1, v1, v13, s0
	v_cndmask_b32_e64 v8, v8, v14, s0
	s_delay_alu instid0(VALU_DEP_2) | instskip(NEXT) | instid1(VALU_DEP_2)
	v_lshl_add_u32 v1, v1, 23, 0x37800000
	v_lshlrev_b32_e32 v8, 21, v8
	s_delay_alu instid0(VALU_DEP_1)
	v_or3_b32 v13, v0, v1, v8
.LBB25_2040:                            ;   in Loop: Header=BB25_17 Depth=1
	s_or_b32 exec_lo, exec_lo, s45
                                        ; implicit-def: $vgpr0_vgpr1
.LBB25_2041:                            ;   in Loop: Header=BB25_17 Depth=1
	s_and_not1_saveexec_b32 s43, s43
	s_cbranch_execz .LBB25_2043
; %bb.2042:                             ;   in Loop: Header=BB25_17 Depth=1
	flat_load_u8 v0, v[0:1]
	s_waitcnt vmcnt(0) lgkmcnt(0)
	v_lshlrev_b32_e32 v0, 24, v0
	s_delay_alu instid0(VALU_DEP_1) | instskip(NEXT) | instid1(VALU_DEP_1)
	v_and_b32_e32 v1, 0x7f000000, v0
	v_clz_i32_u32_e32 v8, v1
	v_add_nc_u32_e32 v14, 0x1000000, v1
	v_cmp_ne_u32_e64 s0, 0, v1
	s_delay_alu instid0(VALU_DEP_3) | instskip(NEXT) | instid1(VALU_DEP_1)
	v_min_u32_e32 v8, 32, v8
	v_sub_nc_u32_e64 v8, v8, 4 clamp
	s_delay_alu instid0(VALU_DEP_1) | instskip(SKIP_1) | instid1(VALU_DEP_2)
	v_lshlrev_b32_e32 v13, v8, v1
	v_lshlrev_b32_e32 v8, 23, v8
	v_lshrrev_b32_e32 v13, 4, v13
	s_delay_alu instid0(VALU_DEP_1) | instskip(SKIP_1) | instid1(VALU_DEP_2)
	v_sub_nc_u32_e32 v8, v13, v8
	v_ashrrev_i32_e32 v13, 8, v14
	v_add_nc_u32_e32 v8, 0x3c000000, v8
	s_delay_alu instid0(VALU_DEP_1) | instskip(NEXT) | instid1(VALU_DEP_1)
	v_and_or_b32 v8, 0x7f800000, v13, v8
	v_cndmask_b32_e64 v1, 0, v8, s0
	s_delay_alu instid0(VALU_DEP_1)
	v_and_or_b32 v13, 0x80000000, v0, v1
.LBB25_2043:                            ;   in Loop: Header=BB25_17 Depth=1
	s_or_b32 exec_lo, exec_lo, s43
                                        ; implicit-def: $vgpr0_vgpr1
.LBB25_2044:                            ;   in Loop: Header=BB25_17 Depth=1
	s_and_not1_saveexec_b32 s42, s42
	s_cbranch_execz .LBB25_2046
; %bb.2045:                             ;   in Loop: Header=BB25_17 Depth=1
	flat_load_u8 v0, v[0:1]
	s_waitcnt vmcnt(0) lgkmcnt(0)
	v_lshlrev_b32_e32 v1, 25, v0
	v_lshlrev_b16 v0, 8, v0
	s_delay_alu instid0(VALU_DEP_2) | instskip(NEXT) | instid1(VALU_DEP_2)
	v_lshrrev_b32_e32 v8, 4, v1
	v_and_or_b32 v13, 0x7f00, v0, 0.5
	v_cmp_gt_u32_e64 s0, 0x8000000, v1
	v_bfe_i32 v0, v0, 0, 16
	s_delay_alu instid0(VALU_DEP_4) | instskip(NEXT) | instid1(VALU_DEP_1)
	v_or_b32_e32 v8, 0x70000000, v8
	v_dual_add_f32 v13, -0.5, v13 :: v_dual_mul_f32 v8, 0x7800000, v8
	s_delay_alu instid0(VALU_DEP_1) | instskip(NEXT) | instid1(VALU_DEP_1)
	v_cndmask_b32_e64 v1, v8, v13, s0
	v_and_or_b32 v13, 0x80000000, v0, v1
.LBB25_2046:                            ;   in Loop: Header=BB25_17 Depth=1
	s_or_b32 exec_lo, exec_lo, s42
	s_delay_alu instid0(SALU_CYCLE_1)
	s_or_b32 s42, s39, exec_lo
                                        ; implicit-def: $vgpr0_vgpr1
.LBB25_2047:                            ;   in Loop: Header=BB25_17 Depth=1
	s_or_saveexec_b32 s41, s41
                                        ; implicit-def: $sgpr43
                                        ; implicit-def: $sgpr0
	s_delay_alu instid0(SALU_CYCLE_1)
	s_xor_b32 exec_lo, exec_lo, s41
	s_cbranch_execz .LBB25_2057
; %bb.2048:                             ;   in Loop: Header=BB25_17 Depth=1
	s_mov_b32 s44, s42
	s_mov_b32 s46, exec_lo
                                        ; implicit-def: $sgpr45
                                        ; implicit-def: $sgpr43
                                        ; implicit-def: $vgpr13
	v_cmpx_lt_i16_e32 14, v2
	s_xor_b32 s46, exec_lo, s46
	s_cbranch_execz .LBB25_2052
; %bb.2049:                             ;   in Loop: Header=BB25_17 Depth=1
	s_mov_b32 s44, s42
	s_mov_b32 s43, exec_lo
                                        ; implicit-def: $vgpr13
	v_cmpx_eq_u16_e32 15, v2
	s_cbranch_execz .LBB25_2051
; %bb.2050:                             ;   in Loop: Header=BB25_17 Depth=1
	flat_load_u16 v0, v[0:1]
	s_or_b32 s44, s42, exec_lo
	s_waitcnt vmcnt(0) lgkmcnt(0)
	v_lshlrev_b32_e32 v13, 16, v0
.LBB25_2051:                            ;   in Loop: Header=BB25_17 Depth=1
	s_or_b32 exec_lo, exec_lo, s43
	s_delay_alu instid0(SALU_CYCLE_1)
	s_and_not1_b32 s0, s42, exec_lo
	s_and_b32 s44, s44, exec_lo
	s_mov_b32 s43, -1
	s_mov_b32 s45, 0
	s_or_b32 s44, s0, s44
                                        ; implicit-def: $vgpr0_vgpr1
.LBB25_2052:                            ;   in Loop: Header=BB25_17 Depth=1
	s_and_not1_saveexec_b32 s46, s46
	s_cbranch_execz .LBB25_2056
; %bb.2053:                             ;   in Loop: Header=BB25_17 Depth=1
	s_mov_b32 s47, s44
	s_mov_b32 s48, exec_lo
                                        ; implicit-def: $vgpr13
	v_cmpx_eq_u16_e32 11, v2
	s_cbranch_execz .LBB25_2055
; %bb.2054:                             ;   in Loop: Header=BB25_17 Depth=1
	flat_load_u8 v0, v[0:1]
	s_or_b32 s47, s44, exec_lo
	s_waitcnt vmcnt(0) lgkmcnt(0)
	v_cmp_ne_u16_e64 s0, 0, v0
	s_delay_alu instid0(VALU_DEP_1)
	v_cndmask_b32_e64 v13, 0, 1.0, s0
.LBB25_2055:                            ;   in Loop: Header=BB25_17 Depth=1
	s_or_b32 exec_lo, exec_lo, s48
	s_delay_alu instid0(SALU_CYCLE_1)
	s_and_not1_b32 s0, s44, exec_lo
	s_and_b32 s44, s47, exec_lo
	s_and_not1_b32 s45, s45, exec_lo
	s_or_b32 s43, s43, exec_lo
	s_or_b32 s44, s0, s44
.LBB25_2056:                            ;   in Loop: Header=BB25_17 Depth=1
	s_or_b32 exec_lo, exec_lo, s46
	s_delay_alu instid0(SALU_CYCLE_1)
	s_and_not1_b32 s42, s42, exec_lo
	s_and_b32 s44, s44, exec_lo
	s_and_b32 s0, s45, exec_lo
	;; [unrolled: 1-line block ×3, first 2 shown]
	s_or_b32 s42, s42, s44
.LBB25_2057:                            ;   in Loop: Header=BB25_17 Depth=1
	s_or_b32 exec_lo, exec_lo, s41
	s_delay_alu instid0(SALU_CYCLE_1)
	s_and_not1_b32 s34, s34, exec_lo
	s_and_b32 s0, s0, exec_lo
	s_and_not1_b32 s39, s39, exec_lo
	s_or_b32 s34, s34, s0
	s_and_not1_b32 s0, s40, exec_lo
	s_and_b32 s40, s43, exec_lo
	s_and_b32 s41, s42, exec_lo
	s_or_b32 s40, s0, s40
	s_or_b32 s39, s39, s41
.LBB25_2058:                            ;   in Loop: Header=BB25_17 Depth=1
	s_or_b32 exec_lo, exec_lo, s31
	s_delay_alu instid0(SALU_CYCLE_1)
	s_and_b32 s34, s34, exec_lo
	s_and_b32 s31, s40, exec_lo
	;; [unrolled: 1-line block ×3, first 2 shown]
                                        ; implicit-def: $vgpr0_vgpr1
	s_and_not1_saveexec_b32 s37, s37
	s_cbranch_execz .LBB25_1883
.LBB25_2059:                            ;   in Loop: Header=BB25_17 Depth=1
	s_mov_b32 s40, exec_lo
                                        ; implicit-def: $vgpr13
	v_cmpx_lt_i16_e32 4, v2
	s_xor_b32 s40, exec_lo, s40
	s_cbranch_execz .LBB25_2081
; %bb.2060:                             ;   in Loop: Header=BB25_17 Depth=1
	s_mov_b32 s41, exec_lo
                                        ; implicit-def: $vgpr13
	v_cmpx_lt_i16_e32 7, v2
	s_xor_b32 s41, exec_lo, s41
	s_cbranch_execz .LBB25_2070
; %bb.2061:                             ;   in Loop: Header=BB25_17 Depth=1
	;; [unrolled: 6-line block ×3, first 2 shown]
	v_cmp_lt_i16_e64 s0, 9, v2
                                        ; implicit-def: $vgpr13
	s_delay_alu instid0(VALU_DEP_1) | instskip(NEXT) | instid1(SALU_CYCLE_1)
	s_and_saveexec_b32 s43, s0
	s_xor_b32 s0, exec_lo, s43
	s_cbranch_execz .LBB25_2064
; %bb.2063:                             ;   in Loop: Header=BB25_17 Depth=1
	flat_load_b64 v[0:1], v[0:1]
	s_waitcnt vmcnt(0) lgkmcnt(0)
	v_cvt_f32_f64_e32 v13, v[0:1]
                                        ; implicit-def: $vgpr0_vgpr1
.LBB25_2064:                            ;   in Loop: Header=BB25_17 Depth=1
	s_and_not1_saveexec_b32 s0, s0
	s_cbranch_execz .LBB25_2066
; %bb.2065:                             ;   in Loop: Header=BB25_17 Depth=1
	flat_load_b32 v13, v[0:1]
.LBB25_2066:                            ;   in Loop: Header=BB25_17 Depth=1
	s_or_b32 exec_lo, exec_lo, s0
                                        ; implicit-def: $vgpr0_vgpr1
.LBB25_2067:                            ;   in Loop: Header=BB25_17 Depth=1
	s_and_not1_saveexec_b32 s0, s42
	s_cbranch_execz .LBB25_2069
; %bb.2068:                             ;   in Loop: Header=BB25_17 Depth=1
	flat_load_b32 v0, v[0:1]
	s_waitcnt vmcnt(0) lgkmcnt(0)
	v_cvt_f32_f16_e32 v13, v0
.LBB25_2069:                            ;   in Loop: Header=BB25_17 Depth=1
	s_or_b32 exec_lo, exec_lo, s0
                                        ; implicit-def: $vgpr0_vgpr1
.LBB25_2070:                            ;   in Loop: Header=BB25_17 Depth=1
	s_and_not1_saveexec_b32 s41, s41
	s_cbranch_execz .LBB25_2080
; %bb.2071:                             ;   in Loop: Header=BB25_17 Depth=1
	s_mov_b32 s42, exec_lo
                                        ; implicit-def: $vgpr13
	v_cmpx_lt_i16_e32 5, v2
	s_xor_b32 s42, exec_lo, s42
	s_cbranch_execz .LBB25_2077
; %bb.2072:                             ;   in Loop: Header=BB25_17 Depth=1
	v_cmp_lt_i16_e64 s0, 6, v2
                                        ; implicit-def: $vgpr13
	s_delay_alu instid0(VALU_DEP_1) | instskip(NEXT) | instid1(SALU_CYCLE_1)
	s_and_saveexec_b32 s43, s0
	s_xor_b32 s0, exec_lo, s43
	s_cbranch_execz .LBB25_2074
; %bb.2073:                             ;   in Loop: Header=BB25_17 Depth=1
	flat_load_b64 v[0:1], v[0:1]
	s_waitcnt vmcnt(0) lgkmcnt(0)
	v_cvt_f32_f64_e32 v13, v[0:1]
                                        ; implicit-def: $vgpr0_vgpr1
.LBB25_2074:                            ;   in Loop: Header=BB25_17 Depth=1
	s_and_not1_saveexec_b32 s0, s0
	s_cbranch_execz .LBB25_2076
; %bb.2075:                             ;   in Loop: Header=BB25_17 Depth=1
	s_waitcnt vmcnt(0) lgkmcnt(0)
	flat_load_b32 v13, v[0:1]
.LBB25_2076:                            ;   in Loop: Header=BB25_17 Depth=1
	s_or_b32 exec_lo, exec_lo, s0
                                        ; implicit-def: $vgpr0_vgpr1
.LBB25_2077:                            ;   in Loop: Header=BB25_17 Depth=1
	s_and_not1_saveexec_b32 s0, s42
	s_cbranch_execz .LBB25_2079
; %bb.2078:                             ;   in Loop: Header=BB25_17 Depth=1
	flat_load_u16 v0, v[0:1]
	s_waitcnt vmcnt(0) lgkmcnt(0)
	v_cvt_f32_f16_e32 v13, v0
.LBB25_2079:                            ;   in Loop: Header=BB25_17 Depth=1
	s_or_b32 exec_lo, exec_lo, s0
.LBB25_2080:                            ;   in Loop: Header=BB25_17 Depth=1
	s_delay_alu instid0(SALU_CYCLE_1)
	s_or_b32 exec_lo, exec_lo, s41
                                        ; implicit-def: $vgpr0_vgpr1
.LBB25_2081:                            ;   in Loop: Header=BB25_17 Depth=1
	s_and_not1_saveexec_b32 s40, s40
	s_cbranch_execz .LBB25_2099
; %bb.2082:                             ;   in Loop: Header=BB25_17 Depth=1
	s_mov_b32 s41, exec_lo
                                        ; implicit-def: $vgpr13
	v_cmpx_lt_i16_e32 1, v2
	s_xor_b32 s41, exec_lo, s41
	s_cbranch_execz .LBB25_2092
; %bb.2083:                             ;   in Loop: Header=BB25_17 Depth=1
	s_mov_b32 s42, exec_lo
                                        ; implicit-def: $vgpr13
	v_cmpx_lt_i16_e32 2, v2
	s_xor_b32 s42, exec_lo, s42
	s_cbranch_execz .LBB25_2089
; %bb.2084:                             ;   in Loop: Header=BB25_17 Depth=1
	v_cmp_lt_i16_e64 s0, 3, v2
                                        ; implicit-def: $vgpr13
	s_delay_alu instid0(VALU_DEP_1) | instskip(NEXT) | instid1(SALU_CYCLE_1)
	s_and_saveexec_b32 s43, s0
	s_xor_b32 s0, exec_lo, s43
	s_cbranch_execz .LBB25_2086
; %bb.2085:                             ;   in Loop: Header=BB25_17 Depth=1
	flat_load_b64 v[0:1], v[0:1]
	s_waitcnt vmcnt(0) lgkmcnt(0)
	v_xor_b32_e32 v8, v0, v1
	v_cls_i32_e32 v13, v1
	s_delay_alu instid0(VALU_DEP_2) | instskip(NEXT) | instid1(VALU_DEP_2)
	v_ashrrev_i32_e32 v8, 31, v8
	v_add_nc_u32_e32 v13, -1, v13
	s_delay_alu instid0(VALU_DEP_2) | instskip(NEXT) | instid1(VALU_DEP_1)
	v_add_nc_u32_e32 v8, 32, v8
	v_min_u32_e32 v8, v13, v8
	s_delay_alu instid0(VALU_DEP_1) | instskip(NEXT) | instid1(VALU_DEP_1)
	v_lshlrev_b64 v[0:1], v8, v[0:1]
	v_min_u32_e32 v0, 1, v0
	s_delay_alu instid0(VALU_DEP_1) | instskip(SKIP_1) | instid1(VALU_DEP_2)
	v_or_b32_e32 v0, v1, v0
	v_sub_nc_u32_e32 v1, 32, v8
	v_cvt_f32_i32_e32 v0, v0
	s_delay_alu instid0(VALU_DEP_1)
	v_ldexp_f32 v13, v0, v1
                                        ; implicit-def: $vgpr0_vgpr1
.LBB25_2086:                            ;   in Loop: Header=BB25_17 Depth=1
	s_and_not1_saveexec_b32 s0, s0
	s_cbranch_execz .LBB25_2088
; %bb.2087:                             ;   in Loop: Header=BB25_17 Depth=1
	flat_load_b32 v0, v[0:1]
	s_waitcnt vmcnt(0) lgkmcnt(0)
	v_cvt_f32_i32_e32 v13, v0
.LBB25_2088:                            ;   in Loop: Header=BB25_17 Depth=1
	s_or_b32 exec_lo, exec_lo, s0
                                        ; implicit-def: $vgpr0_vgpr1
.LBB25_2089:                            ;   in Loop: Header=BB25_17 Depth=1
	s_and_not1_saveexec_b32 s0, s42
	s_cbranch_execz .LBB25_2091
; %bb.2090:                             ;   in Loop: Header=BB25_17 Depth=1
	flat_load_i16 v0, v[0:1]
	s_waitcnt vmcnt(0) lgkmcnt(0)
	v_cvt_f32_i32_e32 v13, v0
.LBB25_2091:                            ;   in Loop: Header=BB25_17 Depth=1
	s_or_b32 exec_lo, exec_lo, s0
                                        ; implicit-def: $vgpr0_vgpr1
.LBB25_2092:                            ;   in Loop: Header=BB25_17 Depth=1
	s_and_not1_saveexec_b32 s41, s41
	s_cbranch_execz .LBB25_2098
; %bb.2093:                             ;   in Loop: Header=BB25_17 Depth=1
	v_cmp_lt_i16_e64 s0, 0, v2
                                        ; implicit-def: $vgpr13
	s_delay_alu instid0(VALU_DEP_1) | instskip(NEXT) | instid1(SALU_CYCLE_1)
	s_and_saveexec_b32 s42, s0
	s_xor_b32 s0, exec_lo, s42
	s_cbranch_execz .LBB25_2095
; %bb.2094:                             ;   in Loop: Header=BB25_17 Depth=1
	flat_load_i8 v0, v[0:1]
	s_waitcnt vmcnt(0) lgkmcnt(0)
	v_cvt_f32_i32_e32 v13, v0
                                        ; implicit-def: $vgpr0_vgpr1
.LBB25_2095:                            ;   in Loop: Header=BB25_17 Depth=1
	s_and_not1_saveexec_b32 s0, s0
	s_cbranch_execz .LBB25_2097
; %bb.2096:                             ;   in Loop: Header=BB25_17 Depth=1
	flat_load_u8 v0, v[0:1]
	s_waitcnt vmcnt(0) lgkmcnt(0)
	v_cvt_f32_ubyte0_e32 v13, v0
.LBB25_2097:                            ;   in Loop: Header=BB25_17 Depth=1
	s_or_b32 exec_lo, exec_lo, s0
.LBB25_2098:                            ;   in Loop: Header=BB25_17 Depth=1
	s_delay_alu instid0(SALU_CYCLE_1)
	s_or_b32 exec_lo, exec_lo, s41
.LBB25_2099:                            ;   in Loop: Header=BB25_17 Depth=1
	s_delay_alu instid0(SALU_CYCLE_1) | instskip(NEXT) | instid1(SALU_CYCLE_1)
	s_or_b32 exec_lo, exec_lo, s40
	s_and_not1_b32 s34, s34, exec_lo
	s_and_not1_b32 s31, s31, exec_lo
	s_or_b32 s39, s39, exec_lo
	s_or_b32 exec_lo, exec_lo, s37
	s_mov_b32 s0, 0
	s_and_saveexec_b32 s37, s39
	s_cbranch_execz .LBB25_2105
.LBB25_2100:                            ;   in Loop: Header=BB25_17 Depth=1
	s_add_i32 s0, s33, 16
	s_mov_b32 s42, 0
	v_add_nc_u32_e64 v8, s1, s0
	s_mov_b32 s39, exec_lo
                                        ; implicit-def: $sgpr40
                                        ; implicit-def: $sgpr41
	s_delay_alu instid0(VALU_DEP_1) | instskip(SKIP_4) | instid1(VALU_DEP_2)
	v_add_nc_u32_e32 v0, 0x4c, v8
	s_waitcnt vmcnt(0) lgkmcnt(0)
	scratch_store_b32 v0, v13, off
	v_mul_lo_u32 v0, v12, v11
	v_and_b32_e32 v13, 0xff, v9
                                        ; implicit-def: $vgpr12
	v_add_co_u32 v0, s0, v5, v0
	s_delay_alu instid0(VALU_DEP_1) | instskip(NEXT) | instid1(VALU_DEP_3)
	v_add_co_ci_u32_e64 v1, s0, 0, v6, s0
	v_cmpx_lt_i16_e32 10, v13
	s_xor_b32 s39, exec_lo, s39
	s_cbranch_execnz .LBB25_2127
; %bb.2101:                             ;   in Loop: Header=BB25_17 Depth=1
	s_and_not1_saveexec_b32 s39, s39
	s_cbranch_execnz .LBB25_2186
.LBB25_2102:                            ;   in Loop: Header=BB25_17 Depth=1
	s_or_b32 exec_lo, exec_lo, s39
	s_mov_b32 s0, 0
	s_and_saveexec_b32 s39, s42
	s_cbranch_execz .LBB25_2104
.LBB25_2103:                            ;   in Loop: Header=BB25_17 Depth=1
	v_add_nc_u32_e32 v0, 0x48, v8
	v_add_nc_u32_e32 v7, 0x200, v7
	s_mov_b32 s0, exec_lo
	s_and_not1_b32 s41, s41, exec_lo
	s_and_not1_b32 s40, s40, exec_lo
	s_waitcnt vmcnt(0) lgkmcnt(0)
	scratch_store_b32 v0, v12, off
.LBB25_2104:                            ;   in Loop: Header=BB25_17 Depth=1
	s_or_b32 exec_lo, exec_lo, s39
	s_delay_alu instid0(SALU_CYCLE_1)
	s_and_not1_b32 s34, s34, exec_lo
	s_and_b32 s39, s41, exec_lo
	s_and_not1_b32 s31, s31, exec_lo
	s_and_b32 s40, s40, exec_lo
	s_or_b32 s34, s34, s39
	s_or_b32 s31, s31, s40
	s_and_b32 s0, s0, exec_lo
.LBB25_2105:                            ;   in Loop: Header=BB25_17 Depth=1
	s_or_b32 exec_lo, exec_lo, s37
	s_delay_alu instid0(SALU_CYCLE_1)
	s_and_b32 s34, s34, exec_lo
	s_and_b32 s31, s31, exec_lo
	s_or_not1_b32 s37, s0, exec_lo
.LBB25_2106:                            ;   in Loop: Header=BB25_17 Depth=1
	s_or_b32 exec_lo, exec_lo, s35
	s_and_saveexec_b32 s35, s37
	s_cbranch_execz .LBB25_7
; %bb.2107:                             ;   in Loop: Header=BB25_17 Depth=1
	s_mov_b32 s40, -1
	s_mov_b32 s41, -1
	s_mov_b32 s39, exec_lo
                                        ; implicit-def: $sgpr36
                                        ; implicit-def: $sgpr37
	v_cmpx_lt_i32_e64 v7, v146
	s_cbranch_execz .LBB25_2333
; %bb.2108:                             ;   in Loop: Header=BB25_17 Depth=1
	s_waitcnt vmcnt(0) lgkmcnt(0)
	v_add_nc_u32_e32 v12, s38, v7
	s_mov_b32 s42, 0
	s_mov_b32 s41, exec_lo
                                        ; implicit-def: $sgpr36
                                        ; implicit-def: $sgpr37
                                        ; implicit-def: $vgpr13
	s_delay_alu instid0(VALU_DEP_1) | instskip(NEXT) | instid1(VALU_DEP_1)
	v_mul_lo_u32 v0, v12, v10
	v_add_co_u32 v0, s0, v3, v0
	s_delay_alu instid0(VALU_DEP_1)
	v_add_co_ci_u32_e64 v1, s0, 0, v4, s0
	v_cmpx_lt_i16_e32 10, v2
	s_xor_b32 s41, exec_lo, s41
	s_cbranch_execnz .LBB25_2227
; %bb.2109:                             ;   in Loop: Header=BB25_17 Depth=1
	s_and_not1_saveexec_b32 s41, s41
	s_cbranch_execnz .LBB25_2286
.LBB25_2110:                            ;   in Loop: Header=BB25_17 Depth=1
	s_or_b32 exec_lo, exec_lo, s41
	s_mov_b32 s0, 0
	s_and_saveexec_b32 s41, s42
	s_cbranch_execnz .LBB25_2327
	s_branch .LBB25_2332
.LBB25_2111:                            ;   in Loop: Header=BB25_17 Depth=1
	s_mov_b32 vcc_hi, -1
	s_mov_b32 s34, exec_lo
                                        ; implicit-def: $sgpr30
	v_cmpx_eq_u16_e32 0x80, v0
; %bb.2112:                             ;   in Loop: Header=BB25_17 Depth=1
	s_mov_b32 s30, 0x7f800001
	s_xor_b32 vcc_hi, exec_lo, -1
; %bb.2113:                             ;   in Loop: Header=BB25_17 Depth=1
	s_or_b32 exec_lo, exec_lo, s34
	s_delay_alu instid0(SALU_CYCLE_1)
	s_and_b32 vcc_hi, vcc_hi, exec_lo
	s_or_saveexec_b32 s31, s31
	v_mov_b32_e32 v12, s30
	s_xor_b32 exec_lo, exec_lo, s31
	s_cbranch_execz .LBB25_1030
.LBB25_2114:                            ;   in Loop: Header=BB25_17 Depth=1
	v_cmp_ne_u16_e64 s0, 0, v0
	v_mov_b32_e32 v12, 0
	s_and_not1_b32 vcc_hi, vcc_hi, exec_lo
	s_delay_alu instid0(VALU_DEP_2) | instskip(NEXT) | instid1(SALU_CYCLE_1)
	s_and_b32 s0, s0, exec_lo
	s_or_b32 vcc_hi, vcc_hi, s0
	s_or_b32 exec_lo, exec_lo, s31
	s_and_saveexec_b32 s30, vcc_hi
	s_cbranch_execnz .LBB25_1031
	s_branch .LBB25_1032
.LBB25_2115:                            ;   in Loop: Header=BB25_17 Depth=1
	s_mov_b32 vcc_hi, -1
	s_mov_b32 s34, exec_lo
                                        ; implicit-def: $sgpr30
	v_cmpx_eq_u16_e32 0x80, v0
; %bb.2116:                             ;   in Loop: Header=BB25_17 Depth=1
	s_mov_b32 s30, 0x7f800001
	s_xor_b32 vcc_hi, exec_lo, -1
; %bb.2117:                             ;   in Loop: Header=BB25_17 Depth=1
	s_or_b32 exec_lo, exec_lo, s34
	s_delay_alu instid0(SALU_CYCLE_1)
	s_and_b32 vcc_hi, vcc_hi, exec_lo
	s_or_saveexec_b32 s31, s31
	v_mov_b32_e32 v13, s30
	s_xor_b32 exec_lo, exec_lo, s31
	s_cbranch_execz .LBB25_1130
.LBB25_2118:                            ;   in Loop: Header=BB25_17 Depth=1
	v_cmp_ne_u16_e64 s0, 0, v0
	v_mov_b32_e32 v13, 0
	s_and_not1_b32 vcc_hi, vcc_hi, exec_lo
	s_delay_alu instid0(VALU_DEP_2) | instskip(NEXT) | instid1(SALU_CYCLE_1)
	s_and_b32 s0, s0, exec_lo
	s_or_b32 vcc_hi, vcc_hi, s0
	s_or_b32 exec_lo, exec_lo, s31
	s_and_saveexec_b32 s30, vcc_hi
	s_cbranch_execnz .LBB25_1131
	s_branch .LBB25_1132
.LBB25_2119:                            ;   in Loop: Header=BB25_17 Depth=1
	s_mov_b32 s31, -1
	s_mov_b32 s36, exec_lo
                                        ; implicit-def: $sgpr34
	v_cmpx_eq_u16_e32 0x80, v0
; %bb.2120:                             ;   in Loop: Header=BB25_17 Depth=1
	s_mov_b32 s34, 0x7f800001
	s_xor_b32 s31, exec_lo, -1
; %bb.2121:                             ;   in Loop: Header=BB25_17 Depth=1
	s_or_b32 exec_lo, exec_lo, s36
	s_delay_alu instid0(SALU_CYCLE_1)
	s_and_b32 s31, s31, exec_lo
	s_or_saveexec_b32 s35, s35
	v_mov_b32_e32 v12, s34
	s_xor_b32 exec_lo, exec_lo, s35
	s_cbranch_execz .LBB25_1246
.LBB25_2122:                            ;   in Loop: Header=BB25_17 Depth=1
	v_cmp_ne_u16_e64 s0, 0, v0
	v_mov_b32_e32 v12, 0
	s_and_not1_b32 s31, s31, exec_lo
	s_delay_alu instid0(VALU_DEP_2) | instskip(NEXT) | instid1(SALU_CYCLE_1)
	s_and_b32 s0, s0, exec_lo
	s_or_b32 s31, s31, s0
	s_or_b32 exec_lo, exec_lo, s35
	s_and_saveexec_b32 s34, s31
	s_cbranch_execnz .LBB25_1247
	s_branch .LBB25_1248
.LBB25_2123:                            ;   in Loop: Header=BB25_17 Depth=1
	s_mov_b32 s31, -1
	s_mov_b32 s36, exec_lo
                                        ; implicit-def: $sgpr34
	v_cmpx_eq_u16_e32 0x80, v0
; %bb.2124:                             ;   in Loop: Header=BB25_17 Depth=1
	s_mov_b32 s34, 0x7f800001
	s_xor_b32 s31, exec_lo, -1
; %bb.2125:                             ;   in Loop: Header=BB25_17 Depth=1
	s_or_b32 exec_lo, exec_lo, s36
	s_delay_alu instid0(SALU_CYCLE_1)
	s_and_b32 s31, s31, exec_lo
	s_or_saveexec_b32 s35, s35
	v_mov_b32_e32 v13, s34
	s_xor_b32 exec_lo, exec_lo, s35
	s_cbranch_execz .LBB25_1346
.LBB25_2126:                            ;   in Loop: Header=BB25_17 Depth=1
	v_cmp_ne_u16_e64 s0, 0, v0
	v_mov_b32_e32 v13, 0
	s_and_not1_b32 s31, s31, exec_lo
	s_delay_alu instid0(VALU_DEP_2) | instskip(NEXT) | instid1(SALU_CYCLE_1)
	s_and_b32 s0, s0, exec_lo
	s_or_b32 s31, s31, s0
	s_or_b32 exec_lo, exec_lo, s35
	s_and_saveexec_b32 s34, s31
	s_cbranch_execnz .LBB25_1347
	s_branch .LBB25_1348
.LBB25_2127:                            ;   in Loop: Header=BB25_17 Depth=1
	s_mov_b32 s40, exec_lo
                                        ; implicit-def: $sgpr43
                                        ; implicit-def: $sgpr41
                                        ; implicit-def: $vgpr12
	v_cmpx_lt_i16_e32 25, v13
	s_xor_b32 s40, exec_lo, s40
	s_cbranch_execz .LBB25_2159
; %bb.2128:                             ;   in Loop: Header=BB25_17 Depth=1
	s_mov_b32 s41, exec_lo
                                        ; implicit-def: $sgpr43
                                        ; implicit-def: $sgpr44
                                        ; implicit-def: $vgpr12
	v_cmpx_lt_i16_e32 28, v13
	s_xor_b32 s41, exec_lo, s41
	s_cbranch_execz .LBB25_2144
; %bb.2129:                             ;   in Loop: Header=BB25_17 Depth=1
	s_mov_b32 s45, 0
	s_mov_b32 s42, exec_lo
                                        ; implicit-def: $sgpr43
                                        ; implicit-def: $sgpr44
                                        ; implicit-def: $vgpr12
	v_cmpx_lt_i16_e32 43, v13
	s_xor_b32 s42, exec_lo, s42
	s_cbranch_execz .LBB25_2139
; %bb.2130:                             ;   in Loop: Header=BB25_17 Depth=1
	s_mov_b32 s46, exec_lo
                                        ; implicit-def: $sgpr44
                                        ; implicit-def: $sgpr43
                                        ; implicit-def: $vgpr12
	v_cmpx_lt_i16_e32 45, v13
	s_xor_b32 s46, exec_lo, s46
	s_cbranch_execz .LBB25_2134
; %bb.2131:                             ;   in Loop: Header=BB25_17 Depth=1
	s_mov_b32 s43, 0
	s_mov_b32 s44, exec_lo
                                        ; implicit-def: $vgpr12
	v_cmpx_eq_u16_e32 46, v13
	s_cbranch_execz .LBB25_2133
; %bb.2132:                             ;   in Loop: Header=BB25_17 Depth=1
	flat_load_b32 v0, v[0:1]
	s_mov_b32 s45, exec_lo
	s_waitcnt vmcnt(0) lgkmcnt(0)
	v_lshlrev_b32_e32 v12, 16, v0
.LBB25_2133:                            ;   in Loop: Header=BB25_17 Depth=1
	s_or_b32 exec_lo, exec_lo, s44
	s_mov_b32 s44, -1
	s_and_b32 s45, s45, exec_lo
                                        ; implicit-def: $vgpr13
                                        ; implicit-def: $vgpr0_vgpr1
.LBB25_2134:                            ;   in Loop: Header=BB25_17 Depth=1
	s_and_not1_saveexec_b32 s46, s46
	s_cbranch_execz .LBB25_2138
; %bb.2135:                             ;   in Loop: Header=BB25_17 Depth=1
	s_mov_b32 s48, s45
	s_mov_b32 s47, exec_lo
                                        ; implicit-def: $vgpr12
	v_cmpx_eq_u16_e32 44, v13
	s_cbranch_execz .LBB25_2137
; %bb.2136:                             ;   in Loop: Header=BB25_17 Depth=1
	flat_load_u8 v0, v[0:1]
	s_or_b32 s48, s45, exec_lo
	s_waitcnt vmcnt(0) lgkmcnt(0)
	v_lshlrev_b32_e32 v1, 23, v0
	v_cmp_ne_u32_e64 s0, 0xff, v0
	s_delay_alu instid0(VALU_DEP_1) | instskip(SKIP_1) | instid1(VALU_DEP_1)
	v_cndmask_b32_e64 v1, 0x7f800001, v1, s0
	v_cmp_ne_u32_e64 s0, 0, v0
	v_cndmask_b32_e64 v12, 0x400000, v1, s0
.LBB25_2137:                            ;   in Loop: Header=BB25_17 Depth=1
	s_or_b32 exec_lo, exec_lo, s47
	s_delay_alu instid0(SALU_CYCLE_1)
	s_and_not1_b32 s0, s45, exec_lo
	s_and_b32 s45, s48, exec_lo
	s_or_b32 s44, s44, exec_lo
	s_and_not1_b32 s43, s43, exec_lo
	s_or_b32 s45, s0, s45
.LBB25_2138:                            ;   in Loop: Header=BB25_17 Depth=1
	s_or_b32 exec_lo, exec_lo, s46
	s_delay_alu instid0(SALU_CYCLE_1)
	s_and_b32 s44, s44, exec_lo
	s_and_b32 s43, s43, exec_lo
	;; [unrolled: 1-line block ×3, first 2 shown]
                                        ; implicit-def: $vgpr13
                                        ; implicit-def: $vgpr0_vgpr1
.LBB25_2139:                            ;   in Loop: Header=BB25_17 Depth=1
	s_and_not1_saveexec_b32 s42, s42
	s_cbranch_execz .LBB25_2143
; %bb.2140:                             ;   in Loop: Header=BB25_17 Depth=1
	s_mov_b32 s47, s45
	s_mov_b32 s46, exec_lo
                                        ; implicit-def: $vgpr12
	v_cmpx_eq_u16_e32 29, v13
	s_cbranch_execz .LBB25_2142
; %bb.2141:                             ;   in Loop: Header=BB25_17 Depth=1
	flat_load_b64 v[0:1], v[0:1]
	s_or_b32 s47, s45, exec_lo
	s_waitcnt vmcnt(0) lgkmcnt(0)
	v_clz_i32_u32_e32 v12, v1
	s_delay_alu instid0(VALU_DEP_1) | instskip(NEXT) | instid1(VALU_DEP_1)
	v_min_u32_e32 v12, 32, v12
	v_lshlrev_b64 v[0:1], v12, v[0:1]
	s_delay_alu instid0(VALU_DEP_1) | instskip(NEXT) | instid1(VALU_DEP_1)
	v_min_u32_e32 v0, 1, v0
	v_or_b32_e32 v0, v1, v0
	v_sub_nc_u32_e32 v1, 32, v12
	s_delay_alu instid0(VALU_DEP_2) | instskip(NEXT) | instid1(VALU_DEP_1)
	v_cvt_f32_u32_e32 v0, v0
	v_ldexp_f32 v12, v0, v1
.LBB25_2142:                            ;   in Loop: Header=BB25_17 Depth=1
	s_or_b32 exec_lo, exec_lo, s46
	s_delay_alu instid0(SALU_CYCLE_1)
	s_and_not1_b32 s0, s45, exec_lo
	s_and_b32 s45, s47, exec_lo
	s_or_b32 s44, s44, exec_lo
	s_and_not1_b32 s43, s43, exec_lo
	s_or_b32 s45, s0, s45
.LBB25_2143:                            ;   in Loop: Header=BB25_17 Depth=1
	s_or_b32 exec_lo, exec_lo, s42
	s_delay_alu instid0(SALU_CYCLE_1)
	s_and_b32 s44, s44, exec_lo
	s_and_b32 s43, s43, exec_lo
	;; [unrolled: 1-line block ×3, first 2 shown]
                                        ; implicit-def: $vgpr13
                                        ; implicit-def: $vgpr0_vgpr1
.LBB25_2144:                            ;   in Loop: Header=BB25_17 Depth=1
	s_and_not1_saveexec_b32 s41, s41
	s_cbranch_execz .LBB25_2158
; %bb.2145:                             ;   in Loop: Header=BB25_17 Depth=1
	s_mov_b32 s45, exec_lo
                                        ; implicit-def: $vgpr12
	v_cmpx_lt_i16_e32 26, v13
	s_xor_b32 s45, exec_lo, s45
	s_cbranch_execz .LBB25_2151
; %bb.2146:                             ;   in Loop: Header=BB25_17 Depth=1
	v_cmp_lt_i16_e64 s0, 27, v13
                                        ; implicit-def: $vgpr12
	s_delay_alu instid0(VALU_DEP_1) | instskip(NEXT) | instid1(SALU_CYCLE_1)
	s_and_saveexec_b32 s46, s0
	s_xor_b32 s0, exec_lo, s46
	s_cbranch_execz .LBB25_2148
; %bb.2147:                             ;   in Loop: Header=BB25_17 Depth=1
	flat_load_b32 v0, v[0:1]
	s_waitcnt vmcnt(0) lgkmcnt(0)
	v_cvt_f32_u32_e32 v12, v0
                                        ; implicit-def: $vgpr0_vgpr1
.LBB25_2148:                            ;   in Loop: Header=BB25_17 Depth=1
	s_and_not1_saveexec_b32 s0, s0
	s_cbranch_execz .LBB25_2150
; %bb.2149:                             ;   in Loop: Header=BB25_17 Depth=1
	flat_load_u16 v0, v[0:1]
	s_waitcnt vmcnt(0) lgkmcnt(0)
	v_cvt_f32_u32_e32 v12, v0
.LBB25_2150:                            ;   in Loop: Header=BB25_17 Depth=1
	s_or_b32 exec_lo, exec_lo, s0
                                        ; implicit-def: $vgpr0_vgpr1
.LBB25_2151:                            ;   in Loop: Header=BB25_17 Depth=1
	s_and_not1_saveexec_b32 s45, s45
	s_cbranch_execz .LBB25_2157
; %bb.2152:                             ;   in Loop: Header=BB25_17 Depth=1
	flat_load_u8 v0, v[0:1]
	s_mov_b32 s46, 0
	s_mov_b32 s48, exec_lo
                                        ; implicit-def: $sgpr47
	s_waitcnt vmcnt(0) lgkmcnt(0)
	v_cmpx_lt_i16_e32 0x7f, v0
	s_xor_b32 s48, exec_lo, s48
	s_cbranch_execnz .LBB25_3027
; %bb.2153:                             ;   in Loop: Header=BB25_17 Depth=1
	s_or_saveexec_b32 s48, s48
	v_mov_b32_e32 v12, s47
	s_xor_b32 exec_lo, exec_lo, s48
	s_cbranch_execnz .LBB25_3030
.LBB25_2154:                            ;   in Loop: Header=BB25_17 Depth=1
	s_or_b32 exec_lo, exec_lo, s48
	s_and_saveexec_b32 s47, s46
	s_cbranch_execz .LBB25_2156
.LBB25_2155:                            ;   in Loop: Header=BB25_17 Depth=1
	v_and_b32_e32 v1, 0xffff, v0
	v_lshlrev_b32_e32 v0, 24, v0
	s_delay_alu instid0(VALU_DEP_2) | instskip(NEXT) | instid1(VALU_DEP_2)
	v_and_b32_e32 v12, 7, v1
	v_and_b32_e32 v0, 0x80000000, v0
	s_delay_alu instid0(VALU_DEP_2) | instskip(NEXT) | instid1(VALU_DEP_1)
	v_clz_i32_u32_e32 v13, v12
	v_min_u32_e32 v13, 32, v13
	s_delay_alu instid0(VALU_DEP_1) | instskip(SKIP_1) | instid1(VALU_DEP_2)
	v_subrev_nc_u32_e32 v14, 28, v13
	v_sub_nc_u32_e32 v13, 29, v13
	v_lshlrev_b32_e32 v14, v14, v1
	v_bfe_u32 v1, v1, 3, 4
	s_delay_alu instid0(VALU_DEP_2) | instskip(NEXT) | instid1(VALU_DEP_2)
	v_and_b32_e32 v14, 7, v14
	v_cmp_eq_u32_e64 s0, 0, v1
	s_delay_alu instid0(VALU_DEP_1) | instskip(NEXT) | instid1(VALU_DEP_3)
	v_cndmask_b32_e64 v1, v1, v13, s0
	v_cndmask_b32_e64 v12, v12, v14, s0
	s_delay_alu instid0(VALU_DEP_2) | instskip(NEXT) | instid1(VALU_DEP_2)
	v_lshl_add_u32 v1, v1, 23, 0x3b800000
	v_lshlrev_b32_e32 v12, 20, v12
	s_delay_alu instid0(VALU_DEP_1)
	v_or3_b32 v12, v0, v1, v12
.LBB25_2156:                            ;   in Loop: Header=BB25_17 Depth=1
	s_or_b32 exec_lo, exec_lo, s47
.LBB25_2157:                            ;   in Loop: Header=BB25_17 Depth=1
	s_delay_alu instid0(SALU_CYCLE_1) | instskip(NEXT) | instid1(SALU_CYCLE_1)
	s_or_b32 exec_lo, exec_lo, s45
	s_and_not1_b32 s44, s44, exec_lo
	s_and_not1_b32 s43, s43, exec_lo
	s_or_b32 s42, s42, exec_lo
.LBB25_2158:                            ;   in Loop: Header=BB25_17 Depth=1
	s_or_b32 exec_lo, exec_lo, s41
	s_delay_alu instid0(SALU_CYCLE_1)
	s_and_b32 s41, s44, exec_lo
	s_and_b32 s43, s43, exec_lo
	;; [unrolled: 1-line block ×3, first 2 shown]
                                        ; implicit-def: $vgpr13
                                        ; implicit-def: $vgpr0_vgpr1
.LBB25_2159:                            ;   in Loop: Header=BB25_17 Depth=1
	s_and_not1_saveexec_b32 s40, s40
	s_cbranch_execz .LBB25_2185
; %bb.2160:                             ;   in Loop: Header=BB25_17 Depth=1
	s_mov_b32 s45, s42
	s_mov_b32 s44, exec_lo
                                        ; implicit-def: $vgpr12
	v_cmpx_lt_i16_e32 22, v13
	s_xor_b32 s44, exec_lo, s44
	s_cbranch_execz .LBB25_2174
; %bb.2161:                             ;   in Loop: Header=BB25_17 Depth=1
	s_mov_b32 s45, exec_lo
                                        ; implicit-def: $vgpr12
	v_cmpx_lt_i16_e32 23, v13
	s_xor_b32 s45, exec_lo, s45
	s_cbranch_execz .LBB25_2171
; %bb.2162:                             ;   in Loop: Header=BB25_17 Depth=1
	;; [unrolled: 6-line block ×3, first 2 shown]
	flat_load_u8 v0, v[0:1]
	s_mov_b32 s47, 0
	s_mov_b32 s49, exec_lo
                                        ; implicit-def: $sgpr48
	s_waitcnt vmcnt(0) lgkmcnt(0)
	v_cmpx_lt_i16_e32 0x7f, v0
	s_xor_b32 s49, exec_lo, s49
	s_cbranch_execnz .LBB25_3246
; %bb.2164:                             ;   in Loop: Header=BB25_17 Depth=1
	s_or_saveexec_b32 s49, s49
	v_mov_b32_e32 v12, s48
	s_xor_b32 exec_lo, exec_lo, s49
	s_cbranch_execnz .LBB25_3249
.LBB25_2165:                            ;   in Loop: Header=BB25_17 Depth=1
	s_or_b32 exec_lo, exec_lo, s49
	s_and_saveexec_b32 s48, s47
	s_cbranch_execz .LBB25_2167
.LBB25_2166:                            ;   in Loop: Header=BB25_17 Depth=1
	v_and_b32_e32 v1, 0xffff, v0
	v_lshlrev_b32_e32 v0, 24, v0
	s_delay_alu instid0(VALU_DEP_2) | instskip(NEXT) | instid1(VALU_DEP_2)
	v_and_b32_e32 v12, 3, v1
	v_and_b32_e32 v0, 0x80000000, v0
	s_delay_alu instid0(VALU_DEP_2) | instskip(NEXT) | instid1(VALU_DEP_1)
	v_clz_i32_u32_e32 v13, v12
	v_min_u32_e32 v13, 32, v13
	s_delay_alu instid0(VALU_DEP_1) | instskip(SKIP_1) | instid1(VALU_DEP_2)
	v_subrev_nc_u32_e32 v14, 29, v13
	v_sub_nc_u32_e32 v13, 30, v13
	v_lshlrev_b32_e32 v14, v14, v1
	v_bfe_u32 v1, v1, 2, 5
	s_delay_alu instid0(VALU_DEP_2) | instskip(NEXT) | instid1(VALU_DEP_2)
	v_and_b32_e32 v14, 3, v14
	v_cmp_eq_u32_e64 s0, 0, v1
	s_delay_alu instid0(VALU_DEP_1) | instskip(NEXT) | instid1(VALU_DEP_3)
	v_cndmask_b32_e64 v1, v1, v13, s0
	v_cndmask_b32_e64 v12, v12, v14, s0
	s_delay_alu instid0(VALU_DEP_2) | instskip(NEXT) | instid1(VALU_DEP_2)
	v_lshl_add_u32 v1, v1, 23, 0x37800000
	v_lshlrev_b32_e32 v12, 21, v12
	s_delay_alu instid0(VALU_DEP_1)
	v_or3_b32 v12, v0, v1, v12
.LBB25_2167:                            ;   in Loop: Header=BB25_17 Depth=1
	s_or_b32 exec_lo, exec_lo, s48
                                        ; implicit-def: $vgpr0_vgpr1
.LBB25_2168:                            ;   in Loop: Header=BB25_17 Depth=1
	s_and_not1_saveexec_b32 s46, s46
	s_cbranch_execz .LBB25_2170
; %bb.2169:                             ;   in Loop: Header=BB25_17 Depth=1
	flat_load_u8 v0, v[0:1]
	s_waitcnt vmcnt(0) lgkmcnt(0)
	v_lshlrev_b32_e32 v0, 24, v0
	s_delay_alu instid0(VALU_DEP_1) | instskip(NEXT) | instid1(VALU_DEP_1)
	v_and_b32_e32 v1, 0x7f000000, v0
	v_clz_i32_u32_e32 v12, v1
	v_add_nc_u32_e32 v14, 0x1000000, v1
	v_cmp_ne_u32_e64 s0, 0, v1
	s_delay_alu instid0(VALU_DEP_3) | instskip(NEXT) | instid1(VALU_DEP_1)
	v_min_u32_e32 v12, 32, v12
	v_sub_nc_u32_e64 v12, v12, 4 clamp
	s_delay_alu instid0(VALU_DEP_1) | instskip(SKIP_1) | instid1(VALU_DEP_2)
	v_lshlrev_b32_e32 v13, v12, v1
	v_lshlrev_b32_e32 v12, 23, v12
	v_lshrrev_b32_e32 v13, 4, v13
	s_delay_alu instid0(VALU_DEP_1) | instskip(SKIP_1) | instid1(VALU_DEP_2)
	v_sub_nc_u32_e32 v12, v13, v12
	v_ashrrev_i32_e32 v13, 8, v14
	v_add_nc_u32_e32 v12, 0x3c000000, v12
	s_delay_alu instid0(VALU_DEP_1) | instskip(NEXT) | instid1(VALU_DEP_1)
	v_and_or_b32 v12, 0x7f800000, v13, v12
	v_cndmask_b32_e64 v1, 0, v12, s0
	s_delay_alu instid0(VALU_DEP_1)
	v_and_or_b32 v12, 0x80000000, v0, v1
.LBB25_2170:                            ;   in Loop: Header=BB25_17 Depth=1
	s_or_b32 exec_lo, exec_lo, s46
                                        ; implicit-def: $vgpr0_vgpr1
.LBB25_2171:                            ;   in Loop: Header=BB25_17 Depth=1
	s_and_not1_saveexec_b32 s45, s45
	s_cbranch_execz .LBB25_2173
; %bb.2172:                             ;   in Loop: Header=BB25_17 Depth=1
	flat_load_u8 v0, v[0:1]
	s_waitcnt vmcnt(0) lgkmcnt(0)
	v_lshlrev_b32_e32 v1, 25, v0
	v_lshlrev_b16 v0, 8, v0
	s_delay_alu instid0(VALU_DEP_2) | instskip(NEXT) | instid1(VALU_DEP_2)
	v_lshrrev_b32_e32 v12, 4, v1
	v_and_or_b32 v13, 0x7f00, v0, 0.5
	v_cmp_gt_u32_e64 s0, 0x8000000, v1
	v_bfe_i32 v0, v0, 0, 16
	s_delay_alu instid0(VALU_DEP_4) | instskip(NEXT) | instid1(VALU_DEP_1)
	v_or_b32_e32 v12, 0x70000000, v12
	v_dual_add_f32 v13, -0.5, v13 :: v_dual_mul_f32 v12, 0x7800000, v12
	s_delay_alu instid0(VALU_DEP_1) | instskip(NEXT) | instid1(VALU_DEP_1)
	v_cndmask_b32_e64 v1, v12, v13, s0
	v_and_or_b32 v12, 0x80000000, v0, v1
.LBB25_2173:                            ;   in Loop: Header=BB25_17 Depth=1
	s_or_b32 exec_lo, exec_lo, s45
	s_delay_alu instid0(SALU_CYCLE_1)
	s_or_b32 s45, s42, exec_lo
                                        ; implicit-def: $vgpr13
                                        ; implicit-def: $vgpr0_vgpr1
.LBB25_2174:                            ;   in Loop: Header=BB25_17 Depth=1
	s_or_saveexec_b32 s44, s44
                                        ; implicit-def: $sgpr46
                                        ; implicit-def: $sgpr0
	s_delay_alu instid0(SALU_CYCLE_1)
	s_xor_b32 exec_lo, exec_lo, s44
	s_cbranch_execz .LBB25_2184
; %bb.2175:                             ;   in Loop: Header=BB25_17 Depth=1
	s_mov_b32 s47, s45
	s_mov_b32 s49, exec_lo
                                        ; implicit-def: $sgpr48
                                        ; implicit-def: $sgpr46
                                        ; implicit-def: $vgpr12
	v_cmpx_lt_i16_e32 14, v13
	s_xor_b32 s49, exec_lo, s49
	s_cbranch_execz .LBB25_2179
; %bb.2176:                             ;   in Loop: Header=BB25_17 Depth=1
	s_mov_b32 s47, s45
	s_mov_b32 s46, exec_lo
                                        ; implicit-def: $vgpr12
	v_cmpx_eq_u16_e32 15, v13
	s_cbranch_execz .LBB25_2178
; %bb.2177:                             ;   in Loop: Header=BB25_17 Depth=1
	flat_load_u16 v0, v[0:1]
	s_or_b32 s47, s45, exec_lo
	s_waitcnt vmcnt(0) lgkmcnt(0)
	v_lshlrev_b32_e32 v12, 16, v0
.LBB25_2178:                            ;   in Loop: Header=BB25_17 Depth=1
	s_or_b32 exec_lo, exec_lo, s46
	s_delay_alu instid0(SALU_CYCLE_1)
	s_and_not1_b32 s0, s45, exec_lo
	s_and_b32 s47, s47, exec_lo
	s_mov_b32 s46, 0
	s_mov_b32 s48, -1
	s_or_b32 s47, s0, s47
                                        ; implicit-def: $vgpr13
                                        ; implicit-def: $vgpr0_vgpr1
.LBB25_2179:                            ;   in Loop: Header=BB25_17 Depth=1
	s_and_not1_saveexec_b32 s49, s49
	s_cbranch_execz .LBB25_2183
; %bb.2180:                             ;   in Loop: Header=BB25_17 Depth=1
	s_mov_b32 s50, s47
	s_mov_b32 s51, exec_lo
                                        ; implicit-def: $vgpr12
	v_cmpx_eq_u16_e32 11, v13
	s_cbranch_execz .LBB25_2182
; %bb.2181:                             ;   in Loop: Header=BB25_17 Depth=1
	flat_load_u8 v0, v[0:1]
	s_or_b32 s50, s47, exec_lo
	s_waitcnt vmcnt(0) lgkmcnt(0)
	v_cmp_ne_u16_e64 s0, 0, v0
	s_delay_alu instid0(VALU_DEP_1)
	v_cndmask_b32_e64 v12, 0, 1.0, s0
.LBB25_2182:                            ;   in Loop: Header=BB25_17 Depth=1
	s_or_b32 exec_lo, exec_lo, s51
	s_delay_alu instid0(SALU_CYCLE_1)
	s_and_not1_b32 s0, s47, exec_lo
	s_and_b32 s47, s50, exec_lo
	s_or_b32 s48, s48, exec_lo
	s_and_not1_b32 s46, s46, exec_lo
	s_or_b32 s47, s0, s47
.LBB25_2183:                            ;   in Loop: Header=BB25_17 Depth=1
	s_or_b32 exec_lo, exec_lo, s49
	s_delay_alu instid0(SALU_CYCLE_1)
	s_and_not1_b32 s45, s45, exec_lo
	s_and_b32 s47, s47, exec_lo
	s_and_b32 s0, s48, exec_lo
	;; [unrolled: 1-line block ×3, first 2 shown]
	s_or_b32 s45, s45, s47
.LBB25_2184:                            ;   in Loop: Header=BB25_17 Depth=1
	s_or_b32 exec_lo, exec_lo, s44
	s_delay_alu instid0(SALU_CYCLE_1)
	s_and_not1_b32 s41, s41, exec_lo
	s_and_b32 s0, s0, exec_lo
	s_and_not1_b32 s42, s42, exec_lo
	s_or_b32 s41, s41, s0
	s_and_not1_b32 s0, s43, exec_lo
	s_and_b32 s43, s46, exec_lo
	s_and_b32 s44, s45, exec_lo
	s_or_b32 s43, s0, s43
	s_or_b32 s42, s42, s44
.LBB25_2185:                            ;   in Loop: Header=BB25_17 Depth=1
	s_or_b32 exec_lo, exec_lo, s40
	s_delay_alu instid0(SALU_CYCLE_1)
	s_and_b32 s41, s41, exec_lo
	s_and_b32 s40, s43, exec_lo
	;; [unrolled: 1-line block ×3, first 2 shown]
                                        ; implicit-def: $vgpr13
                                        ; implicit-def: $vgpr0_vgpr1
	s_and_not1_saveexec_b32 s39, s39
	s_cbranch_execz .LBB25_2102
.LBB25_2186:                            ;   in Loop: Header=BB25_17 Depth=1
	s_mov_b32 s43, exec_lo
                                        ; implicit-def: $vgpr12
	v_cmpx_lt_i16_e32 4, v13
	s_xor_b32 s43, exec_lo, s43
	s_cbranch_execz .LBB25_2208
; %bb.2187:                             ;   in Loop: Header=BB25_17 Depth=1
	s_mov_b32 s44, exec_lo
                                        ; implicit-def: $vgpr12
	v_cmpx_lt_i16_e32 7, v13
	s_xor_b32 s44, exec_lo, s44
	s_cbranch_execz .LBB25_2197
; %bb.2188:                             ;   in Loop: Header=BB25_17 Depth=1
	;; [unrolled: 6-line block ×3, first 2 shown]
	v_cmp_lt_i16_e64 s0, 9, v13
                                        ; implicit-def: $vgpr12
	s_delay_alu instid0(VALU_DEP_1) | instskip(NEXT) | instid1(SALU_CYCLE_1)
	s_and_saveexec_b32 s46, s0
	s_xor_b32 s0, exec_lo, s46
	s_cbranch_execz .LBB25_2191
; %bb.2190:                             ;   in Loop: Header=BB25_17 Depth=1
	flat_load_b64 v[0:1], v[0:1]
	s_waitcnt vmcnt(0) lgkmcnt(0)
	v_cvt_f32_f64_e32 v12, v[0:1]
                                        ; implicit-def: $vgpr0_vgpr1
.LBB25_2191:                            ;   in Loop: Header=BB25_17 Depth=1
	s_and_not1_saveexec_b32 s0, s0
	s_cbranch_execz .LBB25_2193
; %bb.2192:                             ;   in Loop: Header=BB25_17 Depth=1
	flat_load_b32 v12, v[0:1]
.LBB25_2193:                            ;   in Loop: Header=BB25_17 Depth=1
	s_or_b32 exec_lo, exec_lo, s0
                                        ; implicit-def: $vgpr0_vgpr1
.LBB25_2194:                            ;   in Loop: Header=BB25_17 Depth=1
	s_and_not1_saveexec_b32 s0, s45
	s_cbranch_execz .LBB25_2196
; %bb.2195:                             ;   in Loop: Header=BB25_17 Depth=1
	flat_load_b32 v0, v[0:1]
	s_waitcnt vmcnt(0) lgkmcnt(0)
	v_cvt_f32_f16_e32 v12, v0
.LBB25_2196:                            ;   in Loop: Header=BB25_17 Depth=1
	s_or_b32 exec_lo, exec_lo, s0
                                        ; implicit-def: $vgpr0_vgpr1
                                        ; implicit-def: $vgpr13
.LBB25_2197:                            ;   in Loop: Header=BB25_17 Depth=1
	s_and_not1_saveexec_b32 s44, s44
	s_cbranch_execz .LBB25_2207
; %bb.2198:                             ;   in Loop: Header=BB25_17 Depth=1
	s_mov_b32 s45, exec_lo
                                        ; implicit-def: $vgpr12
	v_cmpx_lt_i16_e32 5, v13
	s_xor_b32 s45, exec_lo, s45
	s_cbranch_execz .LBB25_2204
; %bb.2199:                             ;   in Loop: Header=BB25_17 Depth=1
	v_cmp_lt_i16_e64 s0, 6, v13
                                        ; implicit-def: $vgpr12
	s_delay_alu instid0(VALU_DEP_1) | instskip(NEXT) | instid1(SALU_CYCLE_1)
	s_and_saveexec_b32 s46, s0
	s_xor_b32 s0, exec_lo, s46
	s_cbranch_execz .LBB25_2201
; %bb.2200:                             ;   in Loop: Header=BB25_17 Depth=1
	flat_load_b64 v[0:1], v[0:1]
	s_waitcnt vmcnt(0) lgkmcnt(0)
	v_cvt_f32_f64_e32 v12, v[0:1]
                                        ; implicit-def: $vgpr0_vgpr1
.LBB25_2201:                            ;   in Loop: Header=BB25_17 Depth=1
	s_and_not1_saveexec_b32 s0, s0
	s_cbranch_execz .LBB25_2203
; %bb.2202:                             ;   in Loop: Header=BB25_17 Depth=1
	s_waitcnt vmcnt(0) lgkmcnt(0)
	flat_load_b32 v12, v[0:1]
.LBB25_2203:                            ;   in Loop: Header=BB25_17 Depth=1
	s_or_b32 exec_lo, exec_lo, s0
                                        ; implicit-def: $vgpr0_vgpr1
.LBB25_2204:                            ;   in Loop: Header=BB25_17 Depth=1
	s_and_not1_saveexec_b32 s0, s45
	s_cbranch_execz .LBB25_2206
; %bb.2205:                             ;   in Loop: Header=BB25_17 Depth=1
	flat_load_u16 v0, v[0:1]
	s_waitcnt vmcnt(0) lgkmcnt(0)
	v_cvt_f32_f16_e32 v12, v0
.LBB25_2206:                            ;   in Loop: Header=BB25_17 Depth=1
	s_or_b32 exec_lo, exec_lo, s0
.LBB25_2207:                            ;   in Loop: Header=BB25_17 Depth=1
	s_delay_alu instid0(SALU_CYCLE_1)
	s_or_b32 exec_lo, exec_lo, s44
                                        ; implicit-def: $vgpr13
                                        ; implicit-def: $vgpr0_vgpr1
.LBB25_2208:                            ;   in Loop: Header=BB25_17 Depth=1
	s_and_not1_saveexec_b32 s43, s43
	s_cbranch_execz .LBB25_2226
; %bb.2209:                             ;   in Loop: Header=BB25_17 Depth=1
	s_mov_b32 s44, exec_lo
                                        ; implicit-def: $vgpr12
	v_cmpx_lt_i16_e32 1, v13
	s_xor_b32 s44, exec_lo, s44
	s_cbranch_execz .LBB25_2219
; %bb.2210:                             ;   in Loop: Header=BB25_17 Depth=1
	s_mov_b32 s45, exec_lo
                                        ; implicit-def: $vgpr12
	v_cmpx_lt_i16_e32 2, v13
	s_xor_b32 s45, exec_lo, s45
	s_cbranch_execz .LBB25_2216
; %bb.2211:                             ;   in Loop: Header=BB25_17 Depth=1
	v_cmp_lt_i16_e64 s0, 3, v13
                                        ; implicit-def: $vgpr12
	s_delay_alu instid0(VALU_DEP_1) | instskip(NEXT) | instid1(SALU_CYCLE_1)
	s_and_saveexec_b32 s46, s0
	s_xor_b32 s0, exec_lo, s46
	s_cbranch_execz .LBB25_2213
; %bb.2212:                             ;   in Loop: Header=BB25_17 Depth=1
	flat_load_b64 v[0:1], v[0:1]
	s_waitcnt vmcnt(0) lgkmcnt(0)
	v_xor_b32_e32 v12, v0, v1
	v_cls_i32_e32 v13, v1
	s_delay_alu instid0(VALU_DEP_2) | instskip(NEXT) | instid1(VALU_DEP_2)
	v_ashrrev_i32_e32 v12, 31, v12
	v_add_nc_u32_e32 v13, -1, v13
	s_delay_alu instid0(VALU_DEP_2) | instskip(NEXT) | instid1(VALU_DEP_1)
	v_add_nc_u32_e32 v12, 32, v12
	v_min_u32_e32 v12, v13, v12
	s_delay_alu instid0(VALU_DEP_1) | instskip(NEXT) | instid1(VALU_DEP_1)
	v_lshlrev_b64 v[0:1], v12, v[0:1]
	v_min_u32_e32 v0, 1, v0
	s_delay_alu instid0(VALU_DEP_1) | instskip(SKIP_1) | instid1(VALU_DEP_2)
	v_or_b32_e32 v0, v1, v0
	v_sub_nc_u32_e32 v1, 32, v12
	v_cvt_f32_i32_e32 v0, v0
	s_delay_alu instid0(VALU_DEP_1)
	v_ldexp_f32 v12, v0, v1
                                        ; implicit-def: $vgpr0_vgpr1
.LBB25_2213:                            ;   in Loop: Header=BB25_17 Depth=1
	s_and_not1_saveexec_b32 s0, s0
	s_cbranch_execz .LBB25_2215
; %bb.2214:                             ;   in Loop: Header=BB25_17 Depth=1
	flat_load_b32 v0, v[0:1]
	s_waitcnt vmcnt(0) lgkmcnt(0)
	v_cvt_f32_i32_e32 v12, v0
.LBB25_2215:                            ;   in Loop: Header=BB25_17 Depth=1
	s_or_b32 exec_lo, exec_lo, s0
                                        ; implicit-def: $vgpr0_vgpr1
.LBB25_2216:                            ;   in Loop: Header=BB25_17 Depth=1
	s_and_not1_saveexec_b32 s0, s45
	s_cbranch_execz .LBB25_2218
; %bb.2217:                             ;   in Loop: Header=BB25_17 Depth=1
	flat_load_i16 v0, v[0:1]
	s_waitcnt vmcnt(0) lgkmcnt(0)
	v_cvt_f32_i32_e32 v12, v0
.LBB25_2218:                            ;   in Loop: Header=BB25_17 Depth=1
	s_or_b32 exec_lo, exec_lo, s0
                                        ; implicit-def: $vgpr0_vgpr1
                                        ; implicit-def: $vgpr13
.LBB25_2219:                            ;   in Loop: Header=BB25_17 Depth=1
	s_and_not1_saveexec_b32 s44, s44
	s_cbranch_execz .LBB25_2225
; %bb.2220:                             ;   in Loop: Header=BB25_17 Depth=1
	v_cmp_lt_i16_e64 s0, 0, v13
                                        ; implicit-def: $vgpr12
	s_delay_alu instid0(VALU_DEP_1) | instskip(NEXT) | instid1(SALU_CYCLE_1)
	s_and_saveexec_b32 s45, s0
	s_xor_b32 s0, exec_lo, s45
	s_cbranch_execz .LBB25_2222
; %bb.2221:                             ;   in Loop: Header=BB25_17 Depth=1
	flat_load_i8 v0, v[0:1]
	s_waitcnt vmcnt(0) lgkmcnt(0)
	v_cvt_f32_i32_e32 v12, v0
                                        ; implicit-def: $vgpr0_vgpr1
.LBB25_2222:                            ;   in Loop: Header=BB25_17 Depth=1
	s_and_not1_saveexec_b32 s0, s0
	s_cbranch_execz .LBB25_2224
; %bb.2223:                             ;   in Loop: Header=BB25_17 Depth=1
	flat_load_u8 v0, v[0:1]
	s_waitcnt vmcnt(0) lgkmcnt(0)
	v_cvt_f32_ubyte0_e32 v12, v0
.LBB25_2224:                            ;   in Loop: Header=BB25_17 Depth=1
	s_or_b32 exec_lo, exec_lo, s0
.LBB25_2225:                            ;   in Loop: Header=BB25_17 Depth=1
	s_delay_alu instid0(SALU_CYCLE_1)
	s_or_b32 exec_lo, exec_lo, s44
.LBB25_2226:                            ;   in Loop: Header=BB25_17 Depth=1
	s_delay_alu instid0(SALU_CYCLE_1) | instskip(NEXT) | instid1(SALU_CYCLE_1)
	s_or_b32 exec_lo, exec_lo, s43
	s_and_not1_b32 s41, s41, exec_lo
	s_and_not1_b32 s40, s40, exec_lo
	s_or_b32 s42, s42, exec_lo
	s_or_b32 exec_lo, exec_lo, s39
	s_mov_b32 s0, 0
	s_and_saveexec_b32 s39, s42
	s_cbranch_execnz .LBB25_2103
	s_branch .LBB25_2104
.LBB25_2227:                            ;   in Loop: Header=BB25_17 Depth=1
	s_mov_b32 s36, exec_lo
                                        ; implicit-def: $sgpr43
                                        ; implicit-def: $sgpr37
                                        ; implicit-def: $vgpr13
	v_cmpx_lt_i16_e32 25, v2
	s_xor_b32 s36, exec_lo, s36
	s_cbranch_execz .LBB25_2259
; %bb.2228:                             ;   in Loop: Header=BB25_17 Depth=1
	s_mov_b32 s37, exec_lo
                                        ; implicit-def: $sgpr43
                                        ; implicit-def: $sgpr44
                                        ; implicit-def: $vgpr13
	v_cmpx_lt_i16_e32 28, v2
	s_xor_b32 s37, exec_lo, s37
	s_cbranch_execz .LBB25_2244
; %bb.2229:                             ;   in Loop: Header=BB25_17 Depth=1
	s_mov_b32 s45, 0
	s_mov_b32 s42, exec_lo
                                        ; implicit-def: $sgpr43
                                        ; implicit-def: $sgpr44
                                        ; implicit-def: $vgpr13
	v_cmpx_lt_i16_e32 43, v2
	s_xor_b32 s42, exec_lo, s42
	s_cbranch_execz .LBB25_2239
; %bb.2230:                             ;   in Loop: Header=BB25_17 Depth=1
	s_mov_b32 s44, exec_lo
                                        ; implicit-def: $sgpr43
                                        ; implicit-def: $sgpr46
                                        ; implicit-def: $vgpr13
	v_cmpx_lt_i16_e32 45, v2
	s_xor_b32 s44, exec_lo, s44
	s_cbranch_execz .LBB25_2234
; %bb.2231:                             ;   in Loop: Header=BB25_17 Depth=1
	s_mov_b32 s43, 0
	s_mov_b32 s46, exec_lo
                                        ; implicit-def: $vgpr13
	v_cmpx_eq_u16_e32 46, v2
	s_cbranch_execz .LBB25_2233
; %bb.2232:                             ;   in Loop: Header=BB25_17 Depth=1
	flat_load_b32 v0, v[0:1]
	s_mov_b32 s45, exec_lo
	s_waitcnt vmcnt(0) lgkmcnt(0)
	v_lshlrev_b32_e32 v13, 16, v0
.LBB25_2233:                            ;   in Loop: Header=BB25_17 Depth=1
	s_or_b32 exec_lo, exec_lo, s46
	s_mov_b32 s46, -1
	s_and_b32 s45, s45, exec_lo
                                        ; implicit-def: $vgpr0_vgpr1
.LBB25_2234:                            ;   in Loop: Header=BB25_17 Depth=1
	s_and_not1_saveexec_b32 s44, s44
	s_cbranch_execz .LBB25_2238
; %bb.2235:                             ;   in Loop: Header=BB25_17 Depth=1
	s_mov_b32 s48, s45
	s_mov_b32 s47, exec_lo
                                        ; implicit-def: $vgpr13
	v_cmpx_eq_u16_e32 44, v2
	s_cbranch_execz .LBB25_2237
; %bb.2236:                             ;   in Loop: Header=BB25_17 Depth=1
	flat_load_u8 v0, v[0:1]
	s_or_b32 s48, s45, exec_lo
	s_waitcnt vmcnt(0) lgkmcnt(0)
	v_lshlrev_b32_e32 v1, 23, v0
	v_cmp_ne_u32_e64 s0, 0xff, v0
	s_delay_alu instid0(VALU_DEP_1) | instskip(SKIP_1) | instid1(VALU_DEP_1)
	v_cndmask_b32_e64 v1, 0x7f800001, v1, s0
	v_cmp_ne_u32_e64 s0, 0, v0
	v_cndmask_b32_e64 v13, 0x400000, v1, s0
.LBB25_2237:                            ;   in Loop: Header=BB25_17 Depth=1
	s_or_b32 exec_lo, exec_lo, s47
	s_delay_alu instid0(SALU_CYCLE_1)
	s_and_not1_b32 s0, s45, exec_lo
	s_and_b32 s45, s48, exec_lo
	s_and_not1_b32 s43, s43, exec_lo
	s_or_b32 s46, s46, exec_lo
	s_or_b32 s45, s0, s45
.LBB25_2238:                            ;   in Loop: Header=BB25_17 Depth=1
	s_or_b32 exec_lo, exec_lo, s44
	s_delay_alu instid0(SALU_CYCLE_1)
	s_and_b32 s44, s43, exec_lo
	s_and_b32 s43, s46, exec_lo
	;; [unrolled: 1-line block ×3, first 2 shown]
                                        ; implicit-def: $vgpr0_vgpr1
.LBB25_2239:                            ;   in Loop: Header=BB25_17 Depth=1
	s_and_not1_saveexec_b32 s42, s42
	s_cbranch_execz .LBB25_2243
; %bb.2240:                             ;   in Loop: Header=BB25_17 Depth=1
	s_mov_b32 s47, s45
	s_mov_b32 s46, exec_lo
                                        ; implicit-def: $vgpr13
	v_cmpx_eq_u16_e32 29, v2
	s_cbranch_execz .LBB25_2242
; %bb.2241:                             ;   in Loop: Header=BB25_17 Depth=1
	flat_load_b64 v[0:1], v[0:1]
	s_or_b32 s47, s45, exec_lo
	s_waitcnt vmcnt(0) lgkmcnt(0)
	v_clz_i32_u32_e32 v8, v1
	s_delay_alu instid0(VALU_DEP_1) | instskip(NEXT) | instid1(VALU_DEP_1)
	v_min_u32_e32 v8, 32, v8
	v_lshlrev_b64 v[0:1], v8, v[0:1]
	s_delay_alu instid0(VALU_DEP_1) | instskip(NEXT) | instid1(VALU_DEP_1)
	v_min_u32_e32 v0, 1, v0
	v_or_b32_e32 v0, v1, v0
	v_sub_nc_u32_e32 v1, 32, v8
	s_delay_alu instid0(VALU_DEP_2) | instskip(NEXT) | instid1(VALU_DEP_1)
	v_cvt_f32_u32_e32 v0, v0
	v_ldexp_f32 v13, v0, v1
.LBB25_2242:                            ;   in Loop: Header=BB25_17 Depth=1
	s_or_b32 exec_lo, exec_lo, s46
	s_delay_alu instid0(SALU_CYCLE_1)
	s_and_not1_b32 s0, s45, exec_lo
	s_and_b32 s45, s47, exec_lo
	s_and_not1_b32 s44, s44, exec_lo
	s_or_b32 s43, s43, exec_lo
	s_or_b32 s45, s0, s45
.LBB25_2243:                            ;   in Loop: Header=BB25_17 Depth=1
	s_or_b32 exec_lo, exec_lo, s42
	s_delay_alu instid0(SALU_CYCLE_1)
	s_and_b32 s44, s44, exec_lo
	s_and_b32 s43, s43, exec_lo
	;; [unrolled: 1-line block ×3, first 2 shown]
                                        ; implicit-def: $vgpr0_vgpr1
.LBB25_2244:                            ;   in Loop: Header=BB25_17 Depth=1
	s_and_not1_saveexec_b32 s37, s37
	s_cbranch_execz .LBB25_2258
; %bb.2245:                             ;   in Loop: Header=BB25_17 Depth=1
	s_mov_b32 s45, exec_lo
                                        ; implicit-def: $vgpr13
	v_cmpx_lt_i16_e32 26, v2
	s_xor_b32 s45, exec_lo, s45
	s_cbranch_execz .LBB25_2251
; %bb.2246:                             ;   in Loop: Header=BB25_17 Depth=1
	v_cmp_lt_i16_e64 s0, 27, v2
                                        ; implicit-def: $vgpr13
	s_delay_alu instid0(VALU_DEP_1) | instskip(NEXT) | instid1(SALU_CYCLE_1)
	s_and_saveexec_b32 s46, s0
	s_xor_b32 s0, exec_lo, s46
	s_cbranch_execz .LBB25_2248
; %bb.2247:                             ;   in Loop: Header=BB25_17 Depth=1
	flat_load_b32 v0, v[0:1]
	s_waitcnt vmcnt(0) lgkmcnt(0)
	v_cvt_f32_u32_e32 v13, v0
                                        ; implicit-def: $vgpr0_vgpr1
.LBB25_2248:                            ;   in Loop: Header=BB25_17 Depth=1
	s_and_not1_saveexec_b32 s0, s0
	s_cbranch_execz .LBB25_2250
; %bb.2249:                             ;   in Loop: Header=BB25_17 Depth=1
	flat_load_u16 v0, v[0:1]
	s_waitcnt vmcnt(0) lgkmcnt(0)
	v_cvt_f32_u32_e32 v13, v0
.LBB25_2250:                            ;   in Loop: Header=BB25_17 Depth=1
	s_or_b32 exec_lo, exec_lo, s0
                                        ; implicit-def: $vgpr0_vgpr1
.LBB25_2251:                            ;   in Loop: Header=BB25_17 Depth=1
	s_and_not1_saveexec_b32 s45, s45
	s_cbranch_execz .LBB25_2257
; %bb.2252:                             ;   in Loop: Header=BB25_17 Depth=1
	flat_load_u8 v0, v[0:1]
	s_mov_b32 s46, 0
	s_mov_b32 s48, exec_lo
                                        ; implicit-def: $sgpr47
	s_waitcnt vmcnt(0) lgkmcnt(0)
	v_cmpx_lt_i16_e32 0x7f, v0
	s_xor_b32 s48, exec_lo, s48
	s_cbranch_execnz .LBB25_3031
; %bb.2253:                             ;   in Loop: Header=BB25_17 Depth=1
	s_or_saveexec_b32 s48, s48
	v_mov_b32_e32 v13, s47
	s_xor_b32 exec_lo, exec_lo, s48
	s_cbranch_execnz .LBB25_3034
.LBB25_2254:                            ;   in Loop: Header=BB25_17 Depth=1
	s_or_b32 exec_lo, exec_lo, s48
	s_and_saveexec_b32 s47, s46
	s_cbranch_execz .LBB25_2256
.LBB25_2255:                            ;   in Loop: Header=BB25_17 Depth=1
	v_and_b32_e32 v1, 0xffff, v0
	v_lshlrev_b32_e32 v0, 24, v0
	s_delay_alu instid0(VALU_DEP_2) | instskip(NEXT) | instid1(VALU_DEP_2)
	v_and_b32_e32 v8, 7, v1
	v_and_b32_e32 v0, 0x80000000, v0
	s_delay_alu instid0(VALU_DEP_2) | instskip(NEXT) | instid1(VALU_DEP_1)
	v_clz_i32_u32_e32 v13, v8
	v_min_u32_e32 v13, 32, v13
	s_delay_alu instid0(VALU_DEP_1) | instskip(SKIP_1) | instid1(VALU_DEP_2)
	v_subrev_nc_u32_e32 v14, 28, v13
	v_sub_nc_u32_e32 v13, 29, v13
	v_lshlrev_b32_e32 v14, v14, v1
	v_bfe_u32 v1, v1, 3, 4
	s_delay_alu instid0(VALU_DEP_2) | instskip(NEXT) | instid1(VALU_DEP_2)
	v_and_b32_e32 v14, 7, v14
	v_cmp_eq_u32_e64 s0, 0, v1
	s_delay_alu instid0(VALU_DEP_1) | instskip(NEXT) | instid1(VALU_DEP_3)
	v_cndmask_b32_e64 v1, v1, v13, s0
	v_cndmask_b32_e64 v8, v8, v14, s0
	s_delay_alu instid0(VALU_DEP_2) | instskip(NEXT) | instid1(VALU_DEP_2)
	v_lshl_add_u32 v1, v1, 23, 0x3b800000
	v_lshlrev_b32_e32 v8, 20, v8
	s_delay_alu instid0(VALU_DEP_1)
	v_or3_b32 v13, v0, v1, v8
.LBB25_2256:                            ;   in Loop: Header=BB25_17 Depth=1
	s_or_b32 exec_lo, exec_lo, s47
.LBB25_2257:                            ;   in Loop: Header=BB25_17 Depth=1
	s_delay_alu instid0(SALU_CYCLE_1) | instskip(NEXT) | instid1(SALU_CYCLE_1)
	s_or_b32 exec_lo, exec_lo, s45
	s_and_not1_b32 s44, s44, exec_lo
	s_and_not1_b32 s43, s43, exec_lo
	s_or_b32 s42, s42, exec_lo
.LBB25_2258:                            ;   in Loop: Header=BB25_17 Depth=1
	s_or_b32 exec_lo, exec_lo, s37
	s_delay_alu instid0(SALU_CYCLE_1)
	s_and_b32 s37, s44, exec_lo
	s_and_b32 s43, s43, exec_lo
	;; [unrolled: 1-line block ×3, first 2 shown]
                                        ; implicit-def: $vgpr0_vgpr1
.LBB25_2259:                            ;   in Loop: Header=BB25_17 Depth=1
	s_and_not1_saveexec_b32 s36, s36
	s_cbranch_execz .LBB25_2285
; %bb.2260:                             ;   in Loop: Header=BB25_17 Depth=1
	s_mov_b32 s45, s42
	s_mov_b32 s44, exec_lo
                                        ; implicit-def: $vgpr13
	v_cmpx_lt_i16_e32 22, v2
	s_xor_b32 s44, exec_lo, s44
	s_cbranch_execz .LBB25_2274
; %bb.2261:                             ;   in Loop: Header=BB25_17 Depth=1
	s_mov_b32 s45, exec_lo
                                        ; implicit-def: $vgpr13
	v_cmpx_lt_i16_e32 23, v2
	s_xor_b32 s45, exec_lo, s45
	s_cbranch_execz .LBB25_2271
; %bb.2262:                             ;   in Loop: Header=BB25_17 Depth=1
	;; [unrolled: 6-line block ×3, first 2 shown]
	flat_load_u8 v0, v[0:1]
	s_mov_b32 s47, 0
	s_mov_b32 s49, exec_lo
                                        ; implicit-def: $sgpr48
	s_waitcnt vmcnt(0) lgkmcnt(0)
	v_cmpx_lt_i16_e32 0x7f, v0
	s_xor_b32 s49, exec_lo, s49
	s_cbranch_execnz .LBB25_3250
; %bb.2264:                             ;   in Loop: Header=BB25_17 Depth=1
	s_or_saveexec_b32 s49, s49
	v_mov_b32_e32 v13, s48
	s_xor_b32 exec_lo, exec_lo, s49
	s_cbranch_execnz .LBB25_3253
.LBB25_2265:                            ;   in Loop: Header=BB25_17 Depth=1
	s_or_b32 exec_lo, exec_lo, s49
	s_and_saveexec_b32 s48, s47
	s_cbranch_execz .LBB25_2267
.LBB25_2266:                            ;   in Loop: Header=BB25_17 Depth=1
	v_and_b32_e32 v1, 0xffff, v0
	v_lshlrev_b32_e32 v0, 24, v0
	s_delay_alu instid0(VALU_DEP_2) | instskip(NEXT) | instid1(VALU_DEP_2)
	v_and_b32_e32 v8, 3, v1
	v_and_b32_e32 v0, 0x80000000, v0
	s_delay_alu instid0(VALU_DEP_2) | instskip(NEXT) | instid1(VALU_DEP_1)
	v_clz_i32_u32_e32 v13, v8
	v_min_u32_e32 v13, 32, v13
	s_delay_alu instid0(VALU_DEP_1) | instskip(SKIP_1) | instid1(VALU_DEP_2)
	v_subrev_nc_u32_e32 v14, 29, v13
	v_sub_nc_u32_e32 v13, 30, v13
	v_lshlrev_b32_e32 v14, v14, v1
	v_bfe_u32 v1, v1, 2, 5
	s_delay_alu instid0(VALU_DEP_2) | instskip(NEXT) | instid1(VALU_DEP_2)
	v_and_b32_e32 v14, 3, v14
	v_cmp_eq_u32_e64 s0, 0, v1
	s_delay_alu instid0(VALU_DEP_1) | instskip(NEXT) | instid1(VALU_DEP_3)
	v_cndmask_b32_e64 v1, v1, v13, s0
	v_cndmask_b32_e64 v8, v8, v14, s0
	s_delay_alu instid0(VALU_DEP_2) | instskip(NEXT) | instid1(VALU_DEP_2)
	v_lshl_add_u32 v1, v1, 23, 0x37800000
	v_lshlrev_b32_e32 v8, 21, v8
	s_delay_alu instid0(VALU_DEP_1)
	v_or3_b32 v13, v0, v1, v8
.LBB25_2267:                            ;   in Loop: Header=BB25_17 Depth=1
	s_or_b32 exec_lo, exec_lo, s48
                                        ; implicit-def: $vgpr0_vgpr1
.LBB25_2268:                            ;   in Loop: Header=BB25_17 Depth=1
	s_and_not1_saveexec_b32 s46, s46
	s_cbranch_execz .LBB25_2270
; %bb.2269:                             ;   in Loop: Header=BB25_17 Depth=1
	flat_load_u8 v0, v[0:1]
	s_waitcnt vmcnt(0) lgkmcnt(0)
	v_lshlrev_b32_e32 v0, 24, v0
	s_delay_alu instid0(VALU_DEP_1) | instskip(NEXT) | instid1(VALU_DEP_1)
	v_and_b32_e32 v1, 0x7f000000, v0
	v_clz_i32_u32_e32 v8, v1
	v_add_nc_u32_e32 v14, 0x1000000, v1
	v_cmp_ne_u32_e64 s0, 0, v1
	s_delay_alu instid0(VALU_DEP_3) | instskip(NEXT) | instid1(VALU_DEP_1)
	v_min_u32_e32 v8, 32, v8
	v_sub_nc_u32_e64 v8, v8, 4 clamp
	s_delay_alu instid0(VALU_DEP_1) | instskip(SKIP_1) | instid1(VALU_DEP_2)
	v_lshlrev_b32_e32 v13, v8, v1
	v_lshlrev_b32_e32 v8, 23, v8
	v_lshrrev_b32_e32 v13, 4, v13
	s_delay_alu instid0(VALU_DEP_1) | instskip(SKIP_1) | instid1(VALU_DEP_2)
	v_sub_nc_u32_e32 v8, v13, v8
	v_ashrrev_i32_e32 v13, 8, v14
	v_add_nc_u32_e32 v8, 0x3c000000, v8
	s_delay_alu instid0(VALU_DEP_1) | instskip(NEXT) | instid1(VALU_DEP_1)
	v_and_or_b32 v8, 0x7f800000, v13, v8
	v_cndmask_b32_e64 v1, 0, v8, s0
	s_delay_alu instid0(VALU_DEP_1)
	v_and_or_b32 v13, 0x80000000, v0, v1
.LBB25_2270:                            ;   in Loop: Header=BB25_17 Depth=1
	s_or_b32 exec_lo, exec_lo, s46
                                        ; implicit-def: $vgpr0_vgpr1
.LBB25_2271:                            ;   in Loop: Header=BB25_17 Depth=1
	s_and_not1_saveexec_b32 s45, s45
	s_cbranch_execz .LBB25_2273
; %bb.2272:                             ;   in Loop: Header=BB25_17 Depth=1
	flat_load_u8 v0, v[0:1]
	s_waitcnt vmcnt(0) lgkmcnt(0)
	v_lshlrev_b32_e32 v1, 25, v0
	v_lshlrev_b16 v0, 8, v0
	s_delay_alu instid0(VALU_DEP_2) | instskip(NEXT) | instid1(VALU_DEP_2)
	v_lshrrev_b32_e32 v8, 4, v1
	v_and_or_b32 v13, 0x7f00, v0, 0.5
	v_cmp_gt_u32_e64 s0, 0x8000000, v1
	v_bfe_i32 v0, v0, 0, 16
	s_delay_alu instid0(VALU_DEP_4) | instskip(NEXT) | instid1(VALU_DEP_1)
	v_or_b32_e32 v8, 0x70000000, v8
	v_dual_add_f32 v13, -0.5, v13 :: v_dual_mul_f32 v8, 0x7800000, v8
	s_delay_alu instid0(VALU_DEP_1) | instskip(NEXT) | instid1(VALU_DEP_1)
	v_cndmask_b32_e64 v1, v8, v13, s0
	v_and_or_b32 v13, 0x80000000, v0, v1
.LBB25_2273:                            ;   in Loop: Header=BB25_17 Depth=1
	s_or_b32 exec_lo, exec_lo, s45
	s_delay_alu instid0(SALU_CYCLE_1)
	s_or_b32 s45, s42, exec_lo
                                        ; implicit-def: $vgpr0_vgpr1
.LBB25_2274:                            ;   in Loop: Header=BB25_17 Depth=1
	s_or_saveexec_b32 s44, s44
                                        ; implicit-def: $sgpr46
                                        ; implicit-def: $sgpr0
	s_delay_alu instid0(SALU_CYCLE_1)
	s_xor_b32 exec_lo, exec_lo, s44
	s_cbranch_execz .LBB25_2284
; %bb.2275:                             ;   in Loop: Header=BB25_17 Depth=1
	s_mov_b32 s47, s45
	s_mov_b32 s49, exec_lo
                                        ; implicit-def: $sgpr48
                                        ; implicit-def: $sgpr46
                                        ; implicit-def: $vgpr13
	v_cmpx_lt_i16_e32 14, v2
	s_xor_b32 s49, exec_lo, s49
	s_cbranch_execz .LBB25_2279
; %bb.2276:                             ;   in Loop: Header=BB25_17 Depth=1
	s_mov_b32 s47, s45
	s_mov_b32 s46, exec_lo
                                        ; implicit-def: $vgpr13
	v_cmpx_eq_u16_e32 15, v2
	s_cbranch_execz .LBB25_2278
; %bb.2277:                             ;   in Loop: Header=BB25_17 Depth=1
	flat_load_u16 v0, v[0:1]
	s_or_b32 s47, s45, exec_lo
	s_waitcnt vmcnt(0) lgkmcnt(0)
	v_lshlrev_b32_e32 v13, 16, v0
.LBB25_2278:                            ;   in Loop: Header=BB25_17 Depth=1
	s_or_b32 exec_lo, exec_lo, s46
	s_delay_alu instid0(SALU_CYCLE_1)
	s_and_not1_b32 s0, s45, exec_lo
	s_and_b32 s47, s47, exec_lo
	s_mov_b32 s46, -1
	s_mov_b32 s48, 0
	s_or_b32 s47, s0, s47
                                        ; implicit-def: $vgpr0_vgpr1
.LBB25_2279:                            ;   in Loop: Header=BB25_17 Depth=1
	s_and_not1_saveexec_b32 s49, s49
	s_cbranch_execz .LBB25_2283
; %bb.2280:                             ;   in Loop: Header=BB25_17 Depth=1
	s_mov_b32 s50, s47
	s_mov_b32 s51, exec_lo
                                        ; implicit-def: $vgpr13
	v_cmpx_eq_u16_e32 11, v2
	s_cbranch_execz .LBB25_2282
; %bb.2281:                             ;   in Loop: Header=BB25_17 Depth=1
	flat_load_u8 v0, v[0:1]
	s_or_b32 s50, s47, exec_lo
	s_waitcnt vmcnt(0) lgkmcnt(0)
	v_cmp_ne_u16_e64 s0, 0, v0
	s_delay_alu instid0(VALU_DEP_1)
	v_cndmask_b32_e64 v13, 0, 1.0, s0
.LBB25_2282:                            ;   in Loop: Header=BB25_17 Depth=1
	s_or_b32 exec_lo, exec_lo, s51
	s_delay_alu instid0(SALU_CYCLE_1)
	s_and_not1_b32 s0, s47, exec_lo
	s_and_b32 s47, s50, exec_lo
	s_and_not1_b32 s48, s48, exec_lo
	s_or_b32 s46, s46, exec_lo
	s_or_b32 s47, s0, s47
.LBB25_2283:                            ;   in Loop: Header=BB25_17 Depth=1
	s_or_b32 exec_lo, exec_lo, s49
	s_delay_alu instid0(SALU_CYCLE_1)
	s_and_not1_b32 s45, s45, exec_lo
	s_and_b32 s47, s47, exec_lo
	s_and_b32 s0, s48, exec_lo
	;; [unrolled: 1-line block ×3, first 2 shown]
	s_or_b32 s45, s45, s47
.LBB25_2284:                            ;   in Loop: Header=BB25_17 Depth=1
	s_or_b32 exec_lo, exec_lo, s44
	s_delay_alu instid0(SALU_CYCLE_1)
	s_and_not1_b32 s37, s37, exec_lo
	s_and_b32 s0, s0, exec_lo
	s_and_not1_b32 s42, s42, exec_lo
	s_or_b32 s37, s37, s0
	s_and_not1_b32 s0, s43, exec_lo
	s_and_b32 s43, s46, exec_lo
	s_and_b32 s44, s45, exec_lo
	s_or_b32 s43, s0, s43
	s_or_b32 s42, s42, s44
.LBB25_2285:                            ;   in Loop: Header=BB25_17 Depth=1
	s_or_b32 exec_lo, exec_lo, s36
	s_delay_alu instid0(SALU_CYCLE_1)
	s_and_b32 s37, s37, exec_lo
	s_and_b32 s36, s43, exec_lo
	;; [unrolled: 1-line block ×3, first 2 shown]
                                        ; implicit-def: $vgpr0_vgpr1
	s_and_not1_saveexec_b32 s41, s41
	s_cbranch_execz .LBB25_2110
.LBB25_2286:                            ;   in Loop: Header=BB25_17 Depth=1
	s_mov_b32 s43, exec_lo
                                        ; implicit-def: $vgpr13
	v_cmpx_lt_i16_e32 4, v2
	s_xor_b32 s43, exec_lo, s43
	s_cbranch_execz .LBB25_2308
; %bb.2287:                             ;   in Loop: Header=BB25_17 Depth=1
	s_mov_b32 s44, exec_lo
                                        ; implicit-def: $vgpr13
	v_cmpx_lt_i16_e32 7, v2
	s_xor_b32 s44, exec_lo, s44
	s_cbranch_execz .LBB25_2297
; %bb.2288:                             ;   in Loop: Header=BB25_17 Depth=1
	;; [unrolled: 6-line block ×3, first 2 shown]
	v_cmp_lt_i16_e64 s0, 9, v2
                                        ; implicit-def: $vgpr13
	s_delay_alu instid0(VALU_DEP_1) | instskip(NEXT) | instid1(SALU_CYCLE_1)
	s_and_saveexec_b32 s46, s0
	s_xor_b32 s0, exec_lo, s46
	s_cbranch_execz .LBB25_2291
; %bb.2290:                             ;   in Loop: Header=BB25_17 Depth=1
	flat_load_b64 v[0:1], v[0:1]
	s_waitcnt vmcnt(0) lgkmcnt(0)
	v_cvt_f32_f64_e32 v13, v[0:1]
                                        ; implicit-def: $vgpr0_vgpr1
.LBB25_2291:                            ;   in Loop: Header=BB25_17 Depth=1
	s_and_not1_saveexec_b32 s0, s0
	s_cbranch_execz .LBB25_2293
; %bb.2292:                             ;   in Loop: Header=BB25_17 Depth=1
	flat_load_b32 v13, v[0:1]
.LBB25_2293:                            ;   in Loop: Header=BB25_17 Depth=1
	s_or_b32 exec_lo, exec_lo, s0
                                        ; implicit-def: $vgpr0_vgpr1
.LBB25_2294:                            ;   in Loop: Header=BB25_17 Depth=1
	s_and_not1_saveexec_b32 s0, s45
	s_cbranch_execz .LBB25_2296
; %bb.2295:                             ;   in Loop: Header=BB25_17 Depth=1
	flat_load_b32 v0, v[0:1]
	s_waitcnt vmcnt(0) lgkmcnt(0)
	v_cvt_f32_f16_e32 v13, v0
.LBB25_2296:                            ;   in Loop: Header=BB25_17 Depth=1
	s_or_b32 exec_lo, exec_lo, s0
                                        ; implicit-def: $vgpr0_vgpr1
.LBB25_2297:                            ;   in Loop: Header=BB25_17 Depth=1
	s_and_not1_saveexec_b32 s44, s44
	s_cbranch_execz .LBB25_2307
; %bb.2298:                             ;   in Loop: Header=BB25_17 Depth=1
	s_mov_b32 s45, exec_lo
                                        ; implicit-def: $vgpr13
	v_cmpx_lt_i16_e32 5, v2
	s_xor_b32 s45, exec_lo, s45
	s_cbranch_execz .LBB25_2304
; %bb.2299:                             ;   in Loop: Header=BB25_17 Depth=1
	v_cmp_lt_i16_e64 s0, 6, v2
                                        ; implicit-def: $vgpr13
	s_delay_alu instid0(VALU_DEP_1) | instskip(NEXT) | instid1(SALU_CYCLE_1)
	s_and_saveexec_b32 s46, s0
	s_xor_b32 s0, exec_lo, s46
	s_cbranch_execz .LBB25_2301
; %bb.2300:                             ;   in Loop: Header=BB25_17 Depth=1
	flat_load_b64 v[0:1], v[0:1]
	s_waitcnt vmcnt(0) lgkmcnt(0)
	v_cvt_f32_f64_e32 v13, v[0:1]
                                        ; implicit-def: $vgpr0_vgpr1
.LBB25_2301:                            ;   in Loop: Header=BB25_17 Depth=1
	s_and_not1_saveexec_b32 s0, s0
	s_cbranch_execz .LBB25_2303
; %bb.2302:                             ;   in Loop: Header=BB25_17 Depth=1
	s_waitcnt vmcnt(0) lgkmcnt(0)
	flat_load_b32 v13, v[0:1]
.LBB25_2303:                            ;   in Loop: Header=BB25_17 Depth=1
	s_or_b32 exec_lo, exec_lo, s0
                                        ; implicit-def: $vgpr0_vgpr1
.LBB25_2304:                            ;   in Loop: Header=BB25_17 Depth=1
	s_and_not1_saveexec_b32 s0, s45
	s_cbranch_execz .LBB25_2306
; %bb.2305:                             ;   in Loop: Header=BB25_17 Depth=1
	flat_load_u16 v0, v[0:1]
	s_waitcnt vmcnt(0) lgkmcnt(0)
	v_cvt_f32_f16_e32 v13, v0
.LBB25_2306:                            ;   in Loop: Header=BB25_17 Depth=1
	s_or_b32 exec_lo, exec_lo, s0
.LBB25_2307:                            ;   in Loop: Header=BB25_17 Depth=1
	s_delay_alu instid0(SALU_CYCLE_1)
	s_or_b32 exec_lo, exec_lo, s44
                                        ; implicit-def: $vgpr0_vgpr1
.LBB25_2308:                            ;   in Loop: Header=BB25_17 Depth=1
	s_and_not1_saveexec_b32 s43, s43
	s_cbranch_execz .LBB25_2326
; %bb.2309:                             ;   in Loop: Header=BB25_17 Depth=1
	s_mov_b32 s44, exec_lo
                                        ; implicit-def: $vgpr13
	v_cmpx_lt_i16_e32 1, v2
	s_xor_b32 s44, exec_lo, s44
	s_cbranch_execz .LBB25_2319
; %bb.2310:                             ;   in Loop: Header=BB25_17 Depth=1
	s_mov_b32 s45, exec_lo
                                        ; implicit-def: $vgpr13
	v_cmpx_lt_i16_e32 2, v2
	s_xor_b32 s45, exec_lo, s45
	s_cbranch_execz .LBB25_2316
; %bb.2311:                             ;   in Loop: Header=BB25_17 Depth=1
	v_cmp_lt_i16_e64 s0, 3, v2
                                        ; implicit-def: $vgpr13
	s_delay_alu instid0(VALU_DEP_1) | instskip(NEXT) | instid1(SALU_CYCLE_1)
	s_and_saveexec_b32 s46, s0
	s_xor_b32 s0, exec_lo, s46
	s_cbranch_execz .LBB25_2313
; %bb.2312:                             ;   in Loop: Header=BB25_17 Depth=1
	flat_load_b64 v[0:1], v[0:1]
	s_waitcnt vmcnt(0) lgkmcnt(0)
	v_xor_b32_e32 v8, v0, v1
	v_cls_i32_e32 v13, v1
	s_delay_alu instid0(VALU_DEP_2) | instskip(NEXT) | instid1(VALU_DEP_2)
	v_ashrrev_i32_e32 v8, 31, v8
	v_add_nc_u32_e32 v13, -1, v13
	s_delay_alu instid0(VALU_DEP_2) | instskip(NEXT) | instid1(VALU_DEP_1)
	v_add_nc_u32_e32 v8, 32, v8
	v_min_u32_e32 v8, v13, v8
	s_delay_alu instid0(VALU_DEP_1) | instskip(NEXT) | instid1(VALU_DEP_1)
	v_lshlrev_b64 v[0:1], v8, v[0:1]
	v_min_u32_e32 v0, 1, v0
	s_delay_alu instid0(VALU_DEP_1) | instskip(SKIP_1) | instid1(VALU_DEP_2)
	v_or_b32_e32 v0, v1, v0
	v_sub_nc_u32_e32 v1, 32, v8
	v_cvt_f32_i32_e32 v0, v0
	s_delay_alu instid0(VALU_DEP_1)
	v_ldexp_f32 v13, v0, v1
                                        ; implicit-def: $vgpr0_vgpr1
.LBB25_2313:                            ;   in Loop: Header=BB25_17 Depth=1
	s_and_not1_saveexec_b32 s0, s0
	s_cbranch_execz .LBB25_2315
; %bb.2314:                             ;   in Loop: Header=BB25_17 Depth=1
	flat_load_b32 v0, v[0:1]
	s_waitcnt vmcnt(0) lgkmcnt(0)
	v_cvt_f32_i32_e32 v13, v0
.LBB25_2315:                            ;   in Loop: Header=BB25_17 Depth=1
	s_or_b32 exec_lo, exec_lo, s0
                                        ; implicit-def: $vgpr0_vgpr1
.LBB25_2316:                            ;   in Loop: Header=BB25_17 Depth=1
	s_and_not1_saveexec_b32 s0, s45
	s_cbranch_execz .LBB25_2318
; %bb.2317:                             ;   in Loop: Header=BB25_17 Depth=1
	flat_load_i16 v0, v[0:1]
	s_waitcnt vmcnt(0) lgkmcnt(0)
	v_cvt_f32_i32_e32 v13, v0
.LBB25_2318:                            ;   in Loop: Header=BB25_17 Depth=1
	s_or_b32 exec_lo, exec_lo, s0
                                        ; implicit-def: $vgpr0_vgpr1
.LBB25_2319:                            ;   in Loop: Header=BB25_17 Depth=1
	s_and_not1_saveexec_b32 s44, s44
	s_cbranch_execz .LBB25_2325
; %bb.2320:                             ;   in Loop: Header=BB25_17 Depth=1
	v_cmp_lt_i16_e64 s0, 0, v2
                                        ; implicit-def: $vgpr13
	s_delay_alu instid0(VALU_DEP_1) | instskip(NEXT) | instid1(SALU_CYCLE_1)
	s_and_saveexec_b32 s45, s0
	s_xor_b32 s0, exec_lo, s45
	s_cbranch_execz .LBB25_2322
; %bb.2321:                             ;   in Loop: Header=BB25_17 Depth=1
	flat_load_i8 v0, v[0:1]
	s_waitcnt vmcnt(0) lgkmcnt(0)
	v_cvt_f32_i32_e32 v13, v0
                                        ; implicit-def: $vgpr0_vgpr1
.LBB25_2322:                            ;   in Loop: Header=BB25_17 Depth=1
	s_and_not1_saveexec_b32 s0, s0
	s_cbranch_execz .LBB25_2324
; %bb.2323:                             ;   in Loop: Header=BB25_17 Depth=1
	flat_load_u8 v0, v[0:1]
	s_waitcnt vmcnt(0) lgkmcnt(0)
	v_cvt_f32_ubyte0_e32 v13, v0
.LBB25_2324:                            ;   in Loop: Header=BB25_17 Depth=1
	s_or_b32 exec_lo, exec_lo, s0
.LBB25_2325:                            ;   in Loop: Header=BB25_17 Depth=1
	s_delay_alu instid0(SALU_CYCLE_1)
	s_or_b32 exec_lo, exec_lo, s44
.LBB25_2326:                            ;   in Loop: Header=BB25_17 Depth=1
	s_delay_alu instid0(SALU_CYCLE_1) | instskip(NEXT) | instid1(SALU_CYCLE_1)
	s_or_b32 exec_lo, exec_lo, s43
	s_and_not1_b32 s37, s37, exec_lo
	s_and_not1_b32 s36, s36, exec_lo
	s_or_b32 s42, s42, exec_lo
	s_or_b32 exec_lo, exec_lo, s41
	s_mov_b32 s0, 0
	s_and_saveexec_b32 s41, s42
	s_cbranch_execz .LBB25_2332
.LBB25_2327:                            ;   in Loop: Header=BB25_17 Depth=1
	s_add_i32 s0, s33, 16
	s_mov_b32 s45, 0
	v_add_nc_u32_e64 v8, s1, s0
	s_mov_b32 s42, exec_lo
                                        ; implicit-def: $sgpr43
                                        ; implicit-def: $sgpr44
	s_delay_alu instid0(VALU_DEP_1) | instskip(SKIP_4) | instid1(VALU_DEP_2)
	v_add_nc_u32_e32 v0, 0x54, v8
	s_waitcnt vmcnt(0) lgkmcnt(0)
	scratch_store_b32 v0, v13, off
	v_mul_lo_u32 v0, v12, v11
	v_and_b32_e32 v13, 0xff, v9
                                        ; implicit-def: $vgpr12
	v_add_co_u32 v0, s0, v5, v0
	s_delay_alu instid0(VALU_DEP_1) | instskip(NEXT) | instid1(VALU_DEP_3)
	v_add_co_ci_u32_e64 v1, s0, 0, v6, s0
	v_cmpx_lt_i16_e32 10, v13
	s_xor_b32 s42, exec_lo, s42
	s_cbranch_execnz .LBB25_2354
; %bb.2328:                             ;   in Loop: Header=BB25_17 Depth=1
	s_and_not1_saveexec_b32 s42, s42
	s_cbranch_execnz .LBB25_2413
.LBB25_2329:                            ;   in Loop: Header=BB25_17 Depth=1
	s_or_b32 exec_lo, exec_lo, s42
	s_mov_b32 s0, 0
	s_and_saveexec_b32 s42, s45
	s_cbranch_execz .LBB25_2331
.LBB25_2330:                            ;   in Loop: Header=BB25_17 Depth=1
	v_add_nc_u32_e32 v0, 0x50, v8
	v_add_nc_u32_e32 v7, 0x200, v7
	s_mov_b32 s0, exec_lo
	s_and_not1_b32 s44, s44, exec_lo
	s_and_not1_b32 s43, s43, exec_lo
	s_waitcnt vmcnt(0) lgkmcnt(0)
	scratch_store_b32 v0, v12, off
.LBB25_2331:                            ;   in Loop: Header=BB25_17 Depth=1
	s_or_b32 exec_lo, exec_lo, s42
	s_delay_alu instid0(SALU_CYCLE_1)
	s_and_not1_b32 s37, s37, exec_lo
	s_and_b32 s42, s44, exec_lo
	s_and_not1_b32 s36, s36, exec_lo
	s_and_b32 s43, s43, exec_lo
	s_or_b32 s37, s37, s42
	s_or_b32 s36, s36, s43
	s_and_b32 s0, s0, exec_lo
.LBB25_2332:                            ;   in Loop: Header=BB25_17 Depth=1
	s_or_b32 exec_lo, exec_lo, s41
	s_delay_alu instid0(SALU_CYCLE_1)
	s_and_b32 s37, s37, exec_lo
	s_and_b32 s36, s36, exec_lo
	s_or_not1_b32 s41, s0, exec_lo
.LBB25_2333:                            ;   in Loop: Header=BB25_17 Depth=1
	s_or_b32 exec_lo, exec_lo, s39
	s_and_saveexec_b32 s39, s41
	s_cbranch_execz .LBB25_6
; %bb.2334:                             ;   in Loop: Header=BB25_17 Depth=1
	s_mov_b32 s43, -1
	s_mov_b32 s44, -1
	s_mov_b32 s42, exec_lo
                                        ; implicit-def: $sgpr40
                                        ; implicit-def: $sgpr41
	v_cmpx_lt_i32_e64 v7, v146
	s_cbranch_execz .LBB25_2560
; %bb.2335:                             ;   in Loop: Header=BB25_17 Depth=1
	s_waitcnt vmcnt(0) lgkmcnt(0)
	v_add_nc_u32_e32 v12, s38, v7
	s_mov_b32 s45, 0
	s_mov_b32 s44, exec_lo
                                        ; implicit-def: $sgpr40
                                        ; implicit-def: $sgpr41
                                        ; implicit-def: $vgpr13
	s_delay_alu instid0(VALU_DEP_1) | instskip(NEXT) | instid1(VALU_DEP_1)
	v_mul_lo_u32 v0, v12, v10
	v_add_co_u32 v0, s0, v3, v0
	s_delay_alu instid0(VALU_DEP_1)
	v_add_co_ci_u32_e64 v1, s0, 0, v4, s0
	v_cmpx_lt_i16_e32 10, v2
	s_xor_b32 s44, exec_lo, s44
	s_cbranch_execnz .LBB25_2454
; %bb.2336:                             ;   in Loop: Header=BB25_17 Depth=1
	s_and_not1_saveexec_b32 s44, s44
	s_cbranch_execnz .LBB25_2513
.LBB25_2337:                            ;   in Loop: Header=BB25_17 Depth=1
	s_or_b32 exec_lo, exec_lo, s44
	s_mov_b32 s0, 0
	s_and_saveexec_b32 s44, s45
	s_cbranch_execnz .LBB25_2554
	s_branch .LBB25_2559
.LBB25_2338:                            ;   in Loop: Header=BB25_17 Depth=1
	s_mov_b32 s34, -1
	s_mov_b32 s37, exec_lo
                                        ; implicit-def: $sgpr35
	v_cmpx_eq_u16_e32 0x80, v0
; %bb.2339:                             ;   in Loop: Header=BB25_17 Depth=1
	s_mov_b32 s35, 0x7f800001
	s_xor_b32 s34, exec_lo, -1
; %bb.2340:                             ;   in Loop: Header=BB25_17 Depth=1
	s_or_b32 exec_lo, exec_lo, s37
	s_delay_alu instid0(SALU_CYCLE_1)
	s_and_b32 s34, s34, exec_lo
	s_or_saveexec_b32 s36, s36
	v_mov_b32_e32 v12, s35
	s_xor_b32 exec_lo, exec_lo, s36
	s_cbranch_execz .LBB25_1257
.LBB25_2341:                            ;   in Loop: Header=BB25_17 Depth=1
	v_cmp_ne_u16_e64 s0, 0, v0
	v_mov_b32_e32 v12, 0
	s_and_not1_b32 s34, s34, exec_lo
	s_delay_alu instid0(VALU_DEP_2) | instskip(NEXT) | instid1(SALU_CYCLE_1)
	s_and_b32 s0, s0, exec_lo
	s_or_b32 s34, s34, s0
	s_or_b32 exec_lo, exec_lo, s36
	s_and_saveexec_b32 s35, s34
	s_cbranch_execnz .LBB25_1258
	s_branch .LBB25_1259
.LBB25_2342:                            ;   in Loop: Header=BB25_17 Depth=1
	s_mov_b32 s34, -1
	s_mov_b32 s37, exec_lo
                                        ; implicit-def: $sgpr35
	v_cmpx_eq_u16_e32 0x80, v0
; %bb.2343:                             ;   in Loop: Header=BB25_17 Depth=1
	s_mov_b32 s35, 0x7f800001
	s_xor_b32 s34, exec_lo, -1
; %bb.2344:                             ;   in Loop: Header=BB25_17 Depth=1
	s_or_b32 exec_lo, exec_lo, s37
	s_delay_alu instid0(SALU_CYCLE_1)
	s_and_b32 s34, s34, exec_lo
	s_or_saveexec_b32 s36, s36
	v_mov_b32_e32 v13, s35
	s_xor_b32 exec_lo, exec_lo, s36
	s_cbranch_execz .LBB25_1357
.LBB25_2345:                            ;   in Loop: Header=BB25_17 Depth=1
	v_cmp_ne_u16_e64 s0, 0, v0
	v_mov_b32_e32 v13, 0
	s_and_not1_b32 s34, s34, exec_lo
	s_delay_alu instid0(VALU_DEP_2) | instskip(NEXT) | instid1(SALU_CYCLE_1)
	s_and_b32 s0, s0, exec_lo
	s_or_b32 s34, s34, s0
	s_or_b32 exec_lo, exec_lo, s36
	s_and_saveexec_b32 s35, s34
	s_cbranch_execnz .LBB25_1358
	s_branch .LBB25_1359
.LBB25_2346:                            ;   in Loop: Header=BB25_17 Depth=1
	s_mov_b32 s36, -1
	s_mov_b32 s40, exec_lo
                                        ; implicit-def: $sgpr37
	v_cmpx_eq_u16_e32 0x80, v0
; %bb.2347:                             ;   in Loop: Header=BB25_17 Depth=1
	s_mov_b32 s37, 0x7f800001
	s_xor_b32 s36, exec_lo, -1
; %bb.2348:                             ;   in Loop: Header=BB25_17 Depth=1
	s_or_b32 exec_lo, exec_lo, s40
	s_delay_alu instid0(SALU_CYCLE_1)
	s_and_b32 s36, s36, exec_lo
	s_or_saveexec_b32 s39, s39
	v_mov_b32_e32 v12, s37
	s_xor_b32 exec_lo, exec_lo, s39
	s_cbranch_execz .LBB25_1473
.LBB25_2349:                            ;   in Loop: Header=BB25_17 Depth=1
	v_cmp_ne_u16_e64 s0, 0, v0
	v_mov_b32_e32 v12, 0
	s_and_not1_b32 s36, s36, exec_lo
	s_delay_alu instid0(VALU_DEP_2) | instskip(NEXT) | instid1(SALU_CYCLE_1)
	s_and_b32 s0, s0, exec_lo
	s_or_b32 s36, s36, s0
	s_or_b32 exec_lo, exec_lo, s39
	s_and_saveexec_b32 s37, s36
	s_cbranch_execnz .LBB25_1474
	s_branch .LBB25_1475
.LBB25_2350:                            ;   in Loop: Header=BB25_17 Depth=1
	s_mov_b32 s36, -1
	s_mov_b32 s40, exec_lo
                                        ; implicit-def: $sgpr37
	v_cmpx_eq_u16_e32 0x80, v0
; %bb.2351:                             ;   in Loop: Header=BB25_17 Depth=1
	s_mov_b32 s37, 0x7f800001
	s_xor_b32 s36, exec_lo, -1
; %bb.2352:                             ;   in Loop: Header=BB25_17 Depth=1
	s_or_b32 exec_lo, exec_lo, s40
	s_delay_alu instid0(SALU_CYCLE_1)
	s_and_b32 s36, s36, exec_lo
	s_or_saveexec_b32 s39, s39
	v_mov_b32_e32 v13, s37
	s_xor_b32 exec_lo, exec_lo, s39
	s_cbranch_execz .LBB25_1573
.LBB25_2353:                            ;   in Loop: Header=BB25_17 Depth=1
	v_cmp_ne_u16_e64 s0, 0, v0
	v_mov_b32_e32 v13, 0
	s_and_not1_b32 s36, s36, exec_lo
	s_delay_alu instid0(VALU_DEP_2) | instskip(NEXT) | instid1(SALU_CYCLE_1)
	s_and_b32 s0, s0, exec_lo
	s_or_b32 s36, s36, s0
	s_or_b32 exec_lo, exec_lo, s39
	s_and_saveexec_b32 s37, s36
	s_cbranch_execnz .LBB25_1574
	s_branch .LBB25_1575
.LBB25_2354:                            ;   in Loop: Header=BB25_17 Depth=1
	s_mov_b32 s43, exec_lo
                                        ; implicit-def: $sgpr46
                                        ; implicit-def: $sgpr44
                                        ; implicit-def: $vgpr12
	v_cmpx_lt_i16_e32 25, v13
	s_xor_b32 s43, exec_lo, s43
	s_cbranch_execz .LBB25_2386
; %bb.2355:                             ;   in Loop: Header=BB25_17 Depth=1
	s_mov_b32 s44, exec_lo
                                        ; implicit-def: $sgpr46
                                        ; implicit-def: $sgpr47
                                        ; implicit-def: $vgpr12
	v_cmpx_lt_i16_e32 28, v13
	s_xor_b32 s44, exec_lo, s44
	s_cbranch_execz .LBB25_2371
; %bb.2356:                             ;   in Loop: Header=BB25_17 Depth=1
	s_mov_b32 s48, 0
	s_mov_b32 s45, exec_lo
                                        ; implicit-def: $sgpr46
                                        ; implicit-def: $sgpr47
                                        ; implicit-def: $vgpr12
	v_cmpx_lt_i16_e32 43, v13
	s_xor_b32 s45, exec_lo, s45
	s_cbranch_execz .LBB25_2366
; %bb.2357:                             ;   in Loop: Header=BB25_17 Depth=1
	s_mov_b32 s49, exec_lo
                                        ; implicit-def: $sgpr47
                                        ; implicit-def: $sgpr46
                                        ; implicit-def: $vgpr12
	v_cmpx_lt_i16_e32 45, v13
	s_xor_b32 s49, exec_lo, s49
	s_cbranch_execz .LBB25_2361
; %bb.2358:                             ;   in Loop: Header=BB25_17 Depth=1
	s_mov_b32 s46, 0
	s_mov_b32 s47, exec_lo
                                        ; implicit-def: $vgpr12
	v_cmpx_eq_u16_e32 46, v13
	s_cbranch_execz .LBB25_2360
; %bb.2359:                             ;   in Loop: Header=BB25_17 Depth=1
	flat_load_b32 v0, v[0:1]
	s_mov_b32 s48, exec_lo
	s_waitcnt vmcnt(0) lgkmcnt(0)
	v_lshlrev_b32_e32 v12, 16, v0
.LBB25_2360:                            ;   in Loop: Header=BB25_17 Depth=1
	s_or_b32 exec_lo, exec_lo, s47
	s_mov_b32 s47, -1
	s_and_b32 s48, s48, exec_lo
                                        ; implicit-def: $vgpr13
                                        ; implicit-def: $vgpr0_vgpr1
.LBB25_2361:                            ;   in Loop: Header=BB25_17 Depth=1
	s_and_not1_saveexec_b32 s49, s49
	s_cbranch_execz .LBB25_2365
; %bb.2362:                             ;   in Loop: Header=BB25_17 Depth=1
	s_mov_b32 s51, s48
	s_mov_b32 s50, exec_lo
                                        ; implicit-def: $vgpr12
	v_cmpx_eq_u16_e32 44, v13
	s_cbranch_execz .LBB25_2364
; %bb.2363:                             ;   in Loop: Header=BB25_17 Depth=1
	flat_load_u8 v0, v[0:1]
	s_or_b32 s51, s48, exec_lo
	s_waitcnt vmcnt(0) lgkmcnt(0)
	v_lshlrev_b32_e32 v1, 23, v0
	v_cmp_ne_u32_e64 s0, 0xff, v0
	s_delay_alu instid0(VALU_DEP_1) | instskip(SKIP_1) | instid1(VALU_DEP_1)
	v_cndmask_b32_e64 v1, 0x7f800001, v1, s0
	v_cmp_ne_u32_e64 s0, 0, v0
	v_cndmask_b32_e64 v12, 0x400000, v1, s0
.LBB25_2364:                            ;   in Loop: Header=BB25_17 Depth=1
	s_or_b32 exec_lo, exec_lo, s50
	s_delay_alu instid0(SALU_CYCLE_1)
	s_and_not1_b32 s0, s48, exec_lo
	s_and_b32 s48, s51, exec_lo
	s_or_b32 s47, s47, exec_lo
	s_and_not1_b32 s46, s46, exec_lo
	s_or_b32 s48, s0, s48
.LBB25_2365:                            ;   in Loop: Header=BB25_17 Depth=1
	s_or_b32 exec_lo, exec_lo, s49
	s_delay_alu instid0(SALU_CYCLE_1)
	s_and_b32 s47, s47, exec_lo
	s_and_b32 s46, s46, exec_lo
	;; [unrolled: 1-line block ×3, first 2 shown]
                                        ; implicit-def: $vgpr13
                                        ; implicit-def: $vgpr0_vgpr1
.LBB25_2366:                            ;   in Loop: Header=BB25_17 Depth=1
	s_and_not1_saveexec_b32 s45, s45
	s_cbranch_execz .LBB25_2370
; %bb.2367:                             ;   in Loop: Header=BB25_17 Depth=1
	s_mov_b32 s50, s48
	s_mov_b32 s49, exec_lo
                                        ; implicit-def: $vgpr12
	v_cmpx_eq_u16_e32 29, v13
	s_cbranch_execz .LBB25_2369
; %bb.2368:                             ;   in Loop: Header=BB25_17 Depth=1
	flat_load_b64 v[0:1], v[0:1]
	s_or_b32 s50, s48, exec_lo
	s_waitcnt vmcnt(0) lgkmcnt(0)
	v_clz_i32_u32_e32 v12, v1
	s_delay_alu instid0(VALU_DEP_1) | instskip(NEXT) | instid1(VALU_DEP_1)
	v_min_u32_e32 v12, 32, v12
	v_lshlrev_b64 v[0:1], v12, v[0:1]
	s_delay_alu instid0(VALU_DEP_1) | instskip(NEXT) | instid1(VALU_DEP_1)
	v_min_u32_e32 v0, 1, v0
	v_or_b32_e32 v0, v1, v0
	v_sub_nc_u32_e32 v1, 32, v12
	s_delay_alu instid0(VALU_DEP_2) | instskip(NEXT) | instid1(VALU_DEP_1)
	v_cvt_f32_u32_e32 v0, v0
	v_ldexp_f32 v12, v0, v1
.LBB25_2369:                            ;   in Loop: Header=BB25_17 Depth=1
	s_or_b32 exec_lo, exec_lo, s49
	s_delay_alu instid0(SALU_CYCLE_1)
	s_and_not1_b32 s0, s48, exec_lo
	s_and_b32 s48, s50, exec_lo
	s_or_b32 s47, s47, exec_lo
	s_and_not1_b32 s46, s46, exec_lo
	s_or_b32 s48, s0, s48
.LBB25_2370:                            ;   in Loop: Header=BB25_17 Depth=1
	s_or_b32 exec_lo, exec_lo, s45
	s_delay_alu instid0(SALU_CYCLE_1)
	s_and_b32 s47, s47, exec_lo
	s_and_b32 s46, s46, exec_lo
	;; [unrolled: 1-line block ×3, first 2 shown]
                                        ; implicit-def: $vgpr13
                                        ; implicit-def: $vgpr0_vgpr1
.LBB25_2371:                            ;   in Loop: Header=BB25_17 Depth=1
	s_and_not1_saveexec_b32 s44, s44
	s_cbranch_execz .LBB25_2385
; %bb.2372:                             ;   in Loop: Header=BB25_17 Depth=1
	s_mov_b32 s48, exec_lo
                                        ; implicit-def: $vgpr12
	v_cmpx_lt_i16_e32 26, v13
	s_xor_b32 s48, exec_lo, s48
	s_cbranch_execz .LBB25_2378
; %bb.2373:                             ;   in Loop: Header=BB25_17 Depth=1
	v_cmp_lt_i16_e64 s0, 27, v13
                                        ; implicit-def: $vgpr12
	s_delay_alu instid0(VALU_DEP_1) | instskip(NEXT) | instid1(SALU_CYCLE_1)
	s_and_saveexec_b32 s49, s0
	s_xor_b32 s0, exec_lo, s49
	s_cbranch_execz .LBB25_2375
; %bb.2374:                             ;   in Loop: Header=BB25_17 Depth=1
	flat_load_b32 v0, v[0:1]
	s_waitcnt vmcnt(0) lgkmcnt(0)
	v_cvt_f32_u32_e32 v12, v0
                                        ; implicit-def: $vgpr0_vgpr1
.LBB25_2375:                            ;   in Loop: Header=BB25_17 Depth=1
	s_and_not1_saveexec_b32 s0, s0
	s_cbranch_execz .LBB25_2377
; %bb.2376:                             ;   in Loop: Header=BB25_17 Depth=1
	flat_load_u16 v0, v[0:1]
	s_waitcnt vmcnt(0) lgkmcnt(0)
	v_cvt_f32_u32_e32 v12, v0
.LBB25_2377:                            ;   in Loop: Header=BB25_17 Depth=1
	s_or_b32 exec_lo, exec_lo, s0
                                        ; implicit-def: $vgpr0_vgpr1
.LBB25_2378:                            ;   in Loop: Header=BB25_17 Depth=1
	s_and_not1_saveexec_b32 s48, s48
	s_cbranch_execz .LBB25_2384
; %bb.2379:                             ;   in Loop: Header=BB25_17 Depth=1
	flat_load_u8 v0, v[0:1]
	s_mov_b32 s49, 0
	s_mov_b32 s51, exec_lo
                                        ; implicit-def: $sgpr50
	s_waitcnt vmcnt(0) lgkmcnt(0)
	v_cmpx_lt_i16_e32 0x7f, v0
	s_xor_b32 s51, exec_lo, s51
	s_cbranch_execnz .LBB25_3254
; %bb.2380:                             ;   in Loop: Header=BB25_17 Depth=1
	s_or_saveexec_b32 s51, s51
	v_mov_b32_e32 v12, s50
	s_xor_b32 exec_lo, exec_lo, s51
	s_cbranch_execnz .LBB25_3257
.LBB25_2381:                            ;   in Loop: Header=BB25_17 Depth=1
	s_or_b32 exec_lo, exec_lo, s51
	s_and_saveexec_b32 s50, s49
	s_cbranch_execz .LBB25_2383
.LBB25_2382:                            ;   in Loop: Header=BB25_17 Depth=1
	v_and_b32_e32 v1, 0xffff, v0
	v_lshlrev_b32_e32 v0, 24, v0
	s_delay_alu instid0(VALU_DEP_2) | instskip(NEXT) | instid1(VALU_DEP_2)
	v_and_b32_e32 v12, 7, v1
	v_and_b32_e32 v0, 0x80000000, v0
	s_delay_alu instid0(VALU_DEP_2) | instskip(NEXT) | instid1(VALU_DEP_1)
	v_clz_i32_u32_e32 v13, v12
	v_min_u32_e32 v13, 32, v13
	s_delay_alu instid0(VALU_DEP_1) | instskip(SKIP_1) | instid1(VALU_DEP_2)
	v_subrev_nc_u32_e32 v14, 28, v13
	v_sub_nc_u32_e32 v13, 29, v13
	v_lshlrev_b32_e32 v14, v14, v1
	v_bfe_u32 v1, v1, 3, 4
	s_delay_alu instid0(VALU_DEP_2) | instskip(NEXT) | instid1(VALU_DEP_2)
	v_and_b32_e32 v14, 7, v14
	v_cmp_eq_u32_e64 s0, 0, v1
	s_delay_alu instid0(VALU_DEP_1) | instskip(NEXT) | instid1(VALU_DEP_3)
	v_cndmask_b32_e64 v1, v1, v13, s0
	v_cndmask_b32_e64 v12, v12, v14, s0
	s_delay_alu instid0(VALU_DEP_2) | instskip(NEXT) | instid1(VALU_DEP_2)
	v_lshl_add_u32 v1, v1, 23, 0x3b800000
	v_lshlrev_b32_e32 v12, 20, v12
	s_delay_alu instid0(VALU_DEP_1)
	v_or3_b32 v12, v0, v1, v12
.LBB25_2383:                            ;   in Loop: Header=BB25_17 Depth=1
	s_or_b32 exec_lo, exec_lo, s50
.LBB25_2384:                            ;   in Loop: Header=BB25_17 Depth=1
	s_delay_alu instid0(SALU_CYCLE_1) | instskip(NEXT) | instid1(SALU_CYCLE_1)
	s_or_b32 exec_lo, exec_lo, s48
	s_and_not1_b32 s47, s47, exec_lo
	s_and_not1_b32 s46, s46, exec_lo
	s_or_b32 s45, s45, exec_lo
.LBB25_2385:                            ;   in Loop: Header=BB25_17 Depth=1
	s_or_b32 exec_lo, exec_lo, s44
	s_delay_alu instid0(SALU_CYCLE_1)
	s_and_b32 s44, s47, exec_lo
	s_and_b32 s46, s46, exec_lo
	;; [unrolled: 1-line block ×3, first 2 shown]
                                        ; implicit-def: $vgpr13
                                        ; implicit-def: $vgpr0_vgpr1
.LBB25_2386:                            ;   in Loop: Header=BB25_17 Depth=1
	s_and_not1_saveexec_b32 s43, s43
	s_cbranch_execz .LBB25_2412
; %bb.2387:                             ;   in Loop: Header=BB25_17 Depth=1
	s_mov_b32 s48, s45
	s_mov_b32 s47, exec_lo
                                        ; implicit-def: $vgpr12
	v_cmpx_lt_i16_e32 22, v13
	s_xor_b32 s47, exec_lo, s47
	s_cbranch_execz .LBB25_2401
; %bb.2388:                             ;   in Loop: Header=BB25_17 Depth=1
	s_mov_b32 s48, exec_lo
                                        ; implicit-def: $vgpr12
	v_cmpx_lt_i16_e32 23, v13
	s_xor_b32 s48, exec_lo, s48
	s_cbranch_execz .LBB25_2398
; %bb.2389:                             ;   in Loop: Header=BB25_17 Depth=1
	;; [unrolled: 6-line block ×3, first 2 shown]
	flat_load_u8 v0, v[0:1]
	s_mov_b32 s50, 0
	s_mov_b32 s52, exec_lo
                                        ; implicit-def: $sgpr51
	s_waitcnt vmcnt(0) lgkmcnt(0)
	v_cmpx_lt_i16_e32 0x7f, v0
	s_xor_b32 s52, exec_lo, s52
	s_cbranch_execnz .LBB25_3470
; %bb.2391:                             ;   in Loop: Header=BB25_17 Depth=1
	s_or_saveexec_b32 s52, s52
	v_mov_b32_e32 v12, s51
	s_xor_b32 exec_lo, exec_lo, s52
	s_cbranch_execnz .LBB25_3473
.LBB25_2392:                            ;   in Loop: Header=BB25_17 Depth=1
	s_or_b32 exec_lo, exec_lo, s52
	s_and_saveexec_b32 s51, s50
	s_cbranch_execz .LBB25_2394
.LBB25_2393:                            ;   in Loop: Header=BB25_17 Depth=1
	v_and_b32_e32 v1, 0xffff, v0
	v_lshlrev_b32_e32 v0, 24, v0
	s_delay_alu instid0(VALU_DEP_2) | instskip(NEXT) | instid1(VALU_DEP_2)
	v_and_b32_e32 v12, 3, v1
	v_and_b32_e32 v0, 0x80000000, v0
	s_delay_alu instid0(VALU_DEP_2) | instskip(NEXT) | instid1(VALU_DEP_1)
	v_clz_i32_u32_e32 v13, v12
	v_min_u32_e32 v13, 32, v13
	s_delay_alu instid0(VALU_DEP_1) | instskip(SKIP_1) | instid1(VALU_DEP_2)
	v_subrev_nc_u32_e32 v14, 29, v13
	v_sub_nc_u32_e32 v13, 30, v13
	v_lshlrev_b32_e32 v14, v14, v1
	v_bfe_u32 v1, v1, 2, 5
	s_delay_alu instid0(VALU_DEP_2) | instskip(NEXT) | instid1(VALU_DEP_2)
	v_and_b32_e32 v14, 3, v14
	v_cmp_eq_u32_e64 s0, 0, v1
	s_delay_alu instid0(VALU_DEP_1) | instskip(NEXT) | instid1(VALU_DEP_3)
	v_cndmask_b32_e64 v1, v1, v13, s0
	v_cndmask_b32_e64 v12, v12, v14, s0
	s_delay_alu instid0(VALU_DEP_2) | instskip(NEXT) | instid1(VALU_DEP_2)
	v_lshl_add_u32 v1, v1, 23, 0x37800000
	v_lshlrev_b32_e32 v12, 21, v12
	s_delay_alu instid0(VALU_DEP_1)
	v_or3_b32 v12, v0, v1, v12
.LBB25_2394:                            ;   in Loop: Header=BB25_17 Depth=1
	s_or_b32 exec_lo, exec_lo, s51
                                        ; implicit-def: $vgpr0_vgpr1
.LBB25_2395:                            ;   in Loop: Header=BB25_17 Depth=1
	s_and_not1_saveexec_b32 s49, s49
	s_cbranch_execz .LBB25_2397
; %bb.2396:                             ;   in Loop: Header=BB25_17 Depth=1
	flat_load_u8 v0, v[0:1]
	s_waitcnt vmcnt(0) lgkmcnt(0)
	v_lshlrev_b32_e32 v0, 24, v0
	s_delay_alu instid0(VALU_DEP_1) | instskip(NEXT) | instid1(VALU_DEP_1)
	v_and_b32_e32 v1, 0x7f000000, v0
	v_clz_i32_u32_e32 v12, v1
	v_add_nc_u32_e32 v14, 0x1000000, v1
	v_cmp_ne_u32_e64 s0, 0, v1
	s_delay_alu instid0(VALU_DEP_3) | instskip(NEXT) | instid1(VALU_DEP_1)
	v_min_u32_e32 v12, 32, v12
	v_sub_nc_u32_e64 v12, v12, 4 clamp
	s_delay_alu instid0(VALU_DEP_1) | instskip(SKIP_1) | instid1(VALU_DEP_2)
	v_lshlrev_b32_e32 v13, v12, v1
	v_lshlrev_b32_e32 v12, 23, v12
	v_lshrrev_b32_e32 v13, 4, v13
	s_delay_alu instid0(VALU_DEP_1) | instskip(SKIP_1) | instid1(VALU_DEP_2)
	v_sub_nc_u32_e32 v12, v13, v12
	v_ashrrev_i32_e32 v13, 8, v14
	v_add_nc_u32_e32 v12, 0x3c000000, v12
	s_delay_alu instid0(VALU_DEP_1) | instskip(NEXT) | instid1(VALU_DEP_1)
	v_and_or_b32 v12, 0x7f800000, v13, v12
	v_cndmask_b32_e64 v1, 0, v12, s0
	s_delay_alu instid0(VALU_DEP_1)
	v_and_or_b32 v12, 0x80000000, v0, v1
.LBB25_2397:                            ;   in Loop: Header=BB25_17 Depth=1
	s_or_b32 exec_lo, exec_lo, s49
                                        ; implicit-def: $vgpr0_vgpr1
.LBB25_2398:                            ;   in Loop: Header=BB25_17 Depth=1
	s_and_not1_saveexec_b32 s48, s48
	s_cbranch_execz .LBB25_2400
; %bb.2399:                             ;   in Loop: Header=BB25_17 Depth=1
	flat_load_u8 v0, v[0:1]
	s_waitcnt vmcnt(0) lgkmcnt(0)
	v_lshlrev_b32_e32 v1, 25, v0
	v_lshlrev_b16 v0, 8, v0
	s_delay_alu instid0(VALU_DEP_2) | instskip(NEXT) | instid1(VALU_DEP_2)
	v_lshrrev_b32_e32 v12, 4, v1
	v_and_or_b32 v13, 0x7f00, v0, 0.5
	v_cmp_gt_u32_e64 s0, 0x8000000, v1
	v_bfe_i32 v0, v0, 0, 16
	s_delay_alu instid0(VALU_DEP_4) | instskip(NEXT) | instid1(VALU_DEP_1)
	v_or_b32_e32 v12, 0x70000000, v12
	v_dual_add_f32 v13, -0.5, v13 :: v_dual_mul_f32 v12, 0x7800000, v12
	s_delay_alu instid0(VALU_DEP_1) | instskip(NEXT) | instid1(VALU_DEP_1)
	v_cndmask_b32_e64 v1, v12, v13, s0
	v_and_or_b32 v12, 0x80000000, v0, v1
.LBB25_2400:                            ;   in Loop: Header=BB25_17 Depth=1
	s_or_b32 exec_lo, exec_lo, s48
	s_delay_alu instid0(SALU_CYCLE_1)
	s_or_b32 s48, s45, exec_lo
                                        ; implicit-def: $vgpr13
                                        ; implicit-def: $vgpr0_vgpr1
.LBB25_2401:                            ;   in Loop: Header=BB25_17 Depth=1
	s_or_saveexec_b32 s47, s47
                                        ; implicit-def: $sgpr49
                                        ; implicit-def: $sgpr0
	s_delay_alu instid0(SALU_CYCLE_1)
	s_xor_b32 exec_lo, exec_lo, s47
	s_cbranch_execz .LBB25_2411
; %bb.2402:                             ;   in Loop: Header=BB25_17 Depth=1
	s_mov_b32 s50, s48
	s_mov_b32 s52, exec_lo
                                        ; implicit-def: $sgpr51
                                        ; implicit-def: $sgpr49
                                        ; implicit-def: $vgpr12
	v_cmpx_lt_i16_e32 14, v13
	s_xor_b32 s52, exec_lo, s52
	s_cbranch_execz .LBB25_2406
; %bb.2403:                             ;   in Loop: Header=BB25_17 Depth=1
	s_mov_b32 s50, s48
	s_mov_b32 s49, exec_lo
                                        ; implicit-def: $vgpr12
	v_cmpx_eq_u16_e32 15, v13
	s_cbranch_execz .LBB25_2405
; %bb.2404:                             ;   in Loop: Header=BB25_17 Depth=1
	flat_load_u16 v0, v[0:1]
	s_or_b32 s50, s48, exec_lo
	s_waitcnt vmcnt(0) lgkmcnt(0)
	v_lshlrev_b32_e32 v12, 16, v0
.LBB25_2405:                            ;   in Loop: Header=BB25_17 Depth=1
	s_or_b32 exec_lo, exec_lo, s49
	s_delay_alu instid0(SALU_CYCLE_1)
	s_and_not1_b32 s0, s48, exec_lo
	s_and_b32 s50, s50, exec_lo
	s_mov_b32 s49, 0
	s_mov_b32 s51, -1
	s_or_b32 s50, s0, s50
                                        ; implicit-def: $vgpr13
                                        ; implicit-def: $vgpr0_vgpr1
.LBB25_2406:                            ;   in Loop: Header=BB25_17 Depth=1
	s_and_not1_saveexec_b32 s52, s52
	s_cbranch_execz .LBB25_2410
; %bb.2407:                             ;   in Loop: Header=BB25_17 Depth=1
	s_mov_b32 s53, s50
	s_mov_b32 s54, exec_lo
                                        ; implicit-def: $vgpr12
	v_cmpx_eq_u16_e32 11, v13
	s_cbranch_execz .LBB25_2409
; %bb.2408:                             ;   in Loop: Header=BB25_17 Depth=1
	flat_load_u8 v0, v[0:1]
	s_or_b32 s53, s50, exec_lo
	s_waitcnt vmcnt(0) lgkmcnt(0)
	v_cmp_ne_u16_e64 s0, 0, v0
	s_delay_alu instid0(VALU_DEP_1)
	v_cndmask_b32_e64 v12, 0, 1.0, s0
.LBB25_2409:                            ;   in Loop: Header=BB25_17 Depth=1
	s_or_b32 exec_lo, exec_lo, s54
	s_delay_alu instid0(SALU_CYCLE_1)
	s_and_not1_b32 s0, s50, exec_lo
	s_and_b32 s50, s53, exec_lo
	s_or_b32 s51, s51, exec_lo
	s_and_not1_b32 s49, s49, exec_lo
	s_or_b32 s50, s0, s50
.LBB25_2410:                            ;   in Loop: Header=BB25_17 Depth=1
	s_or_b32 exec_lo, exec_lo, s52
	s_delay_alu instid0(SALU_CYCLE_1)
	s_and_not1_b32 s48, s48, exec_lo
	s_and_b32 s50, s50, exec_lo
	s_and_b32 s0, s51, exec_lo
	;; [unrolled: 1-line block ×3, first 2 shown]
	s_or_b32 s48, s48, s50
.LBB25_2411:                            ;   in Loop: Header=BB25_17 Depth=1
	s_or_b32 exec_lo, exec_lo, s47
	s_delay_alu instid0(SALU_CYCLE_1)
	s_and_not1_b32 s44, s44, exec_lo
	s_and_b32 s0, s0, exec_lo
	s_and_not1_b32 s45, s45, exec_lo
	s_or_b32 s44, s44, s0
	s_and_not1_b32 s0, s46, exec_lo
	s_and_b32 s46, s49, exec_lo
	s_and_b32 s47, s48, exec_lo
	s_or_b32 s46, s0, s46
	s_or_b32 s45, s45, s47
.LBB25_2412:                            ;   in Loop: Header=BB25_17 Depth=1
	s_or_b32 exec_lo, exec_lo, s43
	s_delay_alu instid0(SALU_CYCLE_1)
	s_and_b32 s44, s44, exec_lo
	s_and_b32 s43, s46, exec_lo
	s_and_b32 s45, s45, exec_lo
                                        ; implicit-def: $vgpr13
                                        ; implicit-def: $vgpr0_vgpr1
	s_and_not1_saveexec_b32 s42, s42
	s_cbranch_execz .LBB25_2329
.LBB25_2413:                            ;   in Loop: Header=BB25_17 Depth=1
	s_mov_b32 s46, exec_lo
                                        ; implicit-def: $vgpr12
	v_cmpx_lt_i16_e32 4, v13
	s_xor_b32 s46, exec_lo, s46
	s_cbranch_execz .LBB25_2435
; %bb.2414:                             ;   in Loop: Header=BB25_17 Depth=1
	s_mov_b32 s47, exec_lo
                                        ; implicit-def: $vgpr12
	v_cmpx_lt_i16_e32 7, v13
	s_xor_b32 s47, exec_lo, s47
	s_cbranch_execz .LBB25_2424
; %bb.2415:                             ;   in Loop: Header=BB25_17 Depth=1
	;; [unrolled: 6-line block ×3, first 2 shown]
	v_cmp_lt_i16_e64 s0, 9, v13
                                        ; implicit-def: $vgpr12
	s_delay_alu instid0(VALU_DEP_1) | instskip(NEXT) | instid1(SALU_CYCLE_1)
	s_and_saveexec_b32 s49, s0
	s_xor_b32 s0, exec_lo, s49
	s_cbranch_execz .LBB25_2418
; %bb.2417:                             ;   in Loop: Header=BB25_17 Depth=1
	flat_load_b64 v[0:1], v[0:1]
	s_waitcnt vmcnt(0) lgkmcnt(0)
	v_cvt_f32_f64_e32 v12, v[0:1]
                                        ; implicit-def: $vgpr0_vgpr1
.LBB25_2418:                            ;   in Loop: Header=BB25_17 Depth=1
	s_and_not1_saveexec_b32 s0, s0
	s_cbranch_execz .LBB25_2420
; %bb.2419:                             ;   in Loop: Header=BB25_17 Depth=1
	flat_load_b32 v12, v[0:1]
.LBB25_2420:                            ;   in Loop: Header=BB25_17 Depth=1
	s_or_b32 exec_lo, exec_lo, s0
                                        ; implicit-def: $vgpr0_vgpr1
.LBB25_2421:                            ;   in Loop: Header=BB25_17 Depth=1
	s_and_not1_saveexec_b32 s0, s48
	s_cbranch_execz .LBB25_2423
; %bb.2422:                             ;   in Loop: Header=BB25_17 Depth=1
	flat_load_b32 v0, v[0:1]
	s_waitcnt vmcnt(0) lgkmcnt(0)
	v_cvt_f32_f16_e32 v12, v0
.LBB25_2423:                            ;   in Loop: Header=BB25_17 Depth=1
	s_or_b32 exec_lo, exec_lo, s0
                                        ; implicit-def: $vgpr0_vgpr1
                                        ; implicit-def: $vgpr13
.LBB25_2424:                            ;   in Loop: Header=BB25_17 Depth=1
	s_and_not1_saveexec_b32 s47, s47
	s_cbranch_execz .LBB25_2434
; %bb.2425:                             ;   in Loop: Header=BB25_17 Depth=1
	s_mov_b32 s48, exec_lo
                                        ; implicit-def: $vgpr12
	v_cmpx_lt_i16_e32 5, v13
	s_xor_b32 s48, exec_lo, s48
	s_cbranch_execz .LBB25_2431
; %bb.2426:                             ;   in Loop: Header=BB25_17 Depth=1
	v_cmp_lt_i16_e64 s0, 6, v13
                                        ; implicit-def: $vgpr12
	s_delay_alu instid0(VALU_DEP_1) | instskip(NEXT) | instid1(SALU_CYCLE_1)
	s_and_saveexec_b32 s49, s0
	s_xor_b32 s0, exec_lo, s49
	s_cbranch_execz .LBB25_2428
; %bb.2427:                             ;   in Loop: Header=BB25_17 Depth=1
	flat_load_b64 v[0:1], v[0:1]
	s_waitcnt vmcnt(0) lgkmcnt(0)
	v_cvt_f32_f64_e32 v12, v[0:1]
                                        ; implicit-def: $vgpr0_vgpr1
.LBB25_2428:                            ;   in Loop: Header=BB25_17 Depth=1
	s_and_not1_saveexec_b32 s0, s0
	s_cbranch_execz .LBB25_2430
; %bb.2429:                             ;   in Loop: Header=BB25_17 Depth=1
	s_waitcnt vmcnt(0) lgkmcnt(0)
	flat_load_b32 v12, v[0:1]
.LBB25_2430:                            ;   in Loop: Header=BB25_17 Depth=1
	s_or_b32 exec_lo, exec_lo, s0
                                        ; implicit-def: $vgpr0_vgpr1
.LBB25_2431:                            ;   in Loop: Header=BB25_17 Depth=1
	s_and_not1_saveexec_b32 s0, s48
	s_cbranch_execz .LBB25_2433
; %bb.2432:                             ;   in Loop: Header=BB25_17 Depth=1
	flat_load_u16 v0, v[0:1]
	s_waitcnt vmcnt(0) lgkmcnt(0)
	v_cvt_f32_f16_e32 v12, v0
.LBB25_2433:                            ;   in Loop: Header=BB25_17 Depth=1
	s_or_b32 exec_lo, exec_lo, s0
.LBB25_2434:                            ;   in Loop: Header=BB25_17 Depth=1
	s_delay_alu instid0(SALU_CYCLE_1)
	s_or_b32 exec_lo, exec_lo, s47
                                        ; implicit-def: $vgpr13
                                        ; implicit-def: $vgpr0_vgpr1
.LBB25_2435:                            ;   in Loop: Header=BB25_17 Depth=1
	s_and_not1_saveexec_b32 s46, s46
	s_cbranch_execz .LBB25_2453
; %bb.2436:                             ;   in Loop: Header=BB25_17 Depth=1
	s_mov_b32 s47, exec_lo
                                        ; implicit-def: $vgpr12
	v_cmpx_lt_i16_e32 1, v13
	s_xor_b32 s47, exec_lo, s47
	s_cbranch_execz .LBB25_2446
; %bb.2437:                             ;   in Loop: Header=BB25_17 Depth=1
	s_mov_b32 s48, exec_lo
                                        ; implicit-def: $vgpr12
	v_cmpx_lt_i16_e32 2, v13
	s_xor_b32 s48, exec_lo, s48
	s_cbranch_execz .LBB25_2443
; %bb.2438:                             ;   in Loop: Header=BB25_17 Depth=1
	v_cmp_lt_i16_e64 s0, 3, v13
                                        ; implicit-def: $vgpr12
	s_delay_alu instid0(VALU_DEP_1) | instskip(NEXT) | instid1(SALU_CYCLE_1)
	s_and_saveexec_b32 s49, s0
	s_xor_b32 s0, exec_lo, s49
	s_cbranch_execz .LBB25_2440
; %bb.2439:                             ;   in Loop: Header=BB25_17 Depth=1
	flat_load_b64 v[0:1], v[0:1]
	s_waitcnt vmcnt(0) lgkmcnt(0)
	v_xor_b32_e32 v12, v0, v1
	v_cls_i32_e32 v13, v1
	s_delay_alu instid0(VALU_DEP_2) | instskip(NEXT) | instid1(VALU_DEP_2)
	v_ashrrev_i32_e32 v12, 31, v12
	v_add_nc_u32_e32 v13, -1, v13
	s_delay_alu instid0(VALU_DEP_2) | instskip(NEXT) | instid1(VALU_DEP_1)
	v_add_nc_u32_e32 v12, 32, v12
	v_min_u32_e32 v12, v13, v12
	s_delay_alu instid0(VALU_DEP_1) | instskip(NEXT) | instid1(VALU_DEP_1)
	v_lshlrev_b64 v[0:1], v12, v[0:1]
	v_min_u32_e32 v0, 1, v0
	s_delay_alu instid0(VALU_DEP_1) | instskip(SKIP_1) | instid1(VALU_DEP_2)
	v_or_b32_e32 v0, v1, v0
	v_sub_nc_u32_e32 v1, 32, v12
	v_cvt_f32_i32_e32 v0, v0
	s_delay_alu instid0(VALU_DEP_1)
	v_ldexp_f32 v12, v0, v1
                                        ; implicit-def: $vgpr0_vgpr1
.LBB25_2440:                            ;   in Loop: Header=BB25_17 Depth=1
	s_and_not1_saveexec_b32 s0, s0
	s_cbranch_execz .LBB25_2442
; %bb.2441:                             ;   in Loop: Header=BB25_17 Depth=1
	flat_load_b32 v0, v[0:1]
	s_waitcnt vmcnt(0) lgkmcnt(0)
	v_cvt_f32_i32_e32 v12, v0
.LBB25_2442:                            ;   in Loop: Header=BB25_17 Depth=1
	s_or_b32 exec_lo, exec_lo, s0
                                        ; implicit-def: $vgpr0_vgpr1
.LBB25_2443:                            ;   in Loop: Header=BB25_17 Depth=1
	s_and_not1_saveexec_b32 s0, s48
	s_cbranch_execz .LBB25_2445
; %bb.2444:                             ;   in Loop: Header=BB25_17 Depth=1
	flat_load_i16 v0, v[0:1]
	s_waitcnt vmcnt(0) lgkmcnt(0)
	v_cvt_f32_i32_e32 v12, v0
.LBB25_2445:                            ;   in Loop: Header=BB25_17 Depth=1
	s_or_b32 exec_lo, exec_lo, s0
                                        ; implicit-def: $vgpr0_vgpr1
                                        ; implicit-def: $vgpr13
.LBB25_2446:                            ;   in Loop: Header=BB25_17 Depth=1
	s_and_not1_saveexec_b32 s47, s47
	s_cbranch_execz .LBB25_2452
; %bb.2447:                             ;   in Loop: Header=BB25_17 Depth=1
	v_cmp_lt_i16_e64 s0, 0, v13
                                        ; implicit-def: $vgpr12
	s_delay_alu instid0(VALU_DEP_1) | instskip(NEXT) | instid1(SALU_CYCLE_1)
	s_and_saveexec_b32 s48, s0
	s_xor_b32 s0, exec_lo, s48
	s_cbranch_execz .LBB25_2449
; %bb.2448:                             ;   in Loop: Header=BB25_17 Depth=1
	flat_load_i8 v0, v[0:1]
	s_waitcnt vmcnt(0) lgkmcnt(0)
	v_cvt_f32_i32_e32 v12, v0
                                        ; implicit-def: $vgpr0_vgpr1
.LBB25_2449:                            ;   in Loop: Header=BB25_17 Depth=1
	s_and_not1_saveexec_b32 s0, s0
	s_cbranch_execz .LBB25_2451
; %bb.2450:                             ;   in Loop: Header=BB25_17 Depth=1
	flat_load_u8 v0, v[0:1]
	s_waitcnt vmcnt(0) lgkmcnt(0)
	v_cvt_f32_ubyte0_e32 v12, v0
.LBB25_2451:                            ;   in Loop: Header=BB25_17 Depth=1
	s_or_b32 exec_lo, exec_lo, s0
.LBB25_2452:                            ;   in Loop: Header=BB25_17 Depth=1
	s_delay_alu instid0(SALU_CYCLE_1)
	s_or_b32 exec_lo, exec_lo, s47
.LBB25_2453:                            ;   in Loop: Header=BB25_17 Depth=1
	s_delay_alu instid0(SALU_CYCLE_1) | instskip(NEXT) | instid1(SALU_CYCLE_1)
	s_or_b32 exec_lo, exec_lo, s46
	s_and_not1_b32 s44, s44, exec_lo
	s_and_not1_b32 s43, s43, exec_lo
	s_or_b32 s45, s45, exec_lo
	s_or_b32 exec_lo, exec_lo, s42
	s_mov_b32 s0, 0
	s_and_saveexec_b32 s42, s45
	s_cbranch_execnz .LBB25_2330
	s_branch .LBB25_2331
.LBB25_2454:                            ;   in Loop: Header=BB25_17 Depth=1
	s_mov_b32 s40, exec_lo
                                        ; implicit-def: $sgpr46
                                        ; implicit-def: $sgpr41
                                        ; implicit-def: $vgpr13
	v_cmpx_lt_i16_e32 25, v2
	s_xor_b32 s40, exec_lo, s40
	s_cbranch_execz .LBB25_2486
; %bb.2455:                             ;   in Loop: Header=BB25_17 Depth=1
	s_mov_b32 s41, exec_lo
                                        ; implicit-def: $sgpr46
                                        ; implicit-def: $sgpr47
                                        ; implicit-def: $vgpr13
	v_cmpx_lt_i16_e32 28, v2
	s_xor_b32 s41, exec_lo, s41
	s_cbranch_execz .LBB25_2471
; %bb.2456:                             ;   in Loop: Header=BB25_17 Depth=1
	s_mov_b32 s48, 0
	s_mov_b32 s45, exec_lo
                                        ; implicit-def: $sgpr46
                                        ; implicit-def: $sgpr47
                                        ; implicit-def: $vgpr13
	v_cmpx_lt_i16_e32 43, v2
	s_xor_b32 s45, exec_lo, s45
	s_cbranch_execz .LBB25_2466
; %bb.2457:                             ;   in Loop: Header=BB25_17 Depth=1
	s_mov_b32 s47, exec_lo
                                        ; implicit-def: $sgpr46
                                        ; implicit-def: $sgpr49
                                        ; implicit-def: $vgpr13
	v_cmpx_lt_i16_e32 45, v2
	s_xor_b32 s47, exec_lo, s47
	s_cbranch_execz .LBB25_2461
; %bb.2458:                             ;   in Loop: Header=BB25_17 Depth=1
	s_mov_b32 s46, 0
	s_mov_b32 s49, exec_lo
                                        ; implicit-def: $vgpr13
	v_cmpx_eq_u16_e32 46, v2
	s_cbranch_execz .LBB25_2460
; %bb.2459:                             ;   in Loop: Header=BB25_17 Depth=1
	flat_load_b32 v0, v[0:1]
	s_mov_b32 s48, exec_lo
	s_waitcnt vmcnt(0) lgkmcnt(0)
	v_lshlrev_b32_e32 v13, 16, v0
.LBB25_2460:                            ;   in Loop: Header=BB25_17 Depth=1
	s_or_b32 exec_lo, exec_lo, s49
	s_mov_b32 s49, -1
	s_and_b32 s48, s48, exec_lo
                                        ; implicit-def: $vgpr0_vgpr1
.LBB25_2461:                            ;   in Loop: Header=BB25_17 Depth=1
	s_and_not1_saveexec_b32 s47, s47
	s_cbranch_execz .LBB25_2465
; %bb.2462:                             ;   in Loop: Header=BB25_17 Depth=1
	s_mov_b32 s51, s48
	s_mov_b32 s50, exec_lo
                                        ; implicit-def: $vgpr13
	v_cmpx_eq_u16_e32 44, v2
	s_cbranch_execz .LBB25_2464
; %bb.2463:                             ;   in Loop: Header=BB25_17 Depth=1
	flat_load_u8 v0, v[0:1]
	s_or_b32 s51, s48, exec_lo
	s_waitcnt vmcnt(0) lgkmcnt(0)
	v_lshlrev_b32_e32 v1, 23, v0
	v_cmp_ne_u32_e64 s0, 0xff, v0
	s_delay_alu instid0(VALU_DEP_1) | instskip(SKIP_1) | instid1(VALU_DEP_1)
	v_cndmask_b32_e64 v1, 0x7f800001, v1, s0
	v_cmp_ne_u32_e64 s0, 0, v0
	v_cndmask_b32_e64 v13, 0x400000, v1, s0
.LBB25_2464:                            ;   in Loop: Header=BB25_17 Depth=1
	s_or_b32 exec_lo, exec_lo, s50
	s_delay_alu instid0(SALU_CYCLE_1)
	s_and_not1_b32 s0, s48, exec_lo
	s_and_b32 s48, s51, exec_lo
	s_and_not1_b32 s46, s46, exec_lo
	s_or_b32 s49, s49, exec_lo
	s_or_b32 s48, s0, s48
.LBB25_2465:                            ;   in Loop: Header=BB25_17 Depth=1
	s_or_b32 exec_lo, exec_lo, s47
	s_delay_alu instid0(SALU_CYCLE_1)
	s_and_b32 s47, s46, exec_lo
	s_and_b32 s46, s49, exec_lo
	;; [unrolled: 1-line block ×3, first 2 shown]
                                        ; implicit-def: $vgpr0_vgpr1
.LBB25_2466:                            ;   in Loop: Header=BB25_17 Depth=1
	s_and_not1_saveexec_b32 s45, s45
	s_cbranch_execz .LBB25_2470
; %bb.2467:                             ;   in Loop: Header=BB25_17 Depth=1
	s_mov_b32 s50, s48
	s_mov_b32 s49, exec_lo
                                        ; implicit-def: $vgpr13
	v_cmpx_eq_u16_e32 29, v2
	s_cbranch_execz .LBB25_2469
; %bb.2468:                             ;   in Loop: Header=BB25_17 Depth=1
	flat_load_b64 v[0:1], v[0:1]
	s_or_b32 s50, s48, exec_lo
	s_waitcnt vmcnt(0) lgkmcnt(0)
	v_clz_i32_u32_e32 v8, v1
	s_delay_alu instid0(VALU_DEP_1) | instskip(NEXT) | instid1(VALU_DEP_1)
	v_min_u32_e32 v8, 32, v8
	v_lshlrev_b64 v[0:1], v8, v[0:1]
	s_delay_alu instid0(VALU_DEP_1) | instskip(NEXT) | instid1(VALU_DEP_1)
	v_min_u32_e32 v0, 1, v0
	v_or_b32_e32 v0, v1, v0
	v_sub_nc_u32_e32 v1, 32, v8
	s_delay_alu instid0(VALU_DEP_2) | instskip(NEXT) | instid1(VALU_DEP_1)
	v_cvt_f32_u32_e32 v0, v0
	v_ldexp_f32 v13, v0, v1
.LBB25_2469:                            ;   in Loop: Header=BB25_17 Depth=1
	s_or_b32 exec_lo, exec_lo, s49
	s_delay_alu instid0(SALU_CYCLE_1)
	s_and_not1_b32 s0, s48, exec_lo
	s_and_b32 s48, s50, exec_lo
	s_and_not1_b32 s47, s47, exec_lo
	s_or_b32 s46, s46, exec_lo
	s_or_b32 s48, s0, s48
.LBB25_2470:                            ;   in Loop: Header=BB25_17 Depth=1
	s_or_b32 exec_lo, exec_lo, s45
	s_delay_alu instid0(SALU_CYCLE_1)
	s_and_b32 s47, s47, exec_lo
	s_and_b32 s46, s46, exec_lo
	;; [unrolled: 1-line block ×3, first 2 shown]
                                        ; implicit-def: $vgpr0_vgpr1
.LBB25_2471:                            ;   in Loop: Header=BB25_17 Depth=1
	s_and_not1_saveexec_b32 s41, s41
	s_cbranch_execz .LBB25_2485
; %bb.2472:                             ;   in Loop: Header=BB25_17 Depth=1
	s_mov_b32 s48, exec_lo
                                        ; implicit-def: $vgpr13
	v_cmpx_lt_i16_e32 26, v2
	s_xor_b32 s48, exec_lo, s48
	s_cbranch_execz .LBB25_2478
; %bb.2473:                             ;   in Loop: Header=BB25_17 Depth=1
	v_cmp_lt_i16_e64 s0, 27, v2
                                        ; implicit-def: $vgpr13
	s_delay_alu instid0(VALU_DEP_1) | instskip(NEXT) | instid1(SALU_CYCLE_1)
	s_and_saveexec_b32 s49, s0
	s_xor_b32 s0, exec_lo, s49
	s_cbranch_execz .LBB25_2475
; %bb.2474:                             ;   in Loop: Header=BB25_17 Depth=1
	flat_load_b32 v0, v[0:1]
	s_waitcnt vmcnt(0) lgkmcnt(0)
	v_cvt_f32_u32_e32 v13, v0
                                        ; implicit-def: $vgpr0_vgpr1
.LBB25_2475:                            ;   in Loop: Header=BB25_17 Depth=1
	s_and_not1_saveexec_b32 s0, s0
	s_cbranch_execz .LBB25_2477
; %bb.2476:                             ;   in Loop: Header=BB25_17 Depth=1
	flat_load_u16 v0, v[0:1]
	s_waitcnt vmcnt(0) lgkmcnt(0)
	v_cvt_f32_u32_e32 v13, v0
.LBB25_2477:                            ;   in Loop: Header=BB25_17 Depth=1
	s_or_b32 exec_lo, exec_lo, s0
                                        ; implicit-def: $vgpr0_vgpr1
.LBB25_2478:                            ;   in Loop: Header=BB25_17 Depth=1
	s_and_not1_saveexec_b32 s48, s48
	s_cbranch_execz .LBB25_2484
; %bb.2479:                             ;   in Loop: Header=BB25_17 Depth=1
	flat_load_u8 v0, v[0:1]
	s_mov_b32 s49, 0
	s_mov_b32 s51, exec_lo
                                        ; implicit-def: $sgpr50
	s_waitcnt vmcnt(0) lgkmcnt(0)
	v_cmpx_lt_i16_e32 0x7f, v0
	s_xor_b32 s51, exec_lo, s51
	s_cbranch_execnz .LBB25_3258
; %bb.2480:                             ;   in Loop: Header=BB25_17 Depth=1
	s_or_saveexec_b32 s51, s51
	v_mov_b32_e32 v13, s50
	s_xor_b32 exec_lo, exec_lo, s51
	s_cbranch_execnz .LBB25_3261
.LBB25_2481:                            ;   in Loop: Header=BB25_17 Depth=1
	s_or_b32 exec_lo, exec_lo, s51
	s_and_saveexec_b32 s50, s49
	s_cbranch_execz .LBB25_2483
.LBB25_2482:                            ;   in Loop: Header=BB25_17 Depth=1
	v_and_b32_e32 v1, 0xffff, v0
	v_lshlrev_b32_e32 v0, 24, v0
	s_delay_alu instid0(VALU_DEP_2) | instskip(NEXT) | instid1(VALU_DEP_2)
	v_and_b32_e32 v8, 7, v1
	v_and_b32_e32 v0, 0x80000000, v0
	s_delay_alu instid0(VALU_DEP_2) | instskip(NEXT) | instid1(VALU_DEP_1)
	v_clz_i32_u32_e32 v13, v8
	v_min_u32_e32 v13, 32, v13
	s_delay_alu instid0(VALU_DEP_1) | instskip(SKIP_1) | instid1(VALU_DEP_2)
	v_subrev_nc_u32_e32 v14, 28, v13
	v_sub_nc_u32_e32 v13, 29, v13
	v_lshlrev_b32_e32 v14, v14, v1
	v_bfe_u32 v1, v1, 3, 4
	s_delay_alu instid0(VALU_DEP_2) | instskip(NEXT) | instid1(VALU_DEP_2)
	v_and_b32_e32 v14, 7, v14
	v_cmp_eq_u32_e64 s0, 0, v1
	s_delay_alu instid0(VALU_DEP_1) | instskip(NEXT) | instid1(VALU_DEP_3)
	v_cndmask_b32_e64 v1, v1, v13, s0
	v_cndmask_b32_e64 v8, v8, v14, s0
	s_delay_alu instid0(VALU_DEP_2) | instskip(NEXT) | instid1(VALU_DEP_2)
	v_lshl_add_u32 v1, v1, 23, 0x3b800000
	v_lshlrev_b32_e32 v8, 20, v8
	s_delay_alu instid0(VALU_DEP_1)
	v_or3_b32 v13, v0, v1, v8
.LBB25_2483:                            ;   in Loop: Header=BB25_17 Depth=1
	s_or_b32 exec_lo, exec_lo, s50
.LBB25_2484:                            ;   in Loop: Header=BB25_17 Depth=1
	s_delay_alu instid0(SALU_CYCLE_1) | instskip(NEXT) | instid1(SALU_CYCLE_1)
	s_or_b32 exec_lo, exec_lo, s48
	s_and_not1_b32 s47, s47, exec_lo
	s_and_not1_b32 s46, s46, exec_lo
	s_or_b32 s45, s45, exec_lo
.LBB25_2485:                            ;   in Loop: Header=BB25_17 Depth=1
	s_or_b32 exec_lo, exec_lo, s41
	s_delay_alu instid0(SALU_CYCLE_1)
	s_and_b32 s41, s47, exec_lo
	s_and_b32 s46, s46, exec_lo
	;; [unrolled: 1-line block ×3, first 2 shown]
                                        ; implicit-def: $vgpr0_vgpr1
.LBB25_2486:                            ;   in Loop: Header=BB25_17 Depth=1
	s_and_not1_saveexec_b32 s40, s40
	s_cbranch_execz .LBB25_2512
; %bb.2487:                             ;   in Loop: Header=BB25_17 Depth=1
	s_mov_b32 s48, s45
	s_mov_b32 s47, exec_lo
                                        ; implicit-def: $vgpr13
	v_cmpx_lt_i16_e32 22, v2
	s_xor_b32 s47, exec_lo, s47
	s_cbranch_execz .LBB25_2501
; %bb.2488:                             ;   in Loop: Header=BB25_17 Depth=1
	s_mov_b32 s48, exec_lo
                                        ; implicit-def: $vgpr13
	v_cmpx_lt_i16_e32 23, v2
	s_xor_b32 s48, exec_lo, s48
	s_cbranch_execz .LBB25_2498
; %bb.2489:                             ;   in Loop: Header=BB25_17 Depth=1
	;; [unrolled: 6-line block ×3, first 2 shown]
	flat_load_u8 v0, v[0:1]
	s_mov_b32 s50, 0
	s_mov_b32 s52, exec_lo
                                        ; implicit-def: $sgpr51
	s_waitcnt vmcnt(0) lgkmcnt(0)
	v_cmpx_lt_i16_e32 0x7f, v0
	s_xor_b32 s52, exec_lo, s52
	s_cbranch_execnz .LBB25_3474
; %bb.2491:                             ;   in Loop: Header=BB25_17 Depth=1
	s_or_saveexec_b32 s52, s52
	v_mov_b32_e32 v13, s51
	s_xor_b32 exec_lo, exec_lo, s52
	s_cbranch_execnz .LBB25_3477
.LBB25_2492:                            ;   in Loop: Header=BB25_17 Depth=1
	s_or_b32 exec_lo, exec_lo, s52
	s_and_saveexec_b32 s51, s50
	s_cbranch_execz .LBB25_2494
.LBB25_2493:                            ;   in Loop: Header=BB25_17 Depth=1
	v_and_b32_e32 v1, 0xffff, v0
	v_lshlrev_b32_e32 v0, 24, v0
	s_delay_alu instid0(VALU_DEP_2) | instskip(NEXT) | instid1(VALU_DEP_2)
	v_and_b32_e32 v8, 3, v1
	v_and_b32_e32 v0, 0x80000000, v0
	s_delay_alu instid0(VALU_DEP_2) | instskip(NEXT) | instid1(VALU_DEP_1)
	v_clz_i32_u32_e32 v13, v8
	v_min_u32_e32 v13, 32, v13
	s_delay_alu instid0(VALU_DEP_1) | instskip(SKIP_1) | instid1(VALU_DEP_2)
	v_subrev_nc_u32_e32 v14, 29, v13
	v_sub_nc_u32_e32 v13, 30, v13
	v_lshlrev_b32_e32 v14, v14, v1
	v_bfe_u32 v1, v1, 2, 5
	s_delay_alu instid0(VALU_DEP_2) | instskip(NEXT) | instid1(VALU_DEP_2)
	v_and_b32_e32 v14, 3, v14
	v_cmp_eq_u32_e64 s0, 0, v1
	s_delay_alu instid0(VALU_DEP_1) | instskip(NEXT) | instid1(VALU_DEP_3)
	v_cndmask_b32_e64 v1, v1, v13, s0
	v_cndmask_b32_e64 v8, v8, v14, s0
	s_delay_alu instid0(VALU_DEP_2) | instskip(NEXT) | instid1(VALU_DEP_2)
	v_lshl_add_u32 v1, v1, 23, 0x37800000
	v_lshlrev_b32_e32 v8, 21, v8
	s_delay_alu instid0(VALU_DEP_1)
	v_or3_b32 v13, v0, v1, v8
.LBB25_2494:                            ;   in Loop: Header=BB25_17 Depth=1
	s_or_b32 exec_lo, exec_lo, s51
                                        ; implicit-def: $vgpr0_vgpr1
.LBB25_2495:                            ;   in Loop: Header=BB25_17 Depth=1
	s_and_not1_saveexec_b32 s49, s49
	s_cbranch_execz .LBB25_2497
; %bb.2496:                             ;   in Loop: Header=BB25_17 Depth=1
	flat_load_u8 v0, v[0:1]
	s_waitcnt vmcnt(0) lgkmcnt(0)
	v_lshlrev_b32_e32 v0, 24, v0
	s_delay_alu instid0(VALU_DEP_1) | instskip(NEXT) | instid1(VALU_DEP_1)
	v_and_b32_e32 v1, 0x7f000000, v0
	v_clz_i32_u32_e32 v8, v1
	v_add_nc_u32_e32 v14, 0x1000000, v1
	v_cmp_ne_u32_e64 s0, 0, v1
	s_delay_alu instid0(VALU_DEP_3) | instskip(NEXT) | instid1(VALU_DEP_1)
	v_min_u32_e32 v8, 32, v8
	v_sub_nc_u32_e64 v8, v8, 4 clamp
	s_delay_alu instid0(VALU_DEP_1) | instskip(SKIP_1) | instid1(VALU_DEP_2)
	v_lshlrev_b32_e32 v13, v8, v1
	v_lshlrev_b32_e32 v8, 23, v8
	v_lshrrev_b32_e32 v13, 4, v13
	s_delay_alu instid0(VALU_DEP_1) | instskip(SKIP_1) | instid1(VALU_DEP_2)
	v_sub_nc_u32_e32 v8, v13, v8
	v_ashrrev_i32_e32 v13, 8, v14
	v_add_nc_u32_e32 v8, 0x3c000000, v8
	s_delay_alu instid0(VALU_DEP_1) | instskip(NEXT) | instid1(VALU_DEP_1)
	v_and_or_b32 v8, 0x7f800000, v13, v8
	v_cndmask_b32_e64 v1, 0, v8, s0
	s_delay_alu instid0(VALU_DEP_1)
	v_and_or_b32 v13, 0x80000000, v0, v1
.LBB25_2497:                            ;   in Loop: Header=BB25_17 Depth=1
	s_or_b32 exec_lo, exec_lo, s49
                                        ; implicit-def: $vgpr0_vgpr1
.LBB25_2498:                            ;   in Loop: Header=BB25_17 Depth=1
	s_and_not1_saveexec_b32 s48, s48
	s_cbranch_execz .LBB25_2500
; %bb.2499:                             ;   in Loop: Header=BB25_17 Depth=1
	flat_load_u8 v0, v[0:1]
	s_waitcnt vmcnt(0) lgkmcnt(0)
	v_lshlrev_b32_e32 v1, 25, v0
	v_lshlrev_b16 v0, 8, v0
	s_delay_alu instid0(VALU_DEP_2) | instskip(NEXT) | instid1(VALU_DEP_2)
	v_lshrrev_b32_e32 v8, 4, v1
	v_and_or_b32 v13, 0x7f00, v0, 0.5
	v_cmp_gt_u32_e64 s0, 0x8000000, v1
	v_bfe_i32 v0, v0, 0, 16
	s_delay_alu instid0(VALU_DEP_4) | instskip(NEXT) | instid1(VALU_DEP_1)
	v_or_b32_e32 v8, 0x70000000, v8
	v_dual_add_f32 v13, -0.5, v13 :: v_dual_mul_f32 v8, 0x7800000, v8
	s_delay_alu instid0(VALU_DEP_1) | instskip(NEXT) | instid1(VALU_DEP_1)
	v_cndmask_b32_e64 v1, v8, v13, s0
	v_and_or_b32 v13, 0x80000000, v0, v1
.LBB25_2500:                            ;   in Loop: Header=BB25_17 Depth=1
	s_or_b32 exec_lo, exec_lo, s48
	s_delay_alu instid0(SALU_CYCLE_1)
	s_or_b32 s48, s45, exec_lo
                                        ; implicit-def: $vgpr0_vgpr1
.LBB25_2501:                            ;   in Loop: Header=BB25_17 Depth=1
	s_or_saveexec_b32 s47, s47
                                        ; implicit-def: $sgpr49
                                        ; implicit-def: $sgpr0
	s_delay_alu instid0(SALU_CYCLE_1)
	s_xor_b32 exec_lo, exec_lo, s47
	s_cbranch_execz .LBB25_2511
; %bb.2502:                             ;   in Loop: Header=BB25_17 Depth=1
	s_mov_b32 s50, s48
	s_mov_b32 s52, exec_lo
                                        ; implicit-def: $sgpr51
                                        ; implicit-def: $sgpr49
                                        ; implicit-def: $vgpr13
	v_cmpx_lt_i16_e32 14, v2
	s_xor_b32 s52, exec_lo, s52
	s_cbranch_execz .LBB25_2506
; %bb.2503:                             ;   in Loop: Header=BB25_17 Depth=1
	s_mov_b32 s50, s48
	s_mov_b32 s49, exec_lo
                                        ; implicit-def: $vgpr13
	v_cmpx_eq_u16_e32 15, v2
	s_cbranch_execz .LBB25_2505
; %bb.2504:                             ;   in Loop: Header=BB25_17 Depth=1
	flat_load_u16 v0, v[0:1]
	s_or_b32 s50, s48, exec_lo
	s_waitcnt vmcnt(0) lgkmcnt(0)
	v_lshlrev_b32_e32 v13, 16, v0
.LBB25_2505:                            ;   in Loop: Header=BB25_17 Depth=1
	s_or_b32 exec_lo, exec_lo, s49
	s_delay_alu instid0(SALU_CYCLE_1)
	s_and_not1_b32 s0, s48, exec_lo
	s_and_b32 s50, s50, exec_lo
	s_mov_b32 s49, -1
	s_mov_b32 s51, 0
	s_or_b32 s50, s0, s50
                                        ; implicit-def: $vgpr0_vgpr1
.LBB25_2506:                            ;   in Loop: Header=BB25_17 Depth=1
	s_and_not1_saveexec_b32 s52, s52
	s_cbranch_execz .LBB25_2510
; %bb.2507:                             ;   in Loop: Header=BB25_17 Depth=1
	s_mov_b32 s53, s50
	s_mov_b32 s54, exec_lo
                                        ; implicit-def: $vgpr13
	v_cmpx_eq_u16_e32 11, v2
	s_cbranch_execz .LBB25_2509
; %bb.2508:                             ;   in Loop: Header=BB25_17 Depth=1
	flat_load_u8 v0, v[0:1]
	s_or_b32 s53, s50, exec_lo
	s_waitcnt vmcnt(0) lgkmcnt(0)
	v_cmp_ne_u16_e64 s0, 0, v0
	s_delay_alu instid0(VALU_DEP_1)
	v_cndmask_b32_e64 v13, 0, 1.0, s0
.LBB25_2509:                            ;   in Loop: Header=BB25_17 Depth=1
	s_or_b32 exec_lo, exec_lo, s54
	s_delay_alu instid0(SALU_CYCLE_1)
	s_and_not1_b32 s0, s50, exec_lo
	s_and_b32 s50, s53, exec_lo
	s_and_not1_b32 s51, s51, exec_lo
	s_or_b32 s49, s49, exec_lo
	s_or_b32 s50, s0, s50
.LBB25_2510:                            ;   in Loop: Header=BB25_17 Depth=1
	s_or_b32 exec_lo, exec_lo, s52
	s_delay_alu instid0(SALU_CYCLE_1)
	s_and_not1_b32 s48, s48, exec_lo
	s_and_b32 s50, s50, exec_lo
	s_and_b32 s0, s51, exec_lo
	;; [unrolled: 1-line block ×3, first 2 shown]
	s_or_b32 s48, s48, s50
.LBB25_2511:                            ;   in Loop: Header=BB25_17 Depth=1
	s_or_b32 exec_lo, exec_lo, s47
	s_delay_alu instid0(SALU_CYCLE_1)
	s_and_not1_b32 s41, s41, exec_lo
	s_and_b32 s0, s0, exec_lo
	s_and_not1_b32 s45, s45, exec_lo
	s_or_b32 s41, s41, s0
	s_and_not1_b32 s0, s46, exec_lo
	s_and_b32 s46, s49, exec_lo
	s_and_b32 s47, s48, exec_lo
	s_or_b32 s46, s0, s46
	s_or_b32 s45, s45, s47
.LBB25_2512:                            ;   in Loop: Header=BB25_17 Depth=1
	s_or_b32 exec_lo, exec_lo, s40
	s_delay_alu instid0(SALU_CYCLE_1)
	s_and_b32 s41, s41, exec_lo
	s_and_b32 s40, s46, exec_lo
	;; [unrolled: 1-line block ×3, first 2 shown]
                                        ; implicit-def: $vgpr0_vgpr1
	s_and_not1_saveexec_b32 s44, s44
	s_cbranch_execz .LBB25_2337
.LBB25_2513:                            ;   in Loop: Header=BB25_17 Depth=1
	s_mov_b32 s46, exec_lo
                                        ; implicit-def: $vgpr13
	v_cmpx_lt_i16_e32 4, v2
	s_xor_b32 s46, exec_lo, s46
	s_cbranch_execz .LBB25_2535
; %bb.2514:                             ;   in Loop: Header=BB25_17 Depth=1
	s_mov_b32 s47, exec_lo
                                        ; implicit-def: $vgpr13
	v_cmpx_lt_i16_e32 7, v2
	s_xor_b32 s47, exec_lo, s47
	s_cbranch_execz .LBB25_2524
; %bb.2515:                             ;   in Loop: Header=BB25_17 Depth=1
	;; [unrolled: 6-line block ×3, first 2 shown]
	v_cmp_lt_i16_e64 s0, 9, v2
                                        ; implicit-def: $vgpr13
	s_delay_alu instid0(VALU_DEP_1) | instskip(NEXT) | instid1(SALU_CYCLE_1)
	s_and_saveexec_b32 s49, s0
	s_xor_b32 s0, exec_lo, s49
	s_cbranch_execz .LBB25_2518
; %bb.2517:                             ;   in Loop: Header=BB25_17 Depth=1
	flat_load_b64 v[0:1], v[0:1]
	s_waitcnt vmcnt(0) lgkmcnt(0)
	v_cvt_f32_f64_e32 v13, v[0:1]
                                        ; implicit-def: $vgpr0_vgpr1
.LBB25_2518:                            ;   in Loop: Header=BB25_17 Depth=1
	s_and_not1_saveexec_b32 s0, s0
	s_cbranch_execz .LBB25_2520
; %bb.2519:                             ;   in Loop: Header=BB25_17 Depth=1
	flat_load_b32 v13, v[0:1]
.LBB25_2520:                            ;   in Loop: Header=BB25_17 Depth=1
	s_or_b32 exec_lo, exec_lo, s0
                                        ; implicit-def: $vgpr0_vgpr1
.LBB25_2521:                            ;   in Loop: Header=BB25_17 Depth=1
	s_and_not1_saveexec_b32 s0, s48
	s_cbranch_execz .LBB25_2523
; %bb.2522:                             ;   in Loop: Header=BB25_17 Depth=1
	flat_load_b32 v0, v[0:1]
	s_waitcnt vmcnt(0) lgkmcnt(0)
	v_cvt_f32_f16_e32 v13, v0
.LBB25_2523:                            ;   in Loop: Header=BB25_17 Depth=1
	s_or_b32 exec_lo, exec_lo, s0
                                        ; implicit-def: $vgpr0_vgpr1
.LBB25_2524:                            ;   in Loop: Header=BB25_17 Depth=1
	s_and_not1_saveexec_b32 s47, s47
	s_cbranch_execz .LBB25_2534
; %bb.2525:                             ;   in Loop: Header=BB25_17 Depth=1
	s_mov_b32 s48, exec_lo
                                        ; implicit-def: $vgpr13
	v_cmpx_lt_i16_e32 5, v2
	s_xor_b32 s48, exec_lo, s48
	s_cbranch_execz .LBB25_2531
; %bb.2526:                             ;   in Loop: Header=BB25_17 Depth=1
	v_cmp_lt_i16_e64 s0, 6, v2
                                        ; implicit-def: $vgpr13
	s_delay_alu instid0(VALU_DEP_1) | instskip(NEXT) | instid1(SALU_CYCLE_1)
	s_and_saveexec_b32 s49, s0
	s_xor_b32 s0, exec_lo, s49
	s_cbranch_execz .LBB25_2528
; %bb.2527:                             ;   in Loop: Header=BB25_17 Depth=1
	flat_load_b64 v[0:1], v[0:1]
	s_waitcnt vmcnt(0) lgkmcnt(0)
	v_cvt_f32_f64_e32 v13, v[0:1]
                                        ; implicit-def: $vgpr0_vgpr1
.LBB25_2528:                            ;   in Loop: Header=BB25_17 Depth=1
	s_and_not1_saveexec_b32 s0, s0
	s_cbranch_execz .LBB25_2530
; %bb.2529:                             ;   in Loop: Header=BB25_17 Depth=1
	s_waitcnt vmcnt(0) lgkmcnt(0)
	flat_load_b32 v13, v[0:1]
.LBB25_2530:                            ;   in Loop: Header=BB25_17 Depth=1
	s_or_b32 exec_lo, exec_lo, s0
                                        ; implicit-def: $vgpr0_vgpr1
.LBB25_2531:                            ;   in Loop: Header=BB25_17 Depth=1
	s_and_not1_saveexec_b32 s0, s48
	s_cbranch_execz .LBB25_2533
; %bb.2532:                             ;   in Loop: Header=BB25_17 Depth=1
	flat_load_u16 v0, v[0:1]
	s_waitcnt vmcnt(0) lgkmcnt(0)
	v_cvt_f32_f16_e32 v13, v0
.LBB25_2533:                            ;   in Loop: Header=BB25_17 Depth=1
	s_or_b32 exec_lo, exec_lo, s0
.LBB25_2534:                            ;   in Loop: Header=BB25_17 Depth=1
	s_delay_alu instid0(SALU_CYCLE_1)
	s_or_b32 exec_lo, exec_lo, s47
                                        ; implicit-def: $vgpr0_vgpr1
.LBB25_2535:                            ;   in Loop: Header=BB25_17 Depth=1
	s_and_not1_saveexec_b32 s46, s46
	s_cbranch_execz .LBB25_2553
; %bb.2536:                             ;   in Loop: Header=BB25_17 Depth=1
	s_mov_b32 s47, exec_lo
                                        ; implicit-def: $vgpr13
	v_cmpx_lt_i16_e32 1, v2
	s_xor_b32 s47, exec_lo, s47
	s_cbranch_execz .LBB25_2546
; %bb.2537:                             ;   in Loop: Header=BB25_17 Depth=1
	s_mov_b32 s48, exec_lo
                                        ; implicit-def: $vgpr13
	v_cmpx_lt_i16_e32 2, v2
	s_xor_b32 s48, exec_lo, s48
	s_cbranch_execz .LBB25_2543
; %bb.2538:                             ;   in Loop: Header=BB25_17 Depth=1
	v_cmp_lt_i16_e64 s0, 3, v2
                                        ; implicit-def: $vgpr13
	s_delay_alu instid0(VALU_DEP_1) | instskip(NEXT) | instid1(SALU_CYCLE_1)
	s_and_saveexec_b32 s49, s0
	s_xor_b32 s0, exec_lo, s49
	s_cbranch_execz .LBB25_2540
; %bb.2539:                             ;   in Loop: Header=BB25_17 Depth=1
	flat_load_b64 v[0:1], v[0:1]
	s_waitcnt vmcnt(0) lgkmcnt(0)
	v_xor_b32_e32 v8, v0, v1
	v_cls_i32_e32 v13, v1
	s_delay_alu instid0(VALU_DEP_2) | instskip(NEXT) | instid1(VALU_DEP_2)
	v_ashrrev_i32_e32 v8, 31, v8
	v_add_nc_u32_e32 v13, -1, v13
	s_delay_alu instid0(VALU_DEP_2) | instskip(NEXT) | instid1(VALU_DEP_1)
	v_add_nc_u32_e32 v8, 32, v8
	v_min_u32_e32 v8, v13, v8
	s_delay_alu instid0(VALU_DEP_1) | instskip(NEXT) | instid1(VALU_DEP_1)
	v_lshlrev_b64 v[0:1], v8, v[0:1]
	v_min_u32_e32 v0, 1, v0
	s_delay_alu instid0(VALU_DEP_1) | instskip(SKIP_1) | instid1(VALU_DEP_2)
	v_or_b32_e32 v0, v1, v0
	v_sub_nc_u32_e32 v1, 32, v8
	v_cvt_f32_i32_e32 v0, v0
	s_delay_alu instid0(VALU_DEP_1)
	v_ldexp_f32 v13, v0, v1
                                        ; implicit-def: $vgpr0_vgpr1
.LBB25_2540:                            ;   in Loop: Header=BB25_17 Depth=1
	s_and_not1_saveexec_b32 s0, s0
	s_cbranch_execz .LBB25_2542
; %bb.2541:                             ;   in Loop: Header=BB25_17 Depth=1
	flat_load_b32 v0, v[0:1]
	s_waitcnt vmcnt(0) lgkmcnt(0)
	v_cvt_f32_i32_e32 v13, v0
.LBB25_2542:                            ;   in Loop: Header=BB25_17 Depth=1
	s_or_b32 exec_lo, exec_lo, s0
                                        ; implicit-def: $vgpr0_vgpr1
.LBB25_2543:                            ;   in Loop: Header=BB25_17 Depth=1
	s_and_not1_saveexec_b32 s0, s48
	s_cbranch_execz .LBB25_2545
; %bb.2544:                             ;   in Loop: Header=BB25_17 Depth=1
	flat_load_i16 v0, v[0:1]
	s_waitcnt vmcnt(0) lgkmcnt(0)
	v_cvt_f32_i32_e32 v13, v0
.LBB25_2545:                            ;   in Loop: Header=BB25_17 Depth=1
	s_or_b32 exec_lo, exec_lo, s0
                                        ; implicit-def: $vgpr0_vgpr1
.LBB25_2546:                            ;   in Loop: Header=BB25_17 Depth=1
	s_and_not1_saveexec_b32 s47, s47
	s_cbranch_execz .LBB25_2552
; %bb.2547:                             ;   in Loop: Header=BB25_17 Depth=1
	v_cmp_lt_i16_e64 s0, 0, v2
                                        ; implicit-def: $vgpr13
	s_delay_alu instid0(VALU_DEP_1) | instskip(NEXT) | instid1(SALU_CYCLE_1)
	s_and_saveexec_b32 s48, s0
	s_xor_b32 s0, exec_lo, s48
	s_cbranch_execz .LBB25_2549
; %bb.2548:                             ;   in Loop: Header=BB25_17 Depth=1
	flat_load_i8 v0, v[0:1]
	s_waitcnt vmcnt(0) lgkmcnt(0)
	v_cvt_f32_i32_e32 v13, v0
                                        ; implicit-def: $vgpr0_vgpr1
.LBB25_2549:                            ;   in Loop: Header=BB25_17 Depth=1
	s_and_not1_saveexec_b32 s0, s0
	s_cbranch_execz .LBB25_2551
; %bb.2550:                             ;   in Loop: Header=BB25_17 Depth=1
	flat_load_u8 v0, v[0:1]
	s_waitcnt vmcnt(0) lgkmcnt(0)
	v_cvt_f32_ubyte0_e32 v13, v0
.LBB25_2551:                            ;   in Loop: Header=BB25_17 Depth=1
	s_or_b32 exec_lo, exec_lo, s0
.LBB25_2552:                            ;   in Loop: Header=BB25_17 Depth=1
	s_delay_alu instid0(SALU_CYCLE_1)
	s_or_b32 exec_lo, exec_lo, s47
.LBB25_2553:                            ;   in Loop: Header=BB25_17 Depth=1
	s_delay_alu instid0(SALU_CYCLE_1) | instskip(NEXT) | instid1(SALU_CYCLE_1)
	s_or_b32 exec_lo, exec_lo, s46
	s_and_not1_b32 s41, s41, exec_lo
	s_and_not1_b32 s40, s40, exec_lo
	s_or_b32 s45, s45, exec_lo
	s_or_b32 exec_lo, exec_lo, s44
	s_mov_b32 s0, 0
	s_and_saveexec_b32 s44, s45
	s_cbranch_execz .LBB25_2559
.LBB25_2554:                            ;   in Loop: Header=BB25_17 Depth=1
	s_add_i32 s0, s33, 16
	s_mov_b32 s48, 0
	v_add_nc_u32_e64 v8, s1, s0
	s_mov_b32 s45, exec_lo
                                        ; implicit-def: $sgpr46
                                        ; implicit-def: $sgpr47
	s_delay_alu instid0(VALU_DEP_1) | instskip(SKIP_4) | instid1(VALU_DEP_2)
	v_add_nc_u32_e32 v0, 0x5c, v8
	s_waitcnt vmcnt(0) lgkmcnt(0)
	scratch_store_b32 v0, v13, off
	v_mul_lo_u32 v0, v12, v11
	v_and_b32_e32 v13, 0xff, v9
                                        ; implicit-def: $vgpr12
	v_add_co_u32 v0, s0, v5, v0
	s_delay_alu instid0(VALU_DEP_1) | instskip(NEXT) | instid1(VALU_DEP_3)
	v_add_co_ci_u32_e64 v1, s0, 0, v6, s0
	v_cmpx_lt_i16_e32 10, v13
	s_xor_b32 s45, exec_lo, s45
	s_cbranch_execnz .LBB25_2581
; %bb.2555:                             ;   in Loop: Header=BB25_17 Depth=1
	s_and_not1_saveexec_b32 s45, s45
	s_cbranch_execnz .LBB25_2640
.LBB25_2556:                            ;   in Loop: Header=BB25_17 Depth=1
	s_or_b32 exec_lo, exec_lo, s45
	s_mov_b32 s0, 0
	s_and_saveexec_b32 s45, s48
	s_cbranch_execz .LBB25_2558
.LBB25_2557:                            ;   in Loop: Header=BB25_17 Depth=1
	v_add_nc_u32_e32 v0, 0x58, v8
	v_add_nc_u32_e32 v7, 0x200, v7
	s_mov_b32 s0, exec_lo
	s_and_not1_b32 s47, s47, exec_lo
	s_and_not1_b32 s46, s46, exec_lo
	s_waitcnt vmcnt(0) lgkmcnt(0)
	scratch_store_b32 v0, v12, off
.LBB25_2558:                            ;   in Loop: Header=BB25_17 Depth=1
	s_or_b32 exec_lo, exec_lo, s45
	s_delay_alu instid0(SALU_CYCLE_1)
	s_and_not1_b32 s41, s41, exec_lo
	s_and_b32 s45, s47, exec_lo
	s_and_not1_b32 s40, s40, exec_lo
	s_and_b32 s46, s46, exec_lo
	s_or_b32 s41, s41, s45
	s_or_b32 s40, s40, s46
	s_and_b32 s0, s0, exec_lo
.LBB25_2559:                            ;   in Loop: Header=BB25_17 Depth=1
	s_or_b32 exec_lo, exec_lo, s44
	s_delay_alu instid0(SALU_CYCLE_1)
	s_and_b32 s41, s41, exec_lo
	s_and_b32 s40, s40, exec_lo
	s_or_not1_b32 s44, s0, exec_lo
.LBB25_2560:                            ;   in Loop: Header=BB25_17 Depth=1
	s_or_b32 exec_lo, exec_lo, s42
	s_and_saveexec_b32 s42, s44
	s_cbranch_execz .LBB25_5
; %bb.2561:                             ;   in Loop: Header=BB25_17 Depth=1
	s_mov_b32 s46, -1
	s_mov_b32 s47, -1
	s_mov_b32 s45, exec_lo
                                        ; implicit-def: $sgpr43
                                        ; implicit-def: $sgpr44
	v_cmpx_lt_i32_e64 v7, v146
	s_cbranch_execz .LBB25_2787
; %bb.2562:                             ;   in Loop: Header=BB25_17 Depth=1
	s_waitcnt vmcnt(0) lgkmcnt(0)
	v_add_nc_u32_e32 v12, s38, v7
	s_mov_b32 s48, 0
	s_mov_b32 s47, exec_lo
                                        ; implicit-def: $sgpr43
                                        ; implicit-def: $sgpr44
                                        ; implicit-def: $vgpr13
	s_delay_alu instid0(VALU_DEP_1) | instskip(NEXT) | instid1(VALU_DEP_1)
	v_mul_lo_u32 v0, v12, v10
	v_add_co_u32 v0, s0, v3, v0
	s_delay_alu instid0(VALU_DEP_1)
	v_add_co_ci_u32_e64 v1, s0, 0, v4, s0
	v_cmpx_lt_i16_e32 10, v2
	s_xor_b32 s47, exec_lo, s47
	s_cbranch_execnz .LBB25_2681
; %bb.2563:                             ;   in Loop: Header=BB25_17 Depth=1
	s_and_not1_saveexec_b32 s47, s47
	s_cbranch_execnz .LBB25_2740
.LBB25_2564:                            ;   in Loop: Header=BB25_17 Depth=1
	s_or_b32 exec_lo, exec_lo, s47
	s_mov_b32 s0, 0
	s_and_saveexec_b32 s47, s48
	s_cbranch_execnz .LBB25_2781
	s_branch .LBB25_2786
.LBB25_2565:                            ;   in Loop: Header=BB25_17 Depth=1
	s_mov_b32 s37, -1
	s_mov_b32 s41, exec_lo
                                        ; implicit-def: $sgpr39
	v_cmpx_eq_u16_e32 0x80, v0
; %bb.2566:                             ;   in Loop: Header=BB25_17 Depth=1
	s_mov_b32 s39, 0x7f800001
	s_xor_b32 s37, exec_lo, -1
; %bb.2567:                             ;   in Loop: Header=BB25_17 Depth=1
	s_or_b32 exec_lo, exec_lo, s41
	s_delay_alu instid0(SALU_CYCLE_1)
	s_and_b32 s37, s37, exec_lo
	s_or_saveexec_b32 s40, s40
	v_mov_b32_e32 v12, s39
	s_xor_b32 exec_lo, exec_lo, s40
	s_cbranch_execz .LBB25_1484
.LBB25_2568:                            ;   in Loop: Header=BB25_17 Depth=1
	v_cmp_ne_u16_e64 s0, 0, v0
	v_mov_b32_e32 v12, 0
	s_and_not1_b32 s37, s37, exec_lo
	s_delay_alu instid0(VALU_DEP_2) | instskip(NEXT) | instid1(SALU_CYCLE_1)
	s_and_b32 s0, s0, exec_lo
	s_or_b32 s37, s37, s0
	s_or_b32 exec_lo, exec_lo, s40
	s_and_saveexec_b32 s39, s37
	s_cbranch_execnz .LBB25_1485
	s_branch .LBB25_1486
.LBB25_2569:                            ;   in Loop: Header=BB25_17 Depth=1
	s_mov_b32 s37, -1
	s_mov_b32 s41, exec_lo
                                        ; implicit-def: $sgpr39
	v_cmpx_eq_u16_e32 0x80, v0
; %bb.2570:                             ;   in Loop: Header=BB25_17 Depth=1
	s_mov_b32 s39, 0x7f800001
	s_xor_b32 s37, exec_lo, -1
; %bb.2571:                             ;   in Loop: Header=BB25_17 Depth=1
	s_or_b32 exec_lo, exec_lo, s41
	s_delay_alu instid0(SALU_CYCLE_1)
	s_and_b32 s37, s37, exec_lo
	s_or_saveexec_b32 s40, s40
	v_mov_b32_e32 v13, s39
	s_xor_b32 exec_lo, exec_lo, s40
	s_cbranch_execz .LBB25_1584
.LBB25_2572:                            ;   in Loop: Header=BB25_17 Depth=1
	v_cmp_ne_u16_e64 s0, 0, v0
	v_mov_b32_e32 v13, 0
	s_and_not1_b32 s37, s37, exec_lo
	s_delay_alu instid0(VALU_DEP_2) | instskip(NEXT) | instid1(SALU_CYCLE_1)
	s_and_b32 s0, s0, exec_lo
	s_or_b32 s37, s37, s0
	s_or_b32 exec_lo, exec_lo, s40
	s_and_saveexec_b32 s39, s37
	s_cbranch_execnz .LBB25_1585
	s_branch .LBB25_1586
.LBB25_2573:                            ;   in Loop: Header=BB25_17 Depth=1
	s_mov_b32 s40, -1
	s_mov_b32 s43, exec_lo
                                        ; implicit-def: $sgpr41
	v_cmpx_eq_u16_e32 0x80, v0
; %bb.2574:                             ;   in Loop: Header=BB25_17 Depth=1
	s_mov_b32 s41, 0x7f800001
	s_xor_b32 s40, exec_lo, -1
; %bb.2575:                             ;   in Loop: Header=BB25_17 Depth=1
	s_or_b32 exec_lo, exec_lo, s43
	s_delay_alu instid0(SALU_CYCLE_1)
	s_and_b32 s40, s40, exec_lo
	s_or_saveexec_b32 s42, s42
	v_mov_b32_e32 v12, s41
	s_xor_b32 exec_lo, exec_lo, s42
	s_cbranch_execz .LBB25_1700
.LBB25_2576:                            ;   in Loop: Header=BB25_17 Depth=1
	v_cmp_ne_u16_e64 s0, 0, v0
	v_mov_b32_e32 v12, 0
	s_and_not1_b32 s40, s40, exec_lo
	s_delay_alu instid0(VALU_DEP_2) | instskip(NEXT) | instid1(SALU_CYCLE_1)
	s_and_b32 s0, s0, exec_lo
	s_or_b32 s40, s40, s0
	s_or_b32 exec_lo, exec_lo, s42
	s_and_saveexec_b32 s41, s40
	s_cbranch_execnz .LBB25_1701
	s_branch .LBB25_1702
.LBB25_2577:                            ;   in Loop: Header=BB25_17 Depth=1
	s_mov_b32 s40, -1
	s_mov_b32 s43, exec_lo
                                        ; implicit-def: $sgpr41
	v_cmpx_eq_u16_e32 0x80, v0
; %bb.2578:                             ;   in Loop: Header=BB25_17 Depth=1
	s_mov_b32 s41, 0x7f800001
	s_xor_b32 s40, exec_lo, -1
; %bb.2579:                             ;   in Loop: Header=BB25_17 Depth=1
	s_or_b32 exec_lo, exec_lo, s43
	s_delay_alu instid0(SALU_CYCLE_1)
	s_and_b32 s40, s40, exec_lo
	s_or_saveexec_b32 s42, s42
	v_mov_b32_e32 v13, s41
	s_xor_b32 exec_lo, exec_lo, s42
	s_cbranch_execz .LBB25_1800
.LBB25_2580:                            ;   in Loop: Header=BB25_17 Depth=1
	v_cmp_ne_u16_e64 s0, 0, v0
	v_mov_b32_e32 v13, 0
	s_and_not1_b32 s40, s40, exec_lo
	s_delay_alu instid0(VALU_DEP_2) | instskip(NEXT) | instid1(SALU_CYCLE_1)
	s_and_b32 s0, s0, exec_lo
	s_or_b32 s40, s40, s0
	s_or_b32 exec_lo, exec_lo, s42
	s_and_saveexec_b32 s41, s40
	s_cbranch_execnz .LBB25_1801
	s_branch .LBB25_1802
.LBB25_2581:                            ;   in Loop: Header=BB25_17 Depth=1
	s_mov_b32 s46, exec_lo
                                        ; implicit-def: $sgpr49
                                        ; implicit-def: $sgpr47
                                        ; implicit-def: $vgpr12
	v_cmpx_lt_i16_e32 25, v13
	s_xor_b32 s46, exec_lo, s46
	s_cbranch_execz .LBB25_2613
; %bb.2582:                             ;   in Loop: Header=BB25_17 Depth=1
	s_mov_b32 s47, exec_lo
                                        ; implicit-def: $sgpr49
                                        ; implicit-def: $sgpr50
                                        ; implicit-def: $vgpr12
	v_cmpx_lt_i16_e32 28, v13
	s_xor_b32 s47, exec_lo, s47
	s_cbranch_execz .LBB25_2598
; %bb.2583:                             ;   in Loop: Header=BB25_17 Depth=1
	s_mov_b32 s51, 0
	s_mov_b32 s48, exec_lo
                                        ; implicit-def: $sgpr49
                                        ; implicit-def: $sgpr50
                                        ; implicit-def: $vgpr12
	v_cmpx_lt_i16_e32 43, v13
	s_xor_b32 s48, exec_lo, s48
	s_cbranch_execz .LBB25_2593
; %bb.2584:                             ;   in Loop: Header=BB25_17 Depth=1
	s_mov_b32 s52, exec_lo
                                        ; implicit-def: $sgpr50
                                        ; implicit-def: $sgpr49
                                        ; implicit-def: $vgpr12
	v_cmpx_lt_i16_e32 45, v13
	s_xor_b32 s52, exec_lo, s52
	s_cbranch_execz .LBB25_2588
; %bb.2585:                             ;   in Loop: Header=BB25_17 Depth=1
	s_mov_b32 s49, 0
	s_mov_b32 s50, exec_lo
                                        ; implicit-def: $vgpr12
	v_cmpx_eq_u16_e32 46, v13
	s_cbranch_execz .LBB25_2587
; %bb.2586:                             ;   in Loop: Header=BB25_17 Depth=1
	flat_load_b32 v0, v[0:1]
	s_mov_b32 s51, exec_lo
	s_waitcnt vmcnt(0) lgkmcnt(0)
	v_lshlrev_b32_e32 v12, 16, v0
.LBB25_2587:                            ;   in Loop: Header=BB25_17 Depth=1
	s_or_b32 exec_lo, exec_lo, s50
	s_mov_b32 s50, -1
	s_and_b32 s51, s51, exec_lo
                                        ; implicit-def: $vgpr13
                                        ; implicit-def: $vgpr0_vgpr1
.LBB25_2588:                            ;   in Loop: Header=BB25_17 Depth=1
	s_and_not1_saveexec_b32 s52, s52
	s_cbranch_execz .LBB25_2592
; %bb.2589:                             ;   in Loop: Header=BB25_17 Depth=1
	s_mov_b32 s54, s51
	s_mov_b32 s53, exec_lo
                                        ; implicit-def: $vgpr12
	v_cmpx_eq_u16_e32 44, v13
	s_cbranch_execz .LBB25_2591
; %bb.2590:                             ;   in Loop: Header=BB25_17 Depth=1
	flat_load_u8 v0, v[0:1]
	s_or_b32 s54, s51, exec_lo
	s_waitcnt vmcnt(0) lgkmcnt(0)
	v_lshlrev_b32_e32 v1, 23, v0
	v_cmp_ne_u32_e64 s0, 0xff, v0
	s_delay_alu instid0(VALU_DEP_1) | instskip(SKIP_1) | instid1(VALU_DEP_1)
	v_cndmask_b32_e64 v1, 0x7f800001, v1, s0
	v_cmp_ne_u32_e64 s0, 0, v0
	v_cndmask_b32_e64 v12, 0x400000, v1, s0
.LBB25_2591:                            ;   in Loop: Header=BB25_17 Depth=1
	s_or_b32 exec_lo, exec_lo, s53
	s_delay_alu instid0(SALU_CYCLE_1)
	s_and_not1_b32 s0, s51, exec_lo
	s_and_b32 s51, s54, exec_lo
	s_or_b32 s50, s50, exec_lo
	s_and_not1_b32 s49, s49, exec_lo
	s_or_b32 s51, s0, s51
.LBB25_2592:                            ;   in Loop: Header=BB25_17 Depth=1
	s_or_b32 exec_lo, exec_lo, s52
	s_delay_alu instid0(SALU_CYCLE_1)
	s_and_b32 s50, s50, exec_lo
	s_and_b32 s49, s49, exec_lo
	;; [unrolled: 1-line block ×3, first 2 shown]
                                        ; implicit-def: $vgpr13
                                        ; implicit-def: $vgpr0_vgpr1
.LBB25_2593:                            ;   in Loop: Header=BB25_17 Depth=1
	s_and_not1_saveexec_b32 s48, s48
	s_cbranch_execz .LBB25_2597
; %bb.2594:                             ;   in Loop: Header=BB25_17 Depth=1
	s_mov_b32 s53, s51
	s_mov_b32 s52, exec_lo
                                        ; implicit-def: $vgpr12
	v_cmpx_eq_u16_e32 29, v13
	s_cbranch_execz .LBB25_2596
; %bb.2595:                             ;   in Loop: Header=BB25_17 Depth=1
	flat_load_b64 v[0:1], v[0:1]
	s_or_b32 s53, s51, exec_lo
	s_waitcnt vmcnt(0) lgkmcnt(0)
	v_clz_i32_u32_e32 v12, v1
	s_delay_alu instid0(VALU_DEP_1) | instskip(NEXT) | instid1(VALU_DEP_1)
	v_min_u32_e32 v12, 32, v12
	v_lshlrev_b64 v[0:1], v12, v[0:1]
	s_delay_alu instid0(VALU_DEP_1) | instskip(NEXT) | instid1(VALU_DEP_1)
	v_min_u32_e32 v0, 1, v0
	v_or_b32_e32 v0, v1, v0
	v_sub_nc_u32_e32 v1, 32, v12
	s_delay_alu instid0(VALU_DEP_2) | instskip(NEXT) | instid1(VALU_DEP_1)
	v_cvt_f32_u32_e32 v0, v0
	v_ldexp_f32 v12, v0, v1
.LBB25_2596:                            ;   in Loop: Header=BB25_17 Depth=1
	s_or_b32 exec_lo, exec_lo, s52
	s_delay_alu instid0(SALU_CYCLE_1)
	s_and_not1_b32 s0, s51, exec_lo
	s_and_b32 s51, s53, exec_lo
	s_or_b32 s50, s50, exec_lo
	s_and_not1_b32 s49, s49, exec_lo
	s_or_b32 s51, s0, s51
.LBB25_2597:                            ;   in Loop: Header=BB25_17 Depth=1
	s_or_b32 exec_lo, exec_lo, s48
	s_delay_alu instid0(SALU_CYCLE_1)
	s_and_b32 s50, s50, exec_lo
	s_and_b32 s49, s49, exec_lo
	;; [unrolled: 1-line block ×3, first 2 shown]
                                        ; implicit-def: $vgpr13
                                        ; implicit-def: $vgpr0_vgpr1
.LBB25_2598:                            ;   in Loop: Header=BB25_17 Depth=1
	s_and_not1_saveexec_b32 s47, s47
	s_cbranch_execz .LBB25_2612
; %bb.2599:                             ;   in Loop: Header=BB25_17 Depth=1
	s_mov_b32 s51, exec_lo
                                        ; implicit-def: $vgpr12
	v_cmpx_lt_i16_e32 26, v13
	s_xor_b32 s51, exec_lo, s51
	s_cbranch_execz .LBB25_2605
; %bb.2600:                             ;   in Loop: Header=BB25_17 Depth=1
	v_cmp_lt_i16_e64 s0, 27, v13
                                        ; implicit-def: $vgpr12
	s_delay_alu instid0(VALU_DEP_1) | instskip(NEXT) | instid1(SALU_CYCLE_1)
	s_and_saveexec_b32 s52, s0
	s_xor_b32 s0, exec_lo, s52
	s_cbranch_execz .LBB25_2602
; %bb.2601:                             ;   in Loop: Header=BB25_17 Depth=1
	flat_load_b32 v0, v[0:1]
	s_waitcnt vmcnt(0) lgkmcnt(0)
	v_cvt_f32_u32_e32 v12, v0
                                        ; implicit-def: $vgpr0_vgpr1
.LBB25_2602:                            ;   in Loop: Header=BB25_17 Depth=1
	s_and_not1_saveexec_b32 s0, s0
	s_cbranch_execz .LBB25_2604
; %bb.2603:                             ;   in Loop: Header=BB25_17 Depth=1
	flat_load_u16 v0, v[0:1]
	s_waitcnt vmcnt(0) lgkmcnt(0)
	v_cvt_f32_u32_e32 v12, v0
.LBB25_2604:                            ;   in Loop: Header=BB25_17 Depth=1
	s_or_b32 exec_lo, exec_lo, s0
                                        ; implicit-def: $vgpr0_vgpr1
.LBB25_2605:                            ;   in Loop: Header=BB25_17 Depth=1
	s_and_not1_saveexec_b32 s51, s51
	s_cbranch_execz .LBB25_2611
; %bb.2606:                             ;   in Loop: Header=BB25_17 Depth=1
	flat_load_u8 v0, v[0:1]
	s_mov_b32 s52, 0
	s_mov_b32 s54, exec_lo
                                        ; implicit-def: $sgpr53
	s_waitcnt vmcnt(0) lgkmcnt(0)
	v_cmpx_lt_i16_e32 0x7f, v0
	s_xor_b32 s54, exec_lo, s54
	s_cbranch_execnz .LBB25_3478
; %bb.2607:                             ;   in Loop: Header=BB25_17 Depth=1
	s_or_saveexec_b32 s54, s54
	v_mov_b32_e32 v12, s53
	s_xor_b32 exec_lo, exec_lo, s54
	s_cbranch_execnz .LBB25_3481
.LBB25_2608:                            ;   in Loop: Header=BB25_17 Depth=1
	s_or_b32 exec_lo, exec_lo, s54
	s_and_saveexec_b32 s53, s52
	s_cbranch_execz .LBB25_2610
.LBB25_2609:                            ;   in Loop: Header=BB25_17 Depth=1
	v_and_b32_e32 v1, 0xffff, v0
	v_lshlrev_b32_e32 v0, 24, v0
	s_delay_alu instid0(VALU_DEP_2) | instskip(NEXT) | instid1(VALU_DEP_2)
	v_and_b32_e32 v12, 7, v1
	v_and_b32_e32 v0, 0x80000000, v0
	s_delay_alu instid0(VALU_DEP_2) | instskip(NEXT) | instid1(VALU_DEP_1)
	v_clz_i32_u32_e32 v13, v12
	v_min_u32_e32 v13, 32, v13
	s_delay_alu instid0(VALU_DEP_1) | instskip(SKIP_1) | instid1(VALU_DEP_2)
	v_subrev_nc_u32_e32 v14, 28, v13
	v_sub_nc_u32_e32 v13, 29, v13
	v_lshlrev_b32_e32 v14, v14, v1
	v_bfe_u32 v1, v1, 3, 4
	s_delay_alu instid0(VALU_DEP_2) | instskip(NEXT) | instid1(VALU_DEP_2)
	v_and_b32_e32 v14, 7, v14
	v_cmp_eq_u32_e64 s0, 0, v1
	s_delay_alu instid0(VALU_DEP_1) | instskip(NEXT) | instid1(VALU_DEP_3)
	v_cndmask_b32_e64 v1, v1, v13, s0
	v_cndmask_b32_e64 v12, v12, v14, s0
	s_delay_alu instid0(VALU_DEP_2) | instskip(NEXT) | instid1(VALU_DEP_2)
	v_lshl_add_u32 v1, v1, 23, 0x3b800000
	v_lshlrev_b32_e32 v12, 20, v12
	s_delay_alu instid0(VALU_DEP_1)
	v_or3_b32 v12, v0, v1, v12
.LBB25_2610:                            ;   in Loop: Header=BB25_17 Depth=1
	s_or_b32 exec_lo, exec_lo, s53
.LBB25_2611:                            ;   in Loop: Header=BB25_17 Depth=1
	s_delay_alu instid0(SALU_CYCLE_1) | instskip(NEXT) | instid1(SALU_CYCLE_1)
	s_or_b32 exec_lo, exec_lo, s51
	s_and_not1_b32 s50, s50, exec_lo
	s_and_not1_b32 s49, s49, exec_lo
	s_or_b32 s48, s48, exec_lo
.LBB25_2612:                            ;   in Loop: Header=BB25_17 Depth=1
	s_or_b32 exec_lo, exec_lo, s47
	s_delay_alu instid0(SALU_CYCLE_1)
	s_and_b32 s47, s50, exec_lo
	s_and_b32 s49, s49, exec_lo
	;; [unrolled: 1-line block ×3, first 2 shown]
                                        ; implicit-def: $vgpr13
                                        ; implicit-def: $vgpr0_vgpr1
.LBB25_2613:                            ;   in Loop: Header=BB25_17 Depth=1
	s_and_not1_saveexec_b32 s46, s46
	s_cbranch_execz .LBB25_2639
; %bb.2614:                             ;   in Loop: Header=BB25_17 Depth=1
	s_mov_b32 s51, s48
	s_mov_b32 s50, exec_lo
                                        ; implicit-def: $vgpr12
	v_cmpx_lt_i16_e32 22, v13
	s_xor_b32 s50, exec_lo, s50
	s_cbranch_execz .LBB25_2628
; %bb.2615:                             ;   in Loop: Header=BB25_17 Depth=1
	s_mov_b32 s51, exec_lo
                                        ; implicit-def: $vgpr12
	v_cmpx_lt_i16_e32 23, v13
	s_xor_b32 s51, exec_lo, s51
	s_cbranch_execz .LBB25_2625
; %bb.2616:                             ;   in Loop: Header=BB25_17 Depth=1
	;; [unrolled: 6-line block ×3, first 2 shown]
	flat_load_u8 v0, v[0:1]
	s_mov_b32 s53, 0
	s_mov_b32 s55, exec_lo
                                        ; implicit-def: $sgpr54
	s_waitcnt vmcnt(0) lgkmcnt(0)
	v_cmpx_lt_i16_e32 0x7f, v0
	s_xor_b32 s55, exec_lo, s55
	s_cbranch_execnz .LBB25_3586
; %bb.2618:                             ;   in Loop: Header=BB25_17 Depth=1
	s_or_saveexec_b32 s55, s55
	v_mov_b32_e32 v12, s54
	s_xor_b32 exec_lo, exec_lo, s55
	s_cbranch_execnz .LBB25_3589
.LBB25_2619:                            ;   in Loop: Header=BB25_17 Depth=1
	s_or_b32 exec_lo, exec_lo, s55
	s_and_saveexec_b32 s54, s53
	s_cbranch_execz .LBB25_2621
.LBB25_2620:                            ;   in Loop: Header=BB25_17 Depth=1
	v_and_b32_e32 v1, 0xffff, v0
	v_lshlrev_b32_e32 v0, 24, v0
	s_delay_alu instid0(VALU_DEP_2) | instskip(NEXT) | instid1(VALU_DEP_2)
	v_and_b32_e32 v12, 3, v1
	v_and_b32_e32 v0, 0x80000000, v0
	s_delay_alu instid0(VALU_DEP_2) | instskip(NEXT) | instid1(VALU_DEP_1)
	v_clz_i32_u32_e32 v13, v12
	v_min_u32_e32 v13, 32, v13
	s_delay_alu instid0(VALU_DEP_1) | instskip(SKIP_1) | instid1(VALU_DEP_2)
	v_subrev_nc_u32_e32 v14, 29, v13
	v_sub_nc_u32_e32 v13, 30, v13
	v_lshlrev_b32_e32 v14, v14, v1
	v_bfe_u32 v1, v1, 2, 5
	s_delay_alu instid0(VALU_DEP_2) | instskip(NEXT) | instid1(VALU_DEP_2)
	v_and_b32_e32 v14, 3, v14
	v_cmp_eq_u32_e64 s0, 0, v1
	s_delay_alu instid0(VALU_DEP_1) | instskip(NEXT) | instid1(VALU_DEP_3)
	v_cndmask_b32_e64 v1, v1, v13, s0
	v_cndmask_b32_e64 v12, v12, v14, s0
	s_delay_alu instid0(VALU_DEP_2) | instskip(NEXT) | instid1(VALU_DEP_2)
	v_lshl_add_u32 v1, v1, 23, 0x37800000
	v_lshlrev_b32_e32 v12, 21, v12
	s_delay_alu instid0(VALU_DEP_1)
	v_or3_b32 v12, v0, v1, v12
.LBB25_2621:                            ;   in Loop: Header=BB25_17 Depth=1
	s_or_b32 exec_lo, exec_lo, s54
                                        ; implicit-def: $vgpr0_vgpr1
.LBB25_2622:                            ;   in Loop: Header=BB25_17 Depth=1
	s_and_not1_saveexec_b32 s52, s52
	s_cbranch_execz .LBB25_2624
; %bb.2623:                             ;   in Loop: Header=BB25_17 Depth=1
	flat_load_u8 v0, v[0:1]
	s_waitcnt vmcnt(0) lgkmcnt(0)
	v_lshlrev_b32_e32 v0, 24, v0
	s_delay_alu instid0(VALU_DEP_1) | instskip(NEXT) | instid1(VALU_DEP_1)
	v_and_b32_e32 v1, 0x7f000000, v0
	v_clz_i32_u32_e32 v12, v1
	v_add_nc_u32_e32 v14, 0x1000000, v1
	v_cmp_ne_u32_e64 s0, 0, v1
	s_delay_alu instid0(VALU_DEP_3) | instskip(NEXT) | instid1(VALU_DEP_1)
	v_min_u32_e32 v12, 32, v12
	v_sub_nc_u32_e64 v12, v12, 4 clamp
	s_delay_alu instid0(VALU_DEP_1) | instskip(SKIP_1) | instid1(VALU_DEP_2)
	v_lshlrev_b32_e32 v13, v12, v1
	v_lshlrev_b32_e32 v12, 23, v12
	v_lshrrev_b32_e32 v13, 4, v13
	s_delay_alu instid0(VALU_DEP_1) | instskip(SKIP_1) | instid1(VALU_DEP_2)
	v_sub_nc_u32_e32 v12, v13, v12
	v_ashrrev_i32_e32 v13, 8, v14
	v_add_nc_u32_e32 v12, 0x3c000000, v12
	s_delay_alu instid0(VALU_DEP_1) | instskip(NEXT) | instid1(VALU_DEP_1)
	v_and_or_b32 v12, 0x7f800000, v13, v12
	v_cndmask_b32_e64 v1, 0, v12, s0
	s_delay_alu instid0(VALU_DEP_1)
	v_and_or_b32 v12, 0x80000000, v0, v1
.LBB25_2624:                            ;   in Loop: Header=BB25_17 Depth=1
	s_or_b32 exec_lo, exec_lo, s52
                                        ; implicit-def: $vgpr0_vgpr1
.LBB25_2625:                            ;   in Loop: Header=BB25_17 Depth=1
	s_and_not1_saveexec_b32 s51, s51
	s_cbranch_execz .LBB25_2627
; %bb.2626:                             ;   in Loop: Header=BB25_17 Depth=1
	flat_load_u8 v0, v[0:1]
	s_waitcnt vmcnt(0) lgkmcnt(0)
	v_lshlrev_b32_e32 v1, 25, v0
	v_lshlrev_b16 v0, 8, v0
	s_delay_alu instid0(VALU_DEP_2) | instskip(NEXT) | instid1(VALU_DEP_2)
	v_lshrrev_b32_e32 v12, 4, v1
	v_and_or_b32 v13, 0x7f00, v0, 0.5
	v_cmp_gt_u32_e64 s0, 0x8000000, v1
	v_bfe_i32 v0, v0, 0, 16
	s_delay_alu instid0(VALU_DEP_4) | instskip(NEXT) | instid1(VALU_DEP_1)
	v_or_b32_e32 v12, 0x70000000, v12
	v_dual_add_f32 v13, -0.5, v13 :: v_dual_mul_f32 v12, 0x7800000, v12
	s_delay_alu instid0(VALU_DEP_1) | instskip(NEXT) | instid1(VALU_DEP_1)
	v_cndmask_b32_e64 v1, v12, v13, s0
	v_and_or_b32 v12, 0x80000000, v0, v1
.LBB25_2627:                            ;   in Loop: Header=BB25_17 Depth=1
	s_or_b32 exec_lo, exec_lo, s51
	s_delay_alu instid0(SALU_CYCLE_1)
	s_or_b32 s51, s48, exec_lo
                                        ; implicit-def: $vgpr13
                                        ; implicit-def: $vgpr0_vgpr1
.LBB25_2628:                            ;   in Loop: Header=BB25_17 Depth=1
	s_or_saveexec_b32 s50, s50
                                        ; implicit-def: $sgpr52
                                        ; implicit-def: $sgpr0
	s_delay_alu instid0(SALU_CYCLE_1)
	s_xor_b32 exec_lo, exec_lo, s50
	s_cbranch_execz .LBB25_2638
; %bb.2629:                             ;   in Loop: Header=BB25_17 Depth=1
	s_mov_b32 s53, s51
	s_mov_b32 s55, exec_lo
                                        ; implicit-def: $sgpr54
                                        ; implicit-def: $sgpr52
                                        ; implicit-def: $vgpr12
	v_cmpx_lt_i16_e32 14, v13
	s_xor_b32 s55, exec_lo, s55
	s_cbranch_execz .LBB25_2633
; %bb.2630:                             ;   in Loop: Header=BB25_17 Depth=1
	s_mov_b32 s53, s51
	s_mov_b32 s52, exec_lo
                                        ; implicit-def: $vgpr12
	v_cmpx_eq_u16_e32 15, v13
	s_cbranch_execz .LBB25_2632
; %bb.2631:                             ;   in Loop: Header=BB25_17 Depth=1
	flat_load_u16 v0, v[0:1]
	s_or_b32 s53, s51, exec_lo
	s_waitcnt vmcnt(0) lgkmcnt(0)
	v_lshlrev_b32_e32 v12, 16, v0
.LBB25_2632:                            ;   in Loop: Header=BB25_17 Depth=1
	s_or_b32 exec_lo, exec_lo, s52
	s_delay_alu instid0(SALU_CYCLE_1)
	s_and_not1_b32 s0, s51, exec_lo
	s_and_b32 s53, s53, exec_lo
	s_mov_b32 s52, 0
	s_mov_b32 s54, -1
	s_or_b32 s53, s0, s53
                                        ; implicit-def: $vgpr13
                                        ; implicit-def: $vgpr0_vgpr1
.LBB25_2633:                            ;   in Loop: Header=BB25_17 Depth=1
	s_and_not1_saveexec_b32 s55, s55
	s_cbranch_execz .LBB25_2637
; %bb.2634:                             ;   in Loop: Header=BB25_17 Depth=1
	s_mov_b32 s56, s53
	s_mov_b32 s57, exec_lo
                                        ; implicit-def: $vgpr12
	v_cmpx_eq_u16_e32 11, v13
	s_cbranch_execz .LBB25_2636
; %bb.2635:                             ;   in Loop: Header=BB25_17 Depth=1
	flat_load_u8 v0, v[0:1]
	s_or_b32 s56, s53, exec_lo
	s_waitcnt vmcnt(0) lgkmcnt(0)
	v_cmp_ne_u16_e64 s0, 0, v0
	s_delay_alu instid0(VALU_DEP_1)
	v_cndmask_b32_e64 v12, 0, 1.0, s0
.LBB25_2636:                            ;   in Loop: Header=BB25_17 Depth=1
	s_or_b32 exec_lo, exec_lo, s57
	s_delay_alu instid0(SALU_CYCLE_1)
	s_and_not1_b32 s0, s53, exec_lo
	s_and_b32 s53, s56, exec_lo
	s_or_b32 s54, s54, exec_lo
	s_and_not1_b32 s52, s52, exec_lo
	s_or_b32 s53, s0, s53
.LBB25_2637:                            ;   in Loop: Header=BB25_17 Depth=1
	s_or_b32 exec_lo, exec_lo, s55
	s_delay_alu instid0(SALU_CYCLE_1)
	s_and_not1_b32 s51, s51, exec_lo
	s_and_b32 s53, s53, exec_lo
	s_and_b32 s0, s54, exec_lo
	;; [unrolled: 1-line block ×3, first 2 shown]
	s_or_b32 s51, s51, s53
.LBB25_2638:                            ;   in Loop: Header=BB25_17 Depth=1
	s_or_b32 exec_lo, exec_lo, s50
	s_delay_alu instid0(SALU_CYCLE_1)
	s_and_not1_b32 s47, s47, exec_lo
	s_and_b32 s0, s0, exec_lo
	s_and_not1_b32 s48, s48, exec_lo
	s_or_b32 s47, s47, s0
	s_and_not1_b32 s0, s49, exec_lo
	s_and_b32 s49, s52, exec_lo
	s_and_b32 s50, s51, exec_lo
	s_or_b32 s49, s0, s49
	s_or_b32 s48, s48, s50
.LBB25_2639:                            ;   in Loop: Header=BB25_17 Depth=1
	s_or_b32 exec_lo, exec_lo, s46
	s_delay_alu instid0(SALU_CYCLE_1)
	s_and_b32 s47, s47, exec_lo
	s_and_b32 s46, s49, exec_lo
	;; [unrolled: 1-line block ×3, first 2 shown]
                                        ; implicit-def: $vgpr13
                                        ; implicit-def: $vgpr0_vgpr1
	s_and_not1_saveexec_b32 s45, s45
	s_cbranch_execz .LBB25_2556
.LBB25_2640:                            ;   in Loop: Header=BB25_17 Depth=1
	s_mov_b32 s49, exec_lo
                                        ; implicit-def: $vgpr12
	v_cmpx_lt_i16_e32 4, v13
	s_xor_b32 s49, exec_lo, s49
	s_cbranch_execz .LBB25_2662
; %bb.2641:                             ;   in Loop: Header=BB25_17 Depth=1
	s_mov_b32 s50, exec_lo
                                        ; implicit-def: $vgpr12
	v_cmpx_lt_i16_e32 7, v13
	s_xor_b32 s50, exec_lo, s50
	s_cbranch_execz .LBB25_2651
; %bb.2642:                             ;   in Loop: Header=BB25_17 Depth=1
	;; [unrolled: 6-line block ×3, first 2 shown]
	v_cmp_lt_i16_e64 s0, 9, v13
                                        ; implicit-def: $vgpr12
	s_delay_alu instid0(VALU_DEP_1) | instskip(NEXT) | instid1(SALU_CYCLE_1)
	s_and_saveexec_b32 s52, s0
	s_xor_b32 s0, exec_lo, s52
	s_cbranch_execz .LBB25_2645
; %bb.2644:                             ;   in Loop: Header=BB25_17 Depth=1
	flat_load_b64 v[0:1], v[0:1]
	s_waitcnt vmcnt(0) lgkmcnt(0)
	v_cvt_f32_f64_e32 v12, v[0:1]
                                        ; implicit-def: $vgpr0_vgpr1
.LBB25_2645:                            ;   in Loop: Header=BB25_17 Depth=1
	s_and_not1_saveexec_b32 s0, s0
	s_cbranch_execz .LBB25_2647
; %bb.2646:                             ;   in Loop: Header=BB25_17 Depth=1
	flat_load_b32 v12, v[0:1]
.LBB25_2647:                            ;   in Loop: Header=BB25_17 Depth=1
	s_or_b32 exec_lo, exec_lo, s0
                                        ; implicit-def: $vgpr0_vgpr1
.LBB25_2648:                            ;   in Loop: Header=BB25_17 Depth=1
	s_and_not1_saveexec_b32 s0, s51
	s_cbranch_execz .LBB25_2650
; %bb.2649:                             ;   in Loop: Header=BB25_17 Depth=1
	flat_load_b32 v0, v[0:1]
	s_waitcnt vmcnt(0) lgkmcnt(0)
	v_cvt_f32_f16_e32 v12, v0
.LBB25_2650:                            ;   in Loop: Header=BB25_17 Depth=1
	s_or_b32 exec_lo, exec_lo, s0
                                        ; implicit-def: $vgpr0_vgpr1
                                        ; implicit-def: $vgpr13
.LBB25_2651:                            ;   in Loop: Header=BB25_17 Depth=1
	s_and_not1_saveexec_b32 s50, s50
	s_cbranch_execz .LBB25_2661
; %bb.2652:                             ;   in Loop: Header=BB25_17 Depth=1
	s_mov_b32 s51, exec_lo
                                        ; implicit-def: $vgpr12
	v_cmpx_lt_i16_e32 5, v13
	s_xor_b32 s51, exec_lo, s51
	s_cbranch_execz .LBB25_2658
; %bb.2653:                             ;   in Loop: Header=BB25_17 Depth=1
	v_cmp_lt_i16_e64 s0, 6, v13
                                        ; implicit-def: $vgpr12
	s_delay_alu instid0(VALU_DEP_1) | instskip(NEXT) | instid1(SALU_CYCLE_1)
	s_and_saveexec_b32 s52, s0
	s_xor_b32 s0, exec_lo, s52
	s_cbranch_execz .LBB25_2655
; %bb.2654:                             ;   in Loop: Header=BB25_17 Depth=1
	flat_load_b64 v[0:1], v[0:1]
	s_waitcnt vmcnt(0) lgkmcnt(0)
	v_cvt_f32_f64_e32 v12, v[0:1]
                                        ; implicit-def: $vgpr0_vgpr1
.LBB25_2655:                            ;   in Loop: Header=BB25_17 Depth=1
	s_and_not1_saveexec_b32 s0, s0
	s_cbranch_execz .LBB25_2657
; %bb.2656:                             ;   in Loop: Header=BB25_17 Depth=1
	s_waitcnt vmcnt(0) lgkmcnt(0)
	flat_load_b32 v12, v[0:1]
.LBB25_2657:                            ;   in Loop: Header=BB25_17 Depth=1
	s_or_b32 exec_lo, exec_lo, s0
                                        ; implicit-def: $vgpr0_vgpr1
.LBB25_2658:                            ;   in Loop: Header=BB25_17 Depth=1
	s_and_not1_saveexec_b32 s0, s51
	s_cbranch_execz .LBB25_2660
; %bb.2659:                             ;   in Loop: Header=BB25_17 Depth=1
	flat_load_u16 v0, v[0:1]
	s_waitcnt vmcnt(0) lgkmcnt(0)
	v_cvt_f32_f16_e32 v12, v0
.LBB25_2660:                            ;   in Loop: Header=BB25_17 Depth=1
	s_or_b32 exec_lo, exec_lo, s0
.LBB25_2661:                            ;   in Loop: Header=BB25_17 Depth=1
	s_delay_alu instid0(SALU_CYCLE_1)
	s_or_b32 exec_lo, exec_lo, s50
                                        ; implicit-def: $vgpr13
                                        ; implicit-def: $vgpr0_vgpr1
.LBB25_2662:                            ;   in Loop: Header=BB25_17 Depth=1
	s_and_not1_saveexec_b32 s49, s49
	s_cbranch_execz .LBB25_2680
; %bb.2663:                             ;   in Loop: Header=BB25_17 Depth=1
	s_mov_b32 s50, exec_lo
                                        ; implicit-def: $vgpr12
	v_cmpx_lt_i16_e32 1, v13
	s_xor_b32 s50, exec_lo, s50
	s_cbranch_execz .LBB25_2673
; %bb.2664:                             ;   in Loop: Header=BB25_17 Depth=1
	s_mov_b32 s51, exec_lo
                                        ; implicit-def: $vgpr12
	v_cmpx_lt_i16_e32 2, v13
	s_xor_b32 s51, exec_lo, s51
	s_cbranch_execz .LBB25_2670
; %bb.2665:                             ;   in Loop: Header=BB25_17 Depth=1
	v_cmp_lt_i16_e64 s0, 3, v13
                                        ; implicit-def: $vgpr12
	s_delay_alu instid0(VALU_DEP_1) | instskip(NEXT) | instid1(SALU_CYCLE_1)
	s_and_saveexec_b32 s52, s0
	s_xor_b32 s0, exec_lo, s52
	s_cbranch_execz .LBB25_2667
; %bb.2666:                             ;   in Loop: Header=BB25_17 Depth=1
	flat_load_b64 v[0:1], v[0:1]
	s_waitcnt vmcnt(0) lgkmcnt(0)
	v_xor_b32_e32 v12, v0, v1
	v_cls_i32_e32 v13, v1
	s_delay_alu instid0(VALU_DEP_2) | instskip(NEXT) | instid1(VALU_DEP_2)
	v_ashrrev_i32_e32 v12, 31, v12
	v_add_nc_u32_e32 v13, -1, v13
	s_delay_alu instid0(VALU_DEP_2) | instskip(NEXT) | instid1(VALU_DEP_1)
	v_add_nc_u32_e32 v12, 32, v12
	v_min_u32_e32 v12, v13, v12
	s_delay_alu instid0(VALU_DEP_1) | instskip(NEXT) | instid1(VALU_DEP_1)
	v_lshlrev_b64 v[0:1], v12, v[0:1]
	v_min_u32_e32 v0, 1, v0
	s_delay_alu instid0(VALU_DEP_1) | instskip(SKIP_1) | instid1(VALU_DEP_2)
	v_or_b32_e32 v0, v1, v0
	v_sub_nc_u32_e32 v1, 32, v12
	v_cvt_f32_i32_e32 v0, v0
	s_delay_alu instid0(VALU_DEP_1)
	v_ldexp_f32 v12, v0, v1
                                        ; implicit-def: $vgpr0_vgpr1
.LBB25_2667:                            ;   in Loop: Header=BB25_17 Depth=1
	s_and_not1_saveexec_b32 s0, s0
	s_cbranch_execz .LBB25_2669
; %bb.2668:                             ;   in Loop: Header=BB25_17 Depth=1
	flat_load_b32 v0, v[0:1]
	s_waitcnt vmcnt(0) lgkmcnt(0)
	v_cvt_f32_i32_e32 v12, v0
.LBB25_2669:                            ;   in Loop: Header=BB25_17 Depth=1
	s_or_b32 exec_lo, exec_lo, s0
                                        ; implicit-def: $vgpr0_vgpr1
.LBB25_2670:                            ;   in Loop: Header=BB25_17 Depth=1
	s_and_not1_saveexec_b32 s0, s51
	s_cbranch_execz .LBB25_2672
; %bb.2671:                             ;   in Loop: Header=BB25_17 Depth=1
	flat_load_i16 v0, v[0:1]
	s_waitcnt vmcnt(0) lgkmcnt(0)
	v_cvt_f32_i32_e32 v12, v0
.LBB25_2672:                            ;   in Loop: Header=BB25_17 Depth=1
	s_or_b32 exec_lo, exec_lo, s0
                                        ; implicit-def: $vgpr0_vgpr1
                                        ; implicit-def: $vgpr13
.LBB25_2673:                            ;   in Loop: Header=BB25_17 Depth=1
	s_and_not1_saveexec_b32 s50, s50
	s_cbranch_execz .LBB25_2679
; %bb.2674:                             ;   in Loop: Header=BB25_17 Depth=1
	v_cmp_lt_i16_e64 s0, 0, v13
                                        ; implicit-def: $vgpr12
	s_delay_alu instid0(VALU_DEP_1) | instskip(NEXT) | instid1(SALU_CYCLE_1)
	s_and_saveexec_b32 s51, s0
	s_xor_b32 s0, exec_lo, s51
	s_cbranch_execz .LBB25_2676
; %bb.2675:                             ;   in Loop: Header=BB25_17 Depth=1
	flat_load_i8 v0, v[0:1]
	s_waitcnt vmcnt(0) lgkmcnt(0)
	v_cvt_f32_i32_e32 v12, v0
                                        ; implicit-def: $vgpr0_vgpr1
.LBB25_2676:                            ;   in Loop: Header=BB25_17 Depth=1
	s_and_not1_saveexec_b32 s0, s0
	s_cbranch_execz .LBB25_2678
; %bb.2677:                             ;   in Loop: Header=BB25_17 Depth=1
	flat_load_u8 v0, v[0:1]
	s_waitcnt vmcnt(0) lgkmcnt(0)
	v_cvt_f32_ubyte0_e32 v12, v0
.LBB25_2678:                            ;   in Loop: Header=BB25_17 Depth=1
	s_or_b32 exec_lo, exec_lo, s0
.LBB25_2679:                            ;   in Loop: Header=BB25_17 Depth=1
	s_delay_alu instid0(SALU_CYCLE_1)
	s_or_b32 exec_lo, exec_lo, s50
.LBB25_2680:                            ;   in Loop: Header=BB25_17 Depth=1
	s_delay_alu instid0(SALU_CYCLE_1) | instskip(NEXT) | instid1(SALU_CYCLE_1)
	s_or_b32 exec_lo, exec_lo, s49
	s_and_not1_b32 s47, s47, exec_lo
	s_and_not1_b32 s46, s46, exec_lo
	s_or_b32 s48, s48, exec_lo
	s_or_b32 exec_lo, exec_lo, s45
	s_mov_b32 s0, 0
	s_and_saveexec_b32 s45, s48
	s_cbranch_execnz .LBB25_2557
	s_branch .LBB25_2558
.LBB25_2681:                            ;   in Loop: Header=BB25_17 Depth=1
	s_mov_b32 s43, exec_lo
                                        ; implicit-def: $sgpr49
                                        ; implicit-def: $sgpr44
                                        ; implicit-def: $vgpr13
	v_cmpx_lt_i16_e32 25, v2
	s_xor_b32 s43, exec_lo, s43
	s_cbranch_execz .LBB25_2713
; %bb.2682:                             ;   in Loop: Header=BB25_17 Depth=1
	s_mov_b32 s44, exec_lo
                                        ; implicit-def: $sgpr49
                                        ; implicit-def: $sgpr50
                                        ; implicit-def: $vgpr13
	v_cmpx_lt_i16_e32 28, v2
	s_xor_b32 s44, exec_lo, s44
	s_cbranch_execz .LBB25_2698
; %bb.2683:                             ;   in Loop: Header=BB25_17 Depth=1
	s_mov_b32 s51, 0
	s_mov_b32 s48, exec_lo
                                        ; implicit-def: $sgpr49
                                        ; implicit-def: $sgpr50
                                        ; implicit-def: $vgpr13
	v_cmpx_lt_i16_e32 43, v2
	s_xor_b32 s48, exec_lo, s48
	s_cbranch_execz .LBB25_2693
; %bb.2684:                             ;   in Loop: Header=BB25_17 Depth=1
	s_mov_b32 s50, exec_lo
                                        ; implicit-def: $sgpr49
                                        ; implicit-def: $sgpr52
                                        ; implicit-def: $vgpr13
	v_cmpx_lt_i16_e32 45, v2
	s_xor_b32 s50, exec_lo, s50
	s_cbranch_execz .LBB25_2688
; %bb.2685:                             ;   in Loop: Header=BB25_17 Depth=1
	s_mov_b32 s49, 0
	s_mov_b32 s52, exec_lo
                                        ; implicit-def: $vgpr13
	v_cmpx_eq_u16_e32 46, v2
	s_cbranch_execz .LBB25_2687
; %bb.2686:                             ;   in Loop: Header=BB25_17 Depth=1
	flat_load_b32 v0, v[0:1]
	s_mov_b32 s51, exec_lo
	s_waitcnt vmcnt(0) lgkmcnt(0)
	v_lshlrev_b32_e32 v13, 16, v0
.LBB25_2687:                            ;   in Loop: Header=BB25_17 Depth=1
	s_or_b32 exec_lo, exec_lo, s52
	s_mov_b32 s52, -1
	s_and_b32 s51, s51, exec_lo
                                        ; implicit-def: $vgpr0_vgpr1
.LBB25_2688:                            ;   in Loop: Header=BB25_17 Depth=1
	s_and_not1_saveexec_b32 s50, s50
	s_cbranch_execz .LBB25_2692
; %bb.2689:                             ;   in Loop: Header=BB25_17 Depth=1
	s_mov_b32 s54, s51
	s_mov_b32 s53, exec_lo
                                        ; implicit-def: $vgpr13
	v_cmpx_eq_u16_e32 44, v2
	s_cbranch_execz .LBB25_2691
; %bb.2690:                             ;   in Loop: Header=BB25_17 Depth=1
	flat_load_u8 v0, v[0:1]
	s_or_b32 s54, s51, exec_lo
	s_waitcnt vmcnt(0) lgkmcnt(0)
	v_lshlrev_b32_e32 v1, 23, v0
	v_cmp_ne_u32_e64 s0, 0xff, v0
	s_delay_alu instid0(VALU_DEP_1) | instskip(SKIP_1) | instid1(VALU_DEP_1)
	v_cndmask_b32_e64 v1, 0x7f800001, v1, s0
	v_cmp_ne_u32_e64 s0, 0, v0
	v_cndmask_b32_e64 v13, 0x400000, v1, s0
.LBB25_2691:                            ;   in Loop: Header=BB25_17 Depth=1
	s_or_b32 exec_lo, exec_lo, s53
	s_delay_alu instid0(SALU_CYCLE_1)
	s_and_not1_b32 s0, s51, exec_lo
	s_and_b32 s51, s54, exec_lo
	s_and_not1_b32 s49, s49, exec_lo
	s_or_b32 s52, s52, exec_lo
	s_or_b32 s51, s0, s51
.LBB25_2692:                            ;   in Loop: Header=BB25_17 Depth=1
	s_or_b32 exec_lo, exec_lo, s50
	s_delay_alu instid0(SALU_CYCLE_1)
	s_and_b32 s50, s49, exec_lo
	s_and_b32 s49, s52, exec_lo
	;; [unrolled: 1-line block ×3, first 2 shown]
                                        ; implicit-def: $vgpr0_vgpr1
.LBB25_2693:                            ;   in Loop: Header=BB25_17 Depth=1
	s_and_not1_saveexec_b32 s48, s48
	s_cbranch_execz .LBB25_2697
; %bb.2694:                             ;   in Loop: Header=BB25_17 Depth=1
	s_mov_b32 s53, s51
	s_mov_b32 s52, exec_lo
                                        ; implicit-def: $vgpr13
	v_cmpx_eq_u16_e32 29, v2
	s_cbranch_execz .LBB25_2696
; %bb.2695:                             ;   in Loop: Header=BB25_17 Depth=1
	flat_load_b64 v[0:1], v[0:1]
	s_or_b32 s53, s51, exec_lo
	s_waitcnt vmcnt(0) lgkmcnt(0)
	v_clz_i32_u32_e32 v8, v1
	s_delay_alu instid0(VALU_DEP_1) | instskip(NEXT) | instid1(VALU_DEP_1)
	v_min_u32_e32 v8, 32, v8
	v_lshlrev_b64 v[0:1], v8, v[0:1]
	s_delay_alu instid0(VALU_DEP_1) | instskip(NEXT) | instid1(VALU_DEP_1)
	v_min_u32_e32 v0, 1, v0
	v_or_b32_e32 v0, v1, v0
	v_sub_nc_u32_e32 v1, 32, v8
	s_delay_alu instid0(VALU_DEP_2) | instskip(NEXT) | instid1(VALU_DEP_1)
	v_cvt_f32_u32_e32 v0, v0
	v_ldexp_f32 v13, v0, v1
.LBB25_2696:                            ;   in Loop: Header=BB25_17 Depth=1
	s_or_b32 exec_lo, exec_lo, s52
	s_delay_alu instid0(SALU_CYCLE_1)
	s_and_not1_b32 s0, s51, exec_lo
	s_and_b32 s51, s53, exec_lo
	s_and_not1_b32 s50, s50, exec_lo
	s_or_b32 s49, s49, exec_lo
	s_or_b32 s51, s0, s51
.LBB25_2697:                            ;   in Loop: Header=BB25_17 Depth=1
	s_or_b32 exec_lo, exec_lo, s48
	s_delay_alu instid0(SALU_CYCLE_1)
	s_and_b32 s50, s50, exec_lo
	s_and_b32 s49, s49, exec_lo
	;; [unrolled: 1-line block ×3, first 2 shown]
                                        ; implicit-def: $vgpr0_vgpr1
.LBB25_2698:                            ;   in Loop: Header=BB25_17 Depth=1
	s_and_not1_saveexec_b32 s44, s44
	s_cbranch_execz .LBB25_2712
; %bb.2699:                             ;   in Loop: Header=BB25_17 Depth=1
	s_mov_b32 s51, exec_lo
                                        ; implicit-def: $vgpr13
	v_cmpx_lt_i16_e32 26, v2
	s_xor_b32 s51, exec_lo, s51
	s_cbranch_execz .LBB25_2705
; %bb.2700:                             ;   in Loop: Header=BB25_17 Depth=1
	v_cmp_lt_i16_e64 s0, 27, v2
                                        ; implicit-def: $vgpr13
	s_delay_alu instid0(VALU_DEP_1) | instskip(NEXT) | instid1(SALU_CYCLE_1)
	s_and_saveexec_b32 s52, s0
	s_xor_b32 s0, exec_lo, s52
	s_cbranch_execz .LBB25_2702
; %bb.2701:                             ;   in Loop: Header=BB25_17 Depth=1
	flat_load_b32 v0, v[0:1]
	s_waitcnt vmcnt(0) lgkmcnt(0)
	v_cvt_f32_u32_e32 v13, v0
                                        ; implicit-def: $vgpr0_vgpr1
.LBB25_2702:                            ;   in Loop: Header=BB25_17 Depth=1
	s_and_not1_saveexec_b32 s0, s0
	s_cbranch_execz .LBB25_2704
; %bb.2703:                             ;   in Loop: Header=BB25_17 Depth=1
	flat_load_u16 v0, v[0:1]
	s_waitcnt vmcnt(0) lgkmcnt(0)
	v_cvt_f32_u32_e32 v13, v0
.LBB25_2704:                            ;   in Loop: Header=BB25_17 Depth=1
	s_or_b32 exec_lo, exec_lo, s0
                                        ; implicit-def: $vgpr0_vgpr1
.LBB25_2705:                            ;   in Loop: Header=BB25_17 Depth=1
	s_and_not1_saveexec_b32 s51, s51
	s_cbranch_execz .LBB25_2711
; %bb.2706:                             ;   in Loop: Header=BB25_17 Depth=1
	flat_load_u8 v0, v[0:1]
	s_mov_b32 s52, 0
	s_mov_b32 s54, exec_lo
                                        ; implicit-def: $sgpr53
	s_waitcnt vmcnt(0) lgkmcnt(0)
	v_cmpx_lt_i16_e32 0x7f, v0
	s_xor_b32 s54, exec_lo, s54
	s_cbranch_execnz .LBB25_3482
; %bb.2707:                             ;   in Loop: Header=BB25_17 Depth=1
	s_or_saveexec_b32 s54, s54
	v_mov_b32_e32 v13, s53
	s_xor_b32 exec_lo, exec_lo, s54
	s_cbranch_execnz .LBB25_3485
.LBB25_2708:                            ;   in Loop: Header=BB25_17 Depth=1
	s_or_b32 exec_lo, exec_lo, s54
	s_and_saveexec_b32 s53, s52
	s_cbranch_execz .LBB25_2710
.LBB25_2709:                            ;   in Loop: Header=BB25_17 Depth=1
	v_and_b32_e32 v1, 0xffff, v0
	v_lshlrev_b32_e32 v0, 24, v0
	s_delay_alu instid0(VALU_DEP_2) | instskip(NEXT) | instid1(VALU_DEP_2)
	v_and_b32_e32 v8, 7, v1
	v_and_b32_e32 v0, 0x80000000, v0
	s_delay_alu instid0(VALU_DEP_2) | instskip(NEXT) | instid1(VALU_DEP_1)
	v_clz_i32_u32_e32 v13, v8
	v_min_u32_e32 v13, 32, v13
	s_delay_alu instid0(VALU_DEP_1) | instskip(SKIP_1) | instid1(VALU_DEP_2)
	v_subrev_nc_u32_e32 v14, 28, v13
	v_sub_nc_u32_e32 v13, 29, v13
	v_lshlrev_b32_e32 v14, v14, v1
	v_bfe_u32 v1, v1, 3, 4
	s_delay_alu instid0(VALU_DEP_2) | instskip(NEXT) | instid1(VALU_DEP_2)
	v_and_b32_e32 v14, 7, v14
	v_cmp_eq_u32_e64 s0, 0, v1
	s_delay_alu instid0(VALU_DEP_1) | instskip(NEXT) | instid1(VALU_DEP_3)
	v_cndmask_b32_e64 v1, v1, v13, s0
	v_cndmask_b32_e64 v8, v8, v14, s0
	s_delay_alu instid0(VALU_DEP_2) | instskip(NEXT) | instid1(VALU_DEP_2)
	v_lshl_add_u32 v1, v1, 23, 0x3b800000
	v_lshlrev_b32_e32 v8, 20, v8
	s_delay_alu instid0(VALU_DEP_1)
	v_or3_b32 v13, v0, v1, v8
.LBB25_2710:                            ;   in Loop: Header=BB25_17 Depth=1
	s_or_b32 exec_lo, exec_lo, s53
.LBB25_2711:                            ;   in Loop: Header=BB25_17 Depth=1
	s_delay_alu instid0(SALU_CYCLE_1) | instskip(NEXT) | instid1(SALU_CYCLE_1)
	s_or_b32 exec_lo, exec_lo, s51
	s_and_not1_b32 s50, s50, exec_lo
	s_and_not1_b32 s49, s49, exec_lo
	s_or_b32 s48, s48, exec_lo
.LBB25_2712:                            ;   in Loop: Header=BB25_17 Depth=1
	s_or_b32 exec_lo, exec_lo, s44
	s_delay_alu instid0(SALU_CYCLE_1)
	s_and_b32 s44, s50, exec_lo
	s_and_b32 s49, s49, exec_lo
	;; [unrolled: 1-line block ×3, first 2 shown]
                                        ; implicit-def: $vgpr0_vgpr1
.LBB25_2713:                            ;   in Loop: Header=BB25_17 Depth=1
	s_and_not1_saveexec_b32 s43, s43
	s_cbranch_execz .LBB25_2739
; %bb.2714:                             ;   in Loop: Header=BB25_17 Depth=1
	s_mov_b32 s51, s48
	s_mov_b32 s50, exec_lo
                                        ; implicit-def: $vgpr13
	v_cmpx_lt_i16_e32 22, v2
	s_xor_b32 s50, exec_lo, s50
	s_cbranch_execz .LBB25_2728
; %bb.2715:                             ;   in Loop: Header=BB25_17 Depth=1
	s_mov_b32 s51, exec_lo
                                        ; implicit-def: $vgpr13
	v_cmpx_lt_i16_e32 23, v2
	s_xor_b32 s51, exec_lo, s51
	s_cbranch_execz .LBB25_2725
; %bb.2716:                             ;   in Loop: Header=BB25_17 Depth=1
	;; [unrolled: 6-line block ×3, first 2 shown]
	flat_load_u8 v0, v[0:1]
	s_mov_b32 s53, 0
	s_mov_b32 s55, exec_lo
                                        ; implicit-def: $sgpr54
	s_waitcnt vmcnt(0) lgkmcnt(0)
	v_cmpx_lt_i16_e32 0x7f, v0
	s_xor_b32 s55, exec_lo, s55
	s_cbranch_execnz .LBB25_3590
; %bb.2718:                             ;   in Loop: Header=BB25_17 Depth=1
	s_or_saveexec_b32 s55, s55
	v_mov_b32_e32 v13, s54
	s_xor_b32 exec_lo, exec_lo, s55
	s_cbranch_execnz .LBB25_3593
.LBB25_2719:                            ;   in Loop: Header=BB25_17 Depth=1
	s_or_b32 exec_lo, exec_lo, s55
	s_and_saveexec_b32 s54, s53
	s_cbranch_execz .LBB25_2721
.LBB25_2720:                            ;   in Loop: Header=BB25_17 Depth=1
	v_and_b32_e32 v1, 0xffff, v0
	v_lshlrev_b32_e32 v0, 24, v0
	s_delay_alu instid0(VALU_DEP_2) | instskip(NEXT) | instid1(VALU_DEP_2)
	v_and_b32_e32 v8, 3, v1
	v_and_b32_e32 v0, 0x80000000, v0
	s_delay_alu instid0(VALU_DEP_2) | instskip(NEXT) | instid1(VALU_DEP_1)
	v_clz_i32_u32_e32 v13, v8
	v_min_u32_e32 v13, 32, v13
	s_delay_alu instid0(VALU_DEP_1) | instskip(SKIP_1) | instid1(VALU_DEP_2)
	v_subrev_nc_u32_e32 v14, 29, v13
	v_sub_nc_u32_e32 v13, 30, v13
	v_lshlrev_b32_e32 v14, v14, v1
	v_bfe_u32 v1, v1, 2, 5
	s_delay_alu instid0(VALU_DEP_2) | instskip(NEXT) | instid1(VALU_DEP_2)
	v_and_b32_e32 v14, 3, v14
	v_cmp_eq_u32_e64 s0, 0, v1
	s_delay_alu instid0(VALU_DEP_1) | instskip(NEXT) | instid1(VALU_DEP_3)
	v_cndmask_b32_e64 v1, v1, v13, s0
	v_cndmask_b32_e64 v8, v8, v14, s0
	s_delay_alu instid0(VALU_DEP_2) | instskip(NEXT) | instid1(VALU_DEP_2)
	v_lshl_add_u32 v1, v1, 23, 0x37800000
	v_lshlrev_b32_e32 v8, 21, v8
	s_delay_alu instid0(VALU_DEP_1)
	v_or3_b32 v13, v0, v1, v8
.LBB25_2721:                            ;   in Loop: Header=BB25_17 Depth=1
	s_or_b32 exec_lo, exec_lo, s54
                                        ; implicit-def: $vgpr0_vgpr1
.LBB25_2722:                            ;   in Loop: Header=BB25_17 Depth=1
	s_and_not1_saveexec_b32 s52, s52
	s_cbranch_execz .LBB25_2724
; %bb.2723:                             ;   in Loop: Header=BB25_17 Depth=1
	flat_load_u8 v0, v[0:1]
	s_waitcnt vmcnt(0) lgkmcnt(0)
	v_lshlrev_b32_e32 v0, 24, v0
	s_delay_alu instid0(VALU_DEP_1) | instskip(NEXT) | instid1(VALU_DEP_1)
	v_and_b32_e32 v1, 0x7f000000, v0
	v_clz_i32_u32_e32 v8, v1
	v_add_nc_u32_e32 v14, 0x1000000, v1
	v_cmp_ne_u32_e64 s0, 0, v1
	s_delay_alu instid0(VALU_DEP_3) | instskip(NEXT) | instid1(VALU_DEP_1)
	v_min_u32_e32 v8, 32, v8
	v_sub_nc_u32_e64 v8, v8, 4 clamp
	s_delay_alu instid0(VALU_DEP_1) | instskip(SKIP_1) | instid1(VALU_DEP_2)
	v_lshlrev_b32_e32 v13, v8, v1
	v_lshlrev_b32_e32 v8, 23, v8
	v_lshrrev_b32_e32 v13, 4, v13
	s_delay_alu instid0(VALU_DEP_1) | instskip(SKIP_1) | instid1(VALU_DEP_2)
	v_sub_nc_u32_e32 v8, v13, v8
	v_ashrrev_i32_e32 v13, 8, v14
	v_add_nc_u32_e32 v8, 0x3c000000, v8
	s_delay_alu instid0(VALU_DEP_1) | instskip(NEXT) | instid1(VALU_DEP_1)
	v_and_or_b32 v8, 0x7f800000, v13, v8
	v_cndmask_b32_e64 v1, 0, v8, s0
	s_delay_alu instid0(VALU_DEP_1)
	v_and_or_b32 v13, 0x80000000, v0, v1
.LBB25_2724:                            ;   in Loop: Header=BB25_17 Depth=1
	s_or_b32 exec_lo, exec_lo, s52
                                        ; implicit-def: $vgpr0_vgpr1
.LBB25_2725:                            ;   in Loop: Header=BB25_17 Depth=1
	s_and_not1_saveexec_b32 s51, s51
	s_cbranch_execz .LBB25_2727
; %bb.2726:                             ;   in Loop: Header=BB25_17 Depth=1
	flat_load_u8 v0, v[0:1]
	s_waitcnt vmcnt(0) lgkmcnt(0)
	v_lshlrev_b32_e32 v1, 25, v0
	v_lshlrev_b16 v0, 8, v0
	s_delay_alu instid0(VALU_DEP_2) | instskip(NEXT) | instid1(VALU_DEP_2)
	v_lshrrev_b32_e32 v8, 4, v1
	v_and_or_b32 v13, 0x7f00, v0, 0.5
	v_cmp_gt_u32_e64 s0, 0x8000000, v1
	v_bfe_i32 v0, v0, 0, 16
	s_delay_alu instid0(VALU_DEP_4) | instskip(NEXT) | instid1(VALU_DEP_1)
	v_or_b32_e32 v8, 0x70000000, v8
	v_dual_add_f32 v13, -0.5, v13 :: v_dual_mul_f32 v8, 0x7800000, v8
	s_delay_alu instid0(VALU_DEP_1) | instskip(NEXT) | instid1(VALU_DEP_1)
	v_cndmask_b32_e64 v1, v8, v13, s0
	v_and_or_b32 v13, 0x80000000, v0, v1
.LBB25_2727:                            ;   in Loop: Header=BB25_17 Depth=1
	s_or_b32 exec_lo, exec_lo, s51
	s_delay_alu instid0(SALU_CYCLE_1)
	s_or_b32 s51, s48, exec_lo
                                        ; implicit-def: $vgpr0_vgpr1
.LBB25_2728:                            ;   in Loop: Header=BB25_17 Depth=1
	s_or_saveexec_b32 s50, s50
                                        ; implicit-def: $sgpr52
                                        ; implicit-def: $sgpr0
	s_delay_alu instid0(SALU_CYCLE_1)
	s_xor_b32 exec_lo, exec_lo, s50
	s_cbranch_execz .LBB25_2738
; %bb.2729:                             ;   in Loop: Header=BB25_17 Depth=1
	s_mov_b32 s53, s51
	s_mov_b32 s55, exec_lo
                                        ; implicit-def: $sgpr54
                                        ; implicit-def: $sgpr52
                                        ; implicit-def: $vgpr13
	v_cmpx_lt_i16_e32 14, v2
	s_xor_b32 s55, exec_lo, s55
	s_cbranch_execz .LBB25_2733
; %bb.2730:                             ;   in Loop: Header=BB25_17 Depth=1
	s_mov_b32 s53, s51
	s_mov_b32 s52, exec_lo
                                        ; implicit-def: $vgpr13
	v_cmpx_eq_u16_e32 15, v2
	s_cbranch_execz .LBB25_2732
; %bb.2731:                             ;   in Loop: Header=BB25_17 Depth=1
	flat_load_u16 v0, v[0:1]
	s_or_b32 s53, s51, exec_lo
	s_waitcnt vmcnt(0) lgkmcnt(0)
	v_lshlrev_b32_e32 v13, 16, v0
.LBB25_2732:                            ;   in Loop: Header=BB25_17 Depth=1
	s_or_b32 exec_lo, exec_lo, s52
	s_delay_alu instid0(SALU_CYCLE_1)
	s_and_not1_b32 s0, s51, exec_lo
	s_and_b32 s53, s53, exec_lo
	s_mov_b32 s52, -1
	s_mov_b32 s54, 0
	s_or_b32 s53, s0, s53
                                        ; implicit-def: $vgpr0_vgpr1
.LBB25_2733:                            ;   in Loop: Header=BB25_17 Depth=1
	s_and_not1_saveexec_b32 s55, s55
	s_cbranch_execz .LBB25_2737
; %bb.2734:                             ;   in Loop: Header=BB25_17 Depth=1
	s_mov_b32 s56, s53
	s_mov_b32 s57, exec_lo
                                        ; implicit-def: $vgpr13
	v_cmpx_eq_u16_e32 11, v2
	s_cbranch_execz .LBB25_2736
; %bb.2735:                             ;   in Loop: Header=BB25_17 Depth=1
	flat_load_u8 v0, v[0:1]
	s_or_b32 s56, s53, exec_lo
	s_waitcnt vmcnt(0) lgkmcnt(0)
	v_cmp_ne_u16_e64 s0, 0, v0
	s_delay_alu instid0(VALU_DEP_1)
	v_cndmask_b32_e64 v13, 0, 1.0, s0
.LBB25_2736:                            ;   in Loop: Header=BB25_17 Depth=1
	s_or_b32 exec_lo, exec_lo, s57
	s_delay_alu instid0(SALU_CYCLE_1)
	s_and_not1_b32 s0, s53, exec_lo
	s_and_b32 s53, s56, exec_lo
	s_and_not1_b32 s54, s54, exec_lo
	s_or_b32 s52, s52, exec_lo
	s_or_b32 s53, s0, s53
.LBB25_2737:                            ;   in Loop: Header=BB25_17 Depth=1
	s_or_b32 exec_lo, exec_lo, s55
	s_delay_alu instid0(SALU_CYCLE_1)
	s_and_not1_b32 s51, s51, exec_lo
	s_and_b32 s53, s53, exec_lo
	s_and_b32 s0, s54, exec_lo
	;; [unrolled: 1-line block ×3, first 2 shown]
	s_or_b32 s51, s51, s53
.LBB25_2738:                            ;   in Loop: Header=BB25_17 Depth=1
	s_or_b32 exec_lo, exec_lo, s50
	s_delay_alu instid0(SALU_CYCLE_1)
	s_and_not1_b32 s44, s44, exec_lo
	s_and_b32 s0, s0, exec_lo
	s_and_not1_b32 s48, s48, exec_lo
	s_or_b32 s44, s44, s0
	s_and_not1_b32 s0, s49, exec_lo
	s_and_b32 s49, s52, exec_lo
	s_and_b32 s50, s51, exec_lo
	s_or_b32 s49, s0, s49
	s_or_b32 s48, s48, s50
.LBB25_2739:                            ;   in Loop: Header=BB25_17 Depth=1
	s_or_b32 exec_lo, exec_lo, s43
	s_delay_alu instid0(SALU_CYCLE_1)
	s_and_b32 s44, s44, exec_lo
	s_and_b32 s43, s49, exec_lo
	;; [unrolled: 1-line block ×3, first 2 shown]
                                        ; implicit-def: $vgpr0_vgpr1
	s_and_not1_saveexec_b32 s47, s47
	s_cbranch_execz .LBB25_2564
.LBB25_2740:                            ;   in Loop: Header=BB25_17 Depth=1
	s_mov_b32 s49, exec_lo
                                        ; implicit-def: $vgpr13
	v_cmpx_lt_i16_e32 4, v2
	s_xor_b32 s49, exec_lo, s49
	s_cbranch_execz .LBB25_2762
; %bb.2741:                             ;   in Loop: Header=BB25_17 Depth=1
	s_mov_b32 s50, exec_lo
                                        ; implicit-def: $vgpr13
	v_cmpx_lt_i16_e32 7, v2
	s_xor_b32 s50, exec_lo, s50
	s_cbranch_execz .LBB25_2751
; %bb.2742:                             ;   in Loop: Header=BB25_17 Depth=1
	;; [unrolled: 6-line block ×3, first 2 shown]
	v_cmp_lt_i16_e64 s0, 9, v2
                                        ; implicit-def: $vgpr13
	s_delay_alu instid0(VALU_DEP_1) | instskip(NEXT) | instid1(SALU_CYCLE_1)
	s_and_saveexec_b32 s52, s0
	s_xor_b32 s0, exec_lo, s52
	s_cbranch_execz .LBB25_2745
; %bb.2744:                             ;   in Loop: Header=BB25_17 Depth=1
	flat_load_b64 v[0:1], v[0:1]
	s_waitcnt vmcnt(0) lgkmcnt(0)
	v_cvt_f32_f64_e32 v13, v[0:1]
                                        ; implicit-def: $vgpr0_vgpr1
.LBB25_2745:                            ;   in Loop: Header=BB25_17 Depth=1
	s_and_not1_saveexec_b32 s0, s0
	s_cbranch_execz .LBB25_2747
; %bb.2746:                             ;   in Loop: Header=BB25_17 Depth=1
	flat_load_b32 v13, v[0:1]
.LBB25_2747:                            ;   in Loop: Header=BB25_17 Depth=1
	s_or_b32 exec_lo, exec_lo, s0
                                        ; implicit-def: $vgpr0_vgpr1
.LBB25_2748:                            ;   in Loop: Header=BB25_17 Depth=1
	s_and_not1_saveexec_b32 s0, s51
	s_cbranch_execz .LBB25_2750
; %bb.2749:                             ;   in Loop: Header=BB25_17 Depth=1
	flat_load_b32 v0, v[0:1]
	s_waitcnt vmcnt(0) lgkmcnt(0)
	v_cvt_f32_f16_e32 v13, v0
.LBB25_2750:                            ;   in Loop: Header=BB25_17 Depth=1
	s_or_b32 exec_lo, exec_lo, s0
                                        ; implicit-def: $vgpr0_vgpr1
.LBB25_2751:                            ;   in Loop: Header=BB25_17 Depth=1
	s_and_not1_saveexec_b32 s50, s50
	s_cbranch_execz .LBB25_2761
; %bb.2752:                             ;   in Loop: Header=BB25_17 Depth=1
	s_mov_b32 s51, exec_lo
                                        ; implicit-def: $vgpr13
	v_cmpx_lt_i16_e32 5, v2
	s_xor_b32 s51, exec_lo, s51
	s_cbranch_execz .LBB25_2758
; %bb.2753:                             ;   in Loop: Header=BB25_17 Depth=1
	v_cmp_lt_i16_e64 s0, 6, v2
                                        ; implicit-def: $vgpr13
	s_delay_alu instid0(VALU_DEP_1) | instskip(NEXT) | instid1(SALU_CYCLE_1)
	s_and_saveexec_b32 s52, s0
	s_xor_b32 s0, exec_lo, s52
	s_cbranch_execz .LBB25_2755
; %bb.2754:                             ;   in Loop: Header=BB25_17 Depth=1
	flat_load_b64 v[0:1], v[0:1]
	s_waitcnt vmcnt(0) lgkmcnt(0)
	v_cvt_f32_f64_e32 v13, v[0:1]
                                        ; implicit-def: $vgpr0_vgpr1
.LBB25_2755:                            ;   in Loop: Header=BB25_17 Depth=1
	s_and_not1_saveexec_b32 s0, s0
	s_cbranch_execz .LBB25_2757
; %bb.2756:                             ;   in Loop: Header=BB25_17 Depth=1
	s_waitcnt vmcnt(0) lgkmcnt(0)
	flat_load_b32 v13, v[0:1]
.LBB25_2757:                            ;   in Loop: Header=BB25_17 Depth=1
	s_or_b32 exec_lo, exec_lo, s0
                                        ; implicit-def: $vgpr0_vgpr1
.LBB25_2758:                            ;   in Loop: Header=BB25_17 Depth=1
	s_and_not1_saveexec_b32 s0, s51
	s_cbranch_execz .LBB25_2760
; %bb.2759:                             ;   in Loop: Header=BB25_17 Depth=1
	flat_load_u16 v0, v[0:1]
	s_waitcnt vmcnt(0) lgkmcnt(0)
	v_cvt_f32_f16_e32 v13, v0
.LBB25_2760:                            ;   in Loop: Header=BB25_17 Depth=1
	s_or_b32 exec_lo, exec_lo, s0
.LBB25_2761:                            ;   in Loop: Header=BB25_17 Depth=1
	s_delay_alu instid0(SALU_CYCLE_1)
	s_or_b32 exec_lo, exec_lo, s50
                                        ; implicit-def: $vgpr0_vgpr1
.LBB25_2762:                            ;   in Loop: Header=BB25_17 Depth=1
	s_and_not1_saveexec_b32 s49, s49
	s_cbranch_execz .LBB25_2780
; %bb.2763:                             ;   in Loop: Header=BB25_17 Depth=1
	s_mov_b32 s50, exec_lo
                                        ; implicit-def: $vgpr13
	v_cmpx_lt_i16_e32 1, v2
	s_xor_b32 s50, exec_lo, s50
	s_cbranch_execz .LBB25_2773
; %bb.2764:                             ;   in Loop: Header=BB25_17 Depth=1
	s_mov_b32 s51, exec_lo
                                        ; implicit-def: $vgpr13
	v_cmpx_lt_i16_e32 2, v2
	s_xor_b32 s51, exec_lo, s51
	s_cbranch_execz .LBB25_2770
; %bb.2765:                             ;   in Loop: Header=BB25_17 Depth=1
	v_cmp_lt_i16_e64 s0, 3, v2
                                        ; implicit-def: $vgpr13
	s_delay_alu instid0(VALU_DEP_1) | instskip(NEXT) | instid1(SALU_CYCLE_1)
	s_and_saveexec_b32 s52, s0
	s_xor_b32 s0, exec_lo, s52
	s_cbranch_execz .LBB25_2767
; %bb.2766:                             ;   in Loop: Header=BB25_17 Depth=1
	flat_load_b64 v[0:1], v[0:1]
	s_waitcnt vmcnt(0) lgkmcnt(0)
	v_xor_b32_e32 v8, v0, v1
	v_cls_i32_e32 v13, v1
	s_delay_alu instid0(VALU_DEP_2) | instskip(NEXT) | instid1(VALU_DEP_2)
	v_ashrrev_i32_e32 v8, 31, v8
	v_add_nc_u32_e32 v13, -1, v13
	s_delay_alu instid0(VALU_DEP_2) | instskip(NEXT) | instid1(VALU_DEP_1)
	v_add_nc_u32_e32 v8, 32, v8
	v_min_u32_e32 v8, v13, v8
	s_delay_alu instid0(VALU_DEP_1) | instskip(NEXT) | instid1(VALU_DEP_1)
	v_lshlrev_b64 v[0:1], v8, v[0:1]
	v_min_u32_e32 v0, 1, v0
	s_delay_alu instid0(VALU_DEP_1) | instskip(SKIP_1) | instid1(VALU_DEP_2)
	v_or_b32_e32 v0, v1, v0
	v_sub_nc_u32_e32 v1, 32, v8
	v_cvt_f32_i32_e32 v0, v0
	s_delay_alu instid0(VALU_DEP_1)
	v_ldexp_f32 v13, v0, v1
                                        ; implicit-def: $vgpr0_vgpr1
.LBB25_2767:                            ;   in Loop: Header=BB25_17 Depth=1
	s_and_not1_saveexec_b32 s0, s0
	s_cbranch_execz .LBB25_2769
; %bb.2768:                             ;   in Loop: Header=BB25_17 Depth=1
	flat_load_b32 v0, v[0:1]
	s_waitcnt vmcnt(0) lgkmcnt(0)
	v_cvt_f32_i32_e32 v13, v0
.LBB25_2769:                            ;   in Loop: Header=BB25_17 Depth=1
	s_or_b32 exec_lo, exec_lo, s0
                                        ; implicit-def: $vgpr0_vgpr1
.LBB25_2770:                            ;   in Loop: Header=BB25_17 Depth=1
	s_and_not1_saveexec_b32 s0, s51
	s_cbranch_execz .LBB25_2772
; %bb.2771:                             ;   in Loop: Header=BB25_17 Depth=1
	flat_load_i16 v0, v[0:1]
	s_waitcnt vmcnt(0) lgkmcnt(0)
	v_cvt_f32_i32_e32 v13, v0
.LBB25_2772:                            ;   in Loop: Header=BB25_17 Depth=1
	s_or_b32 exec_lo, exec_lo, s0
                                        ; implicit-def: $vgpr0_vgpr1
.LBB25_2773:                            ;   in Loop: Header=BB25_17 Depth=1
	s_and_not1_saveexec_b32 s50, s50
	s_cbranch_execz .LBB25_2779
; %bb.2774:                             ;   in Loop: Header=BB25_17 Depth=1
	v_cmp_lt_i16_e64 s0, 0, v2
                                        ; implicit-def: $vgpr13
	s_delay_alu instid0(VALU_DEP_1) | instskip(NEXT) | instid1(SALU_CYCLE_1)
	s_and_saveexec_b32 s51, s0
	s_xor_b32 s0, exec_lo, s51
	s_cbranch_execz .LBB25_2776
; %bb.2775:                             ;   in Loop: Header=BB25_17 Depth=1
	flat_load_i8 v0, v[0:1]
	s_waitcnt vmcnt(0) lgkmcnt(0)
	v_cvt_f32_i32_e32 v13, v0
                                        ; implicit-def: $vgpr0_vgpr1
.LBB25_2776:                            ;   in Loop: Header=BB25_17 Depth=1
	s_and_not1_saveexec_b32 s0, s0
	s_cbranch_execz .LBB25_2778
; %bb.2777:                             ;   in Loop: Header=BB25_17 Depth=1
	flat_load_u8 v0, v[0:1]
	s_waitcnt vmcnt(0) lgkmcnt(0)
	v_cvt_f32_ubyte0_e32 v13, v0
.LBB25_2778:                            ;   in Loop: Header=BB25_17 Depth=1
	s_or_b32 exec_lo, exec_lo, s0
.LBB25_2779:                            ;   in Loop: Header=BB25_17 Depth=1
	s_delay_alu instid0(SALU_CYCLE_1)
	s_or_b32 exec_lo, exec_lo, s50
.LBB25_2780:                            ;   in Loop: Header=BB25_17 Depth=1
	s_delay_alu instid0(SALU_CYCLE_1) | instskip(NEXT) | instid1(SALU_CYCLE_1)
	s_or_b32 exec_lo, exec_lo, s49
	s_and_not1_b32 s44, s44, exec_lo
	s_and_not1_b32 s43, s43, exec_lo
	s_or_b32 s48, s48, exec_lo
	s_or_b32 exec_lo, exec_lo, s47
	s_mov_b32 s0, 0
	s_and_saveexec_b32 s47, s48
	s_cbranch_execz .LBB25_2786
.LBB25_2781:                            ;   in Loop: Header=BB25_17 Depth=1
	s_add_i32 s0, s33, 16
	s_mov_b32 s51, 0
	v_add_nc_u32_e64 v8, s1, s0
	s_mov_b32 s48, exec_lo
                                        ; implicit-def: $sgpr49
                                        ; implicit-def: $sgpr50
	s_delay_alu instid0(VALU_DEP_1) | instskip(SKIP_4) | instid1(VALU_DEP_2)
	v_add_nc_u32_e32 v0, 0x64, v8
	s_waitcnt vmcnt(0) lgkmcnt(0)
	scratch_store_b32 v0, v13, off
	v_mul_lo_u32 v0, v12, v11
	v_and_b32_e32 v13, 0xff, v9
                                        ; implicit-def: $vgpr12
	v_add_co_u32 v0, s0, v5, v0
	s_delay_alu instid0(VALU_DEP_1) | instskip(NEXT) | instid1(VALU_DEP_3)
	v_add_co_ci_u32_e64 v1, s0, 0, v6, s0
	v_cmpx_lt_i16_e32 10, v13
	s_xor_b32 s48, exec_lo, s48
	s_cbranch_execnz .LBB25_2808
; %bb.2782:                             ;   in Loop: Header=BB25_17 Depth=1
	s_and_not1_saveexec_b32 s48, s48
	s_cbranch_execnz .LBB25_2867
.LBB25_2783:                            ;   in Loop: Header=BB25_17 Depth=1
	s_or_b32 exec_lo, exec_lo, s48
	s_mov_b32 s0, 0
	s_and_saveexec_b32 s48, s51
	s_cbranch_execz .LBB25_2785
.LBB25_2784:                            ;   in Loop: Header=BB25_17 Depth=1
	v_add_nc_u32_e32 v0, 0x60, v8
	v_add_nc_u32_e32 v7, 0x200, v7
	s_mov_b32 s0, exec_lo
	s_and_not1_b32 s50, s50, exec_lo
	s_and_not1_b32 s49, s49, exec_lo
	s_waitcnt vmcnt(0) lgkmcnt(0)
	scratch_store_b32 v0, v12, off
.LBB25_2785:                            ;   in Loop: Header=BB25_17 Depth=1
	s_or_b32 exec_lo, exec_lo, s48
	s_delay_alu instid0(SALU_CYCLE_1)
	s_and_not1_b32 s44, s44, exec_lo
	s_and_b32 s48, s50, exec_lo
	s_and_not1_b32 s43, s43, exec_lo
	s_and_b32 s49, s49, exec_lo
	s_or_b32 s44, s44, s48
	s_or_b32 s43, s43, s49
	s_and_b32 s0, s0, exec_lo
.LBB25_2786:                            ;   in Loop: Header=BB25_17 Depth=1
	s_or_b32 exec_lo, exec_lo, s47
	s_delay_alu instid0(SALU_CYCLE_1)
	s_and_b32 s44, s44, exec_lo
	s_and_b32 s43, s43, exec_lo
	s_or_not1_b32 s47, s0, exec_lo
.LBB25_2787:                            ;   in Loop: Header=BB25_17 Depth=1
	s_or_b32 exec_lo, exec_lo, s45
	s_and_saveexec_b32 s45, s47
	s_cbranch_execz .LBB25_4
; %bb.2788:                             ;   in Loop: Header=BB25_17 Depth=1
	s_mov_b32 s49, -1
	s_mov_b32 s50, -1
	s_mov_b32 s48, exec_lo
                                        ; implicit-def: $sgpr46
                                        ; implicit-def: $sgpr47
	v_cmpx_lt_i32_e64 v7, v146
	s_cbranch_execz .LBB25_3014
; %bb.2789:                             ;   in Loop: Header=BB25_17 Depth=1
	s_waitcnt vmcnt(0) lgkmcnt(0)
	v_add_nc_u32_e32 v12, s38, v7
	s_mov_b32 s51, 0
	s_mov_b32 s50, exec_lo
                                        ; implicit-def: $sgpr46
                                        ; implicit-def: $sgpr47
                                        ; implicit-def: $vgpr13
	s_delay_alu instid0(VALU_DEP_1) | instskip(NEXT) | instid1(VALU_DEP_1)
	v_mul_lo_u32 v0, v12, v10
	v_add_co_u32 v0, s0, v3, v0
	s_delay_alu instid0(VALU_DEP_1)
	v_add_co_ci_u32_e64 v1, s0, 0, v4, s0
	v_cmpx_lt_i16_e32 10, v2
	s_xor_b32 s50, exec_lo, s50
	s_cbranch_execnz .LBB25_2908
; %bb.2790:                             ;   in Loop: Header=BB25_17 Depth=1
	s_and_not1_saveexec_b32 s50, s50
	s_cbranch_execnz .LBB25_2967
.LBB25_2791:                            ;   in Loop: Header=BB25_17 Depth=1
	s_or_b32 exec_lo, exec_lo, s50
	s_mov_b32 s0, 0
	s_and_saveexec_b32 s50, s51
	s_cbranch_execnz .LBB25_3008
	s_branch .LBB25_3013
.LBB25_2792:                            ;   in Loop: Header=BB25_17 Depth=1
	s_mov_b32 s41, -1
	s_mov_b32 s44, exec_lo
                                        ; implicit-def: $sgpr42
	v_cmpx_eq_u16_e32 0x80, v0
; %bb.2793:                             ;   in Loop: Header=BB25_17 Depth=1
	s_mov_b32 s42, 0x7f800001
	s_xor_b32 s41, exec_lo, -1
; %bb.2794:                             ;   in Loop: Header=BB25_17 Depth=1
	s_or_b32 exec_lo, exec_lo, s44
	s_delay_alu instid0(SALU_CYCLE_1)
	s_and_b32 s41, s41, exec_lo
	s_or_saveexec_b32 s43, s43
	v_mov_b32_e32 v12, s42
	s_xor_b32 exec_lo, exec_lo, s43
	s_cbranch_execz .LBB25_1711
.LBB25_2795:                            ;   in Loop: Header=BB25_17 Depth=1
	v_cmp_ne_u16_e64 s0, 0, v0
	v_mov_b32_e32 v12, 0
	s_and_not1_b32 s41, s41, exec_lo
	s_delay_alu instid0(VALU_DEP_2) | instskip(NEXT) | instid1(SALU_CYCLE_1)
	s_and_b32 s0, s0, exec_lo
	s_or_b32 s41, s41, s0
	s_or_b32 exec_lo, exec_lo, s43
	s_and_saveexec_b32 s42, s41
	s_cbranch_execnz .LBB25_1712
	s_branch .LBB25_1713
.LBB25_2796:                            ;   in Loop: Header=BB25_17 Depth=1
	s_mov_b32 s41, -1
	s_mov_b32 s44, exec_lo
                                        ; implicit-def: $sgpr42
	v_cmpx_eq_u16_e32 0x80, v0
; %bb.2797:                             ;   in Loop: Header=BB25_17 Depth=1
	s_mov_b32 s42, 0x7f800001
	s_xor_b32 s41, exec_lo, -1
; %bb.2798:                             ;   in Loop: Header=BB25_17 Depth=1
	s_or_b32 exec_lo, exec_lo, s44
	s_delay_alu instid0(SALU_CYCLE_1)
	s_and_b32 s41, s41, exec_lo
	s_or_saveexec_b32 s43, s43
	v_mov_b32_e32 v13, s42
	s_xor_b32 exec_lo, exec_lo, s43
	s_cbranch_execz .LBB25_1811
.LBB25_2799:                            ;   in Loop: Header=BB25_17 Depth=1
	v_cmp_ne_u16_e64 s0, 0, v0
	v_mov_b32_e32 v13, 0
	s_and_not1_b32 s41, s41, exec_lo
	s_delay_alu instid0(VALU_DEP_2) | instskip(NEXT) | instid1(SALU_CYCLE_1)
	s_and_b32 s0, s0, exec_lo
	s_or_b32 s41, s41, s0
	s_or_b32 exec_lo, exec_lo, s43
	s_and_saveexec_b32 s42, s41
	s_cbranch_execnz .LBB25_1812
	s_branch .LBB25_1813
.LBB25_2800:                            ;   in Loop: Header=BB25_17 Depth=1
	s_mov_b32 s43, -1
	s_mov_b32 s46, exec_lo
                                        ; implicit-def: $sgpr44
	v_cmpx_eq_u16_e32 0x80, v0
; %bb.2801:                             ;   in Loop: Header=BB25_17 Depth=1
	s_mov_b32 s44, 0x7f800001
	s_xor_b32 s43, exec_lo, -1
; %bb.2802:                             ;   in Loop: Header=BB25_17 Depth=1
	s_or_b32 exec_lo, exec_lo, s46
	s_delay_alu instid0(SALU_CYCLE_1)
	s_and_b32 s43, s43, exec_lo
	s_or_saveexec_b32 s45, s45
	v_mov_b32_e32 v12, s44
	s_xor_b32 exec_lo, exec_lo, s45
	s_cbranch_execz .LBB25_1927
.LBB25_2803:                            ;   in Loop: Header=BB25_17 Depth=1
	v_cmp_ne_u16_e64 s0, 0, v0
	v_mov_b32_e32 v12, 0
	s_and_not1_b32 s43, s43, exec_lo
	s_delay_alu instid0(VALU_DEP_2) | instskip(NEXT) | instid1(SALU_CYCLE_1)
	s_and_b32 s0, s0, exec_lo
	s_or_b32 s43, s43, s0
	s_or_b32 exec_lo, exec_lo, s45
	s_and_saveexec_b32 s44, s43
	s_cbranch_execnz .LBB25_1928
	s_branch .LBB25_1929
.LBB25_2804:                            ;   in Loop: Header=BB25_17 Depth=1
	s_mov_b32 s43, -1
	s_mov_b32 s46, exec_lo
                                        ; implicit-def: $sgpr44
	v_cmpx_eq_u16_e32 0x80, v0
; %bb.2805:                             ;   in Loop: Header=BB25_17 Depth=1
	s_mov_b32 s44, 0x7f800001
	s_xor_b32 s43, exec_lo, -1
; %bb.2806:                             ;   in Loop: Header=BB25_17 Depth=1
	s_or_b32 exec_lo, exec_lo, s46
	s_delay_alu instid0(SALU_CYCLE_1)
	s_and_b32 s43, s43, exec_lo
	s_or_saveexec_b32 s45, s45
	v_mov_b32_e32 v13, s44
	s_xor_b32 exec_lo, exec_lo, s45
	s_cbranch_execz .LBB25_2027
.LBB25_2807:                            ;   in Loop: Header=BB25_17 Depth=1
	v_cmp_ne_u16_e64 s0, 0, v0
	v_mov_b32_e32 v13, 0
	s_and_not1_b32 s43, s43, exec_lo
	s_delay_alu instid0(VALU_DEP_2) | instskip(NEXT) | instid1(SALU_CYCLE_1)
	s_and_b32 s0, s0, exec_lo
	s_or_b32 s43, s43, s0
	s_or_b32 exec_lo, exec_lo, s45
	s_and_saveexec_b32 s44, s43
	s_cbranch_execnz .LBB25_2028
	s_branch .LBB25_2029
.LBB25_2808:                            ;   in Loop: Header=BB25_17 Depth=1
	s_mov_b32 s49, exec_lo
                                        ; implicit-def: $sgpr52
                                        ; implicit-def: $sgpr50
                                        ; implicit-def: $vgpr12
	v_cmpx_lt_i16_e32 25, v13
	s_xor_b32 s49, exec_lo, s49
	s_cbranch_execz .LBB25_2840
; %bb.2809:                             ;   in Loop: Header=BB25_17 Depth=1
	s_mov_b32 s50, exec_lo
                                        ; implicit-def: $sgpr52
                                        ; implicit-def: $sgpr53
                                        ; implicit-def: $vgpr12
	v_cmpx_lt_i16_e32 28, v13
	s_xor_b32 s50, exec_lo, s50
	s_cbranch_execz .LBB25_2825
; %bb.2810:                             ;   in Loop: Header=BB25_17 Depth=1
	s_mov_b32 s54, 0
	s_mov_b32 s51, exec_lo
                                        ; implicit-def: $sgpr52
                                        ; implicit-def: $sgpr53
                                        ; implicit-def: $vgpr12
	v_cmpx_lt_i16_e32 43, v13
	s_xor_b32 s51, exec_lo, s51
	s_cbranch_execz .LBB25_2820
; %bb.2811:                             ;   in Loop: Header=BB25_17 Depth=1
	s_mov_b32 s55, exec_lo
                                        ; implicit-def: $sgpr53
                                        ; implicit-def: $sgpr52
                                        ; implicit-def: $vgpr12
	v_cmpx_lt_i16_e32 45, v13
	s_xor_b32 s55, exec_lo, s55
	s_cbranch_execz .LBB25_2815
; %bb.2812:                             ;   in Loop: Header=BB25_17 Depth=1
	s_mov_b32 s52, 0
	s_mov_b32 s53, exec_lo
                                        ; implicit-def: $vgpr12
	v_cmpx_eq_u16_e32 46, v13
	s_cbranch_execz .LBB25_2814
; %bb.2813:                             ;   in Loop: Header=BB25_17 Depth=1
	flat_load_b32 v0, v[0:1]
	s_mov_b32 s54, exec_lo
	s_waitcnt vmcnt(0) lgkmcnt(0)
	v_lshlrev_b32_e32 v12, 16, v0
.LBB25_2814:                            ;   in Loop: Header=BB25_17 Depth=1
	s_or_b32 exec_lo, exec_lo, s53
	s_mov_b32 s53, -1
	s_and_b32 s54, s54, exec_lo
                                        ; implicit-def: $vgpr13
                                        ; implicit-def: $vgpr0_vgpr1
.LBB25_2815:                            ;   in Loop: Header=BB25_17 Depth=1
	s_and_not1_saveexec_b32 s55, s55
	s_cbranch_execz .LBB25_2819
; %bb.2816:                             ;   in Loop: Header=BB25_17 Depth=1
	s_mov_b32 s57, s54
	s_mov_b32 s56, exec_lo
                                        ; implicit-def: $vgpr12
	v_cmpx_eq_u16_e32 44, v13
	s_cbranch_execz .LBB25_2818
; %bb.2817:                             ;   in Loop: Header=BB25_17 Depth=1
	flat_load_u8 v0, v[0:1]
	s_or_b32 s57, s54, exec_lo
	s_waitcnt vmcnt(0) lgkmcnt(0)
	v_lshlrev_b32_e32 v1, 23, v0
	v_cmp_ne_u32_e64 s0, 0xff, v0
	s_delay_alu instid0(VALU_DEP_1) | instskip(SKIP_1) | instid1(VALU_DEP_1)
	v_cndmask_b32_e64 v1, 0x7f800001, v1, s0
	v_cmp_ne_u32_e64 s0, 0, v0
	v_cndmask_b32_e64 v12, 0x400000, v1, s0
.LBB25_2818:                            ;   in Loop: Header=BB25_17 Depth=1
	s_or_b32 exec_lo, exec_lo, s56
	s_delay_alu instid0(SALU_CYCLE_1)
	s_and_not1_b32 s0, s54, exec_lo
	s_and_b32 s54, s57, exec_lo
	s_or_b32 s53, s53, exec_lo
	s_and_not1_b32 s52, s52, exec_lo
	s_or_b32 s54, s0, s54
.LBB25_2819:                            ;   in Loop: Header=BB25_17 Depth=1
	s_or_b32 exec_lo, exec_lo, s55
	s_delay_alu instid0(SALU_CYCLE_1)
	s_and_b32 s53, s53, exec_lo
	s_and_b32 s52, s52, exec_lo
	s_and_b32 s54, s54, exec_lo
                                        ; implicit-def: $vgpr13
                                        ; implicit-def: $vgpr0_vgpr1
.LBB25_2820:                            ;   in Loop: Header=BB25_17 Depth=1
	s_and_not1_saveexec_b32 s51, s51
	s_cbranch_execz .LBB25_2824
; %bb.2821:                             ;   in Loop: Header=BB25_17 Depth=1
	s_mov_b32 s56, s54
	s_mov_b32 s55, exec_lo
                                        ; implicit-def: $vgpr12
	v_cmpx_eq_u16_e32 29, v13
	s_cbranch_execz .LBB25_2823
; %bb.2822:                             ;   in Loop: Header=BB25_17 Depth=1
	flat_load_b64 v[0:1], v[0:1]
	s_or_b32 s56, s54, exec_lo
	s_waitcnt vmcnt(0) lgkmcnt(0)
	v_clz_i32_u32_e32 v12, v1
	s_delay_alu instid0(VALU_DEP_1) | instskip(NEXT) | instid1(VALU_DEP_1)
	v_min_u32_e32 v12, 32, v12
	v_lshlrev_b64 v[0:1], v12, v[0:1]
	s_delay_alu instid0(VALU_DEP_1) | instskip(NEXT) | instid1(VALU_DEP_1)
	v_min_u32_e32 v0, 1, v0
	v_or_b32_e32 v0, v1, v0
	v_sub_nc_u32_e32 v1, 32, v12
	s_delay_alu instid0(VALU_DEP_2) | instskip(NEXT) | instid1(VALU_DEP_1)
	v_cvt_f32_u32_e32 v0, v0
	v_ldexp_f32 v12, v0, v1
.LBB25_2823:                            ;   in Loop: Header=BB25_17 Depth=1
	s_or_b32 exec_lo, exec_lo, s55
	s_delay_alu instid0(SALU_CYCLE_1)
	s_and_not1_b32 s0, s54, exec_lo
	s_and_b32 s54, s56, exec_lo
	s_or_b32 s53, s53, exec_lo
	s_and_not1_b32 s52, s52, exec_lo
	s_or_b32 s54, s0, s54
.LBB25_2824:                            ;   in Loop: Header=BB25_17 Depth=1
	s_or_b32 exec_lo, exec_lo, s51
	s_delay_alu instid0(SALU_CYCLE_1)
	s_and_b32 s53, s53, exec_lo
	s_and_b32 s52, s52, exec_lo
	;; [unrolled: 1-line block ×3, first 2 shown]
                                        ; implicit-def: $vgpr13
                                        ; implicit-def: $vgpr0_vgpr1
.LBB25_2825:                            ;   in Loop: Header=BB25_17 Depth=1
	s_and_not1_saveexec_b32 s50, s50
	s_cbranch_execz .LBB25_2839
; %bb.2826:                             ;   in Loop: Header=BB25_17 Depth=1
	s_mov_b32 s54, exec_lo
                                        ; implicit-def: $vgpr12
	v_cmpx_lt_i16_e32 26, v13
	s_xor_b32 s54, exec_lo, s54
	s_cbranch_execz .LBB25_2832
; %bb.2827:                             ;   in Loop: Header=BB25_17 Depth=1
	v_cmp_lt_i16_e64 s0, 27, v13
                                        ; implicit-def: $vgpr12
	s_delay_alu instid0(VALU_DEP_1) | instskip(NEXT) | instid1(SALU_CYCLE_1)
	s_and_saveexec_b32 s55, s0
	s_xor_b32 s0, exec_lo, s55
	s_cbranch_execz .LBB25_2829
; %bb.2828:                             ;   in Loop: Header=BB25_17 Depth=1
	flat_load_b32 v0, v[0:1]
	s_waitcnt vmcnt(0) lgkmcnt(0)
	v_cvt_f32_u32_e32 v12, v0
                                        ; implicit-def: $vgpr0_vgpr1
.LBB25_2829:                            ;   in Loop: Header=BB25_17 Depth=1
	s_and_not1_saveexec_b32 s0, s0
	s_cbranch_execz .LBB25_2831
; %bb.2830:                             ;   in Loop: Header=BB25_17 Depth=1
	flat_load_u16 v0, v[0:1]
	s_waitcnt vmcnt(0) lgkmcnt(0)
	v_cvt_f32_u32_e32 v12, v0
.LBB25_2831:                            ;   in Loop: Header=BB25_17 Depth=1
	s_or_b32 exec_lo, exec_lo, s0
                                        ; implicit-def: $vgpr0_vgpr1
.LBB25_2832:                            ;   in Loop: Header=BB25_17 Depth=1
	s_and_not1_saveexec_b32 s54, s54
	s_cbranch_execz .LBB25_2838
; %bb.2833:                             ;   in Loop: Header=BB25_17 Depth=1
	flat_load_u8 v0, v[0:1]
	s_mov_b32 s55, 0
	s_mov_b32 s57, exec_lo
                                        ; implicit-def: $sgpr56
	s_waitcnt vmcnt(0) lgkmcnt(0)
	v_cmpx_lt_i16_e32 0x7f, v0
	s_xor_b32 s57, exec_lo, s57
	s_cbranch_execnz .LBB25_3594
; %bb.2834:                             ;   in Loop: Header=BB25_17 Depth=1
	s_or_saveexec_b32 s57, s57
	v_mov_b32_e32 v12, s56
	s_xor_b32 exec_lo, exec_lo, s57
	s_cbranch_execnz .LBB25_3597
.LBB25_2835:                            ;   in Loop: Header=BB25_17 Depth=1
	s_or_b32 exec_lo, exec_lo, s57
	s_and_saveexec_b32 s56, s55
	s_cbranch_execz .LBB25_2837
.LBB25_2836:                            ;   in Loop: Header=BB25_17 Depth=1
	v_and_b32_e32 v1, 0xffff, v0
	v_lshlrev_b32_e32 v0, 24, v0
	s_delay_alu instid0(VALU_DEP_2) | instskip(NEXT) | instid1(VALU_DEP_2)
	v_and_b32_e32 v12, 7, v1
	v_and_b32_e32 v0, 0x80000000, v0
	s_delay_alu instid0(VALU_DEP_2) | instskip(NEXT) | instid1(VALU_DEP_1)
	v_clz_i32_u32_e32 v13, v12
	v_min_u32_e32 v13, 32, v13
	s_delay_alu instid0(VALU_DEP_1) | instskip(SKIP_1) | instid1(VALU_DEP_2)
	v_subrev_nc_u32_e32 v14, 28, v13
	v_sub_nc_u32_e32 v13, 29, v13
	v_lshlrev_b32_e32 v14, v14, v1
	v_bfe_u32 v1, v1, 3, 4
	s_delay_alu instid0(VALU_DEP_2) | instskip(NEXT) | instid1(VALU_DEP_2)
	v_and_b32_e32 v14, 7, v14
	v_cmp_eq_u32_e64 s0, 0, v1
	s_delay_alu instid0(VALU_DEP_1) | instskip(NEXT) | instid1(VALU_DEP_3)
	v_cndmask_b32_e64 v1, v1, v13, s0
	v_cndmask_b32_e64 v12, v12, v14, s0
	s_delay_alu instid0(VALU_DEP_2) | instskip(NEXT) | instid1(VALU_DEP_2)
	v_lshl_add_u32 v1, v1, 23, 0x3b800000
	v_lshlrev_b32_e32 v12, 20, v12
	s_delay_alu instid0(VALU_DEP_1)
	v_or3_b32 v12, v0, v1, v12
.LBB25_2837:                            ;   in Loop: Header=BB25_17 Depth=1
	s_or_b32 exec_lo, exec_lo, s56
.LBB25_2838:                            ;   in Loop: Header=BB25_17 Depth=1
	s_delay_alu instid0(SALU_CYCLE_1) | instskip(NEXT) | instid1(SALU_CYCLE_1)
	s_or_b32 exec_lo, exec_lo, s54
	s_and_not1_b32 s53, s53, exec_lo
	s_and_not1_b32 s52, s52, exec_lo
	s_or_b32 s51, s51, exec_lo
.LBB25_2839:                            ;   in Loop: Header=BB25_17 Depth=1
	s_or_b32 exec_lo, exec_lo, s50
	s_delay_alu instid0(SALU_CYCLE_1)
	s_and_b32 s50, s53, exec_lo
	s_and_b32 s52, s52, exec_lo
	;; [unrolled: 1-line block ×3, first 2 shown]
                                        ; implicit-def: $vgpr13
                                        ; implicit-def: $vgpr0_vgpr1
.LBB25_2840:                            ;   in Loop: Header=BB25_17 Depth=1
	s_and_not1_saveexec_b32 s49, s49
	s_cbranch_execz .LBB25_2866
; %bb.2841:                             ;   in Loop: Header=BB25_17 Depth=1
	s_mov_b32 s54, s51
	s_mov_b32 s53, exec_lo
                                        ; implicit-def: $vgpr12
	v_cmpx_lt_i16_e32 22, v13
	s_xor_b32 s53, exec_lo, s53
	s_cbranch_execz .LBB25_2855
; %bb.2842:                             ;   in Loop: Header=BB25_17 Depth=1
	s_mov_b32 s54, exec_lo
                                        ; implicit-def: $vgpr12
	v_cmpx_lt_i16_e32 23, v13
	s_xor_b32 s54, exec_lo, s54
	s_cbranch_execz .LBB25_2852
; %bb.2843:                             ;   in Loop: Header=BB25_17 Depth=1
	;; [unrolled: 6-line block ×3, first 2 shown]
	flat_load_u8 v0, v[0:1]
	s_mov_b32 s56, 0
	s_mov_b32 s58, exec_lo
                                        ; implicit-def: $sgpr57
	s_waitcnt vmcnt(0) lgkmcnt(0)
	v_cmpx_lt_i16_e32 0x7f, v0
	s_xor_b32 s58, exec_lo, s58
	s_cbranch_execnz .LBB25_3602
; %bb.2845:                             ;   in Loop: Header=BB25_17 Depth=1
	s_or_saveexec_b32 s58, s58
	v_mov_b32_e32 v12, s57
	s_xor_b32 exec_lo, exec_lo, s58
	s_cbranch_execnz .LBB25_3605
.LBB25_2846:                            ;   in Loop: Header=BB25_17 Depth=1
	s_or_b32 exec_lo, exec_lo, s58
	s_and_saveexec_b32 s57, s56
	s_cbranch_execz .LBB25_2848
.LBB25_2847:                            ;   in Loop: Header=BB25_17 Depth=1
	v_and_b32_e32 v1, 0xffff, v0
	v_lshlrev_b32_e32 v0, 24, v0
	s_delay_alu instid0(VALU_DEP_2) | instskip(NEXT) | instid1(VALU_DEP_2)
	v_and_b32_e32 v12, 3, v1
	v_and_b32_e32 v0, 0x80000000, v0
	s_delay_alu instid0(VALU_DEP_2) | instskip(NEXT) | instid1(VALU_DEP_1)
	v_clz_i32_u32_e32 v13, v12
	v_min_u32_e32 v13, 32, v13
	s_delay_alu instid0(VALU_DEP_1) | instskip(SKIP_1) | instid1(VALU_DEP_2)
	v_subrev_nc_u32_e32 v14, 29, v13
	v_sub_nc_u32_e32 v13, 30, v13
	v_lshlrev_b32_e32 v14, v14, v1
	v_bfe_u32 v1, v1, 2, 5
	s_delay_alu instid0(VALU_DEP_2) | instskip(NEXT) | instid1(VALU_DEP_2)
	v_and_b32_e32 v14, 3, v14
	v_cmp_eq_u32_e64 s0, 0, v1
	s_delay_alu instid0(VALU_DEP_1) | instskip(NEXT) | instid1(VALU_DEP_3)
	v_cndmask_b32_e64 v1, v1, v13, s0
	v_cndmask_b32_e64 v12, v12, v14, s0
	s_delay_alu instid0(VALU_DEP_2) | instskip(NEXT) | instid1(VALU_DEP_2)
	v_lshl_add_u32 v1, v1, 23, 0x37800000
	v_lshlrev_b32_e32 v12, 21, v12
	s_delay_alu instid0(VALU_DEP_1)
	v_or3_b32 v12, v0, v1, v12
.LBB25_2848:                            ;   in Loop: Header=BB25_17 Depth=1
	s_or_b32 exec_lo, exec_lo, s57
                                        ; implicit-def: $vgpr0_vgpr1
.LBB25_2849:                            ;   in Loop: Header=BB25_17 Depth=1
	s_and_not1_saveexec_b32 s55, s55
	s_cbranch_execz .LBB25_2851
; %bb.2850:                             ;   in Loop: Header=BB25_17 Depth=1
	flat_load_u8 v0, v[0:1]
	s_waitcnt vmcnt(0) lgkmcnt(0)
	v_lshlrev_b32_e32 v0, 24, v0
	s_delay_alu instid0(VALU_DEP_1) | instskip(NEXT) | instid1(VALU_DEP_1)
	v_and_b32_e32 v1, 0x7f000000, v0
	v_clz_i32_u32_e32 v12, v1
	v_add_nc_u32_e32 v14, 0x1000000, v1
	v_cmp_ne_u32_e64 s0, 0, v1
	s_delay_alu instid0(VALU_DEP_3) | instskip(NEXT) | instid1(VALU_DEP_1)
	v_min_u32_e32 v12, 32, v12
	v_sub_nc_u32_e64 v12, v12, 4 clamp
	s_delay_alu instid0(VALU_DEP_1) | instskip(SKIP_1) | instid1(VALU_DEP_2)
	v_lshlrev_b32_e32 v13, v12, v1
	v_lshlrev_b32_e32 v12, 23, v12
	v_lshrrev_b32_e32 v13, 4, v13
	s_delay_alu instid0(VALU_DEP_1) | instskip(SKIP_1) | instid1(VALU_DEP_2)
	v_sub_nc_u32_e32 v12, v13, v12
	v_ashrrev_i32_e32 v13, 8, v14
	v_add_nc_u32_e32 v12, 0x3c000000, v12
	s_delay_alu instid0(VALU_DEP_1) | instskip(NEXT) | instid1(VALU_DEP_1)
	v_and_or_b32 v12, 0x7f800000, v13, v12
	v_cndmask_b32_e64 v1, 0, v12, s0
	s_delay_alu instid0(VALU_DEP_1)
	v_and_or_b32 v12, 0x80000000, v0, v1
.LBB25_2851:                            ;   in Loop: Header=BB25_17 Depth=1
	s_or_b32 exec_lo, exec_lo, s55
                                        ; implicit-def: $vgpr0_vgpr1
.LBB25_2852:                            ;   in Loop: Header=BB25_17 Depth=1
	s_and_not1_saveexec_b32 s54, s54
	s_cbranch_execz .LBB25_2854
; %bb.2853:                             ;   in Loop: Header=BB25_17 Depth=1
	flat_load_u8 v0, v[0:1]
	s_waitcnt vmcnt(0) lgkmcnt(0)
	v_lshlrev_b32_e32 v1, 25, v0
	v_lshlrev_b16 v0, 8, v0
	s_delay_alu instid0(VALU_DEP_2) | instskip(NEXT) | instid1(VALU_DEP_2)
	v_lshrrev_b32_e32 v12, 4, v1
	v_and_or_b32 v13, 0x7f00, v0, 0.5
	v_cmp_gt_u32_e64 s0, 0x8000000, v1
	v_bfe_i32 v0, v0, 0, 16
	s_delay_alu instid0(VALU_DEP_4) | instskip(NEXT) | instid1(VALU_DEP_1)
	v_or_b32_e32 v12, 0x70000000, v12
	v_dual_add_f32 v13, -0.5, v13 :: v_dual_mul_f32 v12, 0x7800000, v12
	s_delay_alu instid0(VALU_DEP_1) | instskip(NEXT) | instid1(VALU_DEP_1)
	v_cndmask_b32_e64 v1, v12, v13, s0
	v_and_or_b32 v12, 0x80000000, v0, v1
.LBB25_2854:                            ;   in Loop: Header=BB25_17 Depth=1
	s_or_b32 exec_lo, exec_lo, s54
	s_delay_alu instid0(SALU_CYCLE_1)
	s_or_b32 s54, s51, exec_lo
                                        ; implicit-def: $vgpr13
                                        ; implicit-def: $vgpr0_vgpr1
.LBB25_2855:                            ;   in Loop: Header=BB25_17 Depth=1
	s_or_saveexec_b32 s53, s53
                                        ; implicit-def: $sgpr55
                                        ; implicit-def: $sgpr0
	s_delay_alu instid0(SALU_CYCLE_1)
	s_xor_b32 exec_lo, exec_lo, s53
	s_cbranch_execz .LBB25_2865
; %bb.2856:                             ;   in Loop: Header=BB25_17 Depth=1
	s_mov_b32 s56, s54
	s_mov_b32 s58, exec_lo
                                        ; implicit-def: $sgpr57
                                        ; implicit-def: $sgpr55
                                        ; implicit-def: $vgpr12
	v_cmpx_lt_i16_e32 14, v13
	s_xor_b32 s58, exec_lo, s58
	s_cbranch_execz .LBB25_2860
; %bb.2857:                             ;   in Loop: Header=BB25_17 Depth=1
	s_mov_b32 s56, s54
	s_mov_b32 s55, exec_lo
                                        ; implicit-def: $vgpr12
	v_cmpx_eq_u16_e32 15, v13
	s_cbranch_execz .LBB25_2859
; %bb.2858:                             ;   in Loop: Header=BB25_17 Depth=1
	flat_load_u16 v0, v[0:1]
	s_or_b32 s56, s54, exec_lo
	s_waitcnt vmcnt(0) lgkmcnt(0)
	v_lshlrev_b32_e32 v12, 16, v0
.LBB25_2859:                            ;   in Loop: Header=BB25_17 Depth=1
	s_or_b32 exec_lo, exec_lo, s55
	s_delay_alu instid0(SALU_CYCLE_1)
	s_and_not1_b32 s0, s54, exec_lo
	s_and_b32 s56, s56, exec_lo
	s_mov_b32 s55, 0
	s_mov_b32 s57, -1
	s_or_b32 s56, s0, s56
                                        ; implicit-def: $vgpr13
                                        ; implicit-def: $vgpr0_vgpr1
.LBB25_2860:                            ;   in Loop: Header=BB25_17 Depth=1
	s_and_not1_saveexec_b32 s58, s58
	s_cbranch_execz .LBB25_2864
; %bb.2861:                             ;   in Loop: Header=BB25_17 Depth=1
	s_mov_b32 s59, s56
	s_mov_b32 s60, exec_lo
                                        ; implicit-def: $vgpr12
	v_cmpx_eq_u16_e32 11, v13
	s_cbranch_execz .LBB25_2863
; %bb.2862:                             ;   in Loop: Header=BB25_17 Depth=1
	flat_load_u8 v0, v[0:1]
	s_or_b32 s59, s56, exec_lo
	s_waitcnt vmcnt(0) lgkmcnt(0)
	v_cmp_ne_u16_e64 s0, 0, v0
	s_delay_alu instid0(VALU_DEP_1)
	v_cndmask_b32_e64 v12, 0, 1.0, s0
.LBB25_2863:                            ;   in Loop: Header=BB25_17 Depth=1
	s_or_b32 exec_lo, exec_lo, s60
	s_delay_alu instid0(SALU_CYCLE_1)
	s_and_not1_b32 s0, s56, exec_lo
	s_and_b32 s56, s59, exec_lo
	s_or_b32 s57, s57, exec_lo
	s_and_not1_b32 s55, s55, exec_lo
	s_or_b32 s56, s0, s56
.LBB25_2864:                            ;   in Loop: Header=BB25_17 Depth=1
	s_or_b32 exec_lo, exec_lo, s58
	s_delay_alu instid0(SALU_CYCLE_1)
	s_and_not1_b32 s54, s54, exec_lo
	s_and_b32 s56, s56, exec_lo
	s_and_b32 s0, s57, exec_lo
	;; [unrolled: 1-line block ×3, first 2 shown]
	s_or_b32 s54, s54, s56
.LBB25_2865:                            ;   in Loop: Header=BB25_17 Depth=1
	s_or_b32 exec_lo, exec_lo, s53
	s_delay_alu instid0(SALU_CYCLE_1)
	s_and_not1_b32 s50, s50, exec_lo
	s_and_b32 s0, s0, exec_lo
	s_and_not1_b32 s51, s51, exec_lo
	s_or_b32 s50, s50, s0
	s_and_not1_b32 s0, s52, exec_lo
	s_and_b32 s52, s55, exec_lo
	s_and_b32 s53, s54, exec_lo
	s_or_b32 s52, s0, s52
	s_or_b32 s51, s51, s53
.LBB25_2866:                            ;   in Loop: Header=BB25_17 Depth=1
	s_or_b32 exec_lo, exec_lo, s49
	s_delay_alu instid0(SALU_CYCLE_1)
	s_and_b32 s50, s50, exec_lo
	s_and_b32 s49, s52, exec_lo
	;; [unrolled: 1-line block ×3, first 2 shown]
                                        ; implicit-def: $vgpr13
                                        ; implicit-def: $vgpr0_vgpr1
	s_and_not1_saveexec_b32 s48, s48
	s_cbranch_execz .LBB25_2783
.LBB25_2867:                            ;   in Loop: Header=BB25_17 Depth=1
	s_mov_b32 s52, exec_lo
                                        ; implicit-def: $vgpr12
	v_cmpx_lt_i16_e32 4, v13
	s_xor_b32 s52, exec_lo, s52
	s_cbranch_execz .LBB25_2889
; %bb.2868:                             ;   in Loop: Header=BB25_17 Depth=1
	s_mov_b32 s53, exec_lo
                                        ; implicit-def: $vgpr12
	v_cmpx_lt_i16_e32 7, v13
	s_xor_b32 s53, exec_lo, s53
	s_cbranch_execz .LBB25_2878
; %bb.2869:                             ;   in Loop: Header=BB25_17 Depth=1
	;; [unrolled: 6-line block ×3, first 2 shown]
	v_cmp_lt_i16_e64 s0, 9, v13
                                        ; implicit-def: $vgpr12
	s_delay_alu instid0(VALU_DEP_1) | instskip(NEXT) | instid1(SALU_CYCLE_1)
	s_and_saveexec_b32 s55, s0
	s_xor_b32 s0, exec_lo, s55
	s_cbranch_execz .LBB25_2872
; %bb.2871:                             ;   in Loop: Header=BB25_17 Depth=1
	flat_load_b64 v[0:1], v[0:1]
	s_waitcnt vmcnt(0) lgkmcnt(0)
	v_cvt_f32_f64_e32 v12, v[0:1]
                                        ; implicit-def: $vgpr0_vgpr1
.LBB25_2872:                            ;   in Loop: Header=BB25_17 Depth=1
	s_and_not1_saveexec_b32 s0, s0
	s_cbranch_execz .LBB25_2874
; %bb.2873:                             ;   in Loop: Header=BB25_17 Depth=1
	flat_load_b32 v12, v[0:1]
.LBB25_2874:                            ;   in Loop: Header=BB25_17 Depth=1
	s_or_b32 exec_lo, exec_lo, s0
                                        ; implicit-def: $vgpr0_vgpr1
.LBB25_2875:                            ;   in Loop: Header=BB25_17 Depth=1
	s_and_not1_saveexec_b32 s0, s54
	s_cbranch_execz .LBB25_2877
; %bb.2876:                             ;   in Loop: Header=BB25_17 Depth=1
	flat_load_b32 v0, v[0:1]
	s_waitcnt vmcnt(0) lgkmcnt(0)
	v_cvt_f32_f16_e32 v12, v0
.LBB25_2877:                            ;   in Loop: Header=BB25_17 Depth=1
	s_or_b32 exec_lo, exec_lo, s0
                                        ; implicit-def: $vgpr0_vgpr1
                                        ; implicit-def: $vgpr13
.LBB25_2878:                            ;   in Loop: Header=BB25_17 Depth=1
	s_and_not1_saveexec_b32 s53, s53
	s_cbranch_execz .LBB25_2888
; %bb.2879:                             ;   in Loop: Header=BB25_17 Depth=1
	s_mov_b32 s54, exec_lo
                                        ; implicit-def: $vgpr12
	v_cmpx_lt_i16_e32 5, v13
	s_xor_b32 s54, exec_lo, s54
	s_cbranch_execz .LBB25_2885
; %bb.2880:                             ;   in Loop: Header=BB25_17 Depth=1
	v_cmp_lt_i16_e64 s0, 6, v13
                                        ; implicit-def: $vgpr12
	s_delay_alu instid0(VALU_DEP_1) | instskip(NEXT) | instid1(SALU_CYCLE_1)
	s_and_saveexec_b32 s55, s0
	s_xor_b32 s0, exec_lo, s55
	s_cbranch_execz .LBB25_2882
; %bb.2881:                             ;   in Loop: Header=BB25_17 Depth=1
	flat_load_b64 v[0:1], v[0:1]
	s_waitcnt vmcnt(0) lgkmcnt(0)
	v_cvt_f32_f64_e32 v12, v[0:1]
                                        ; implicit-def: $vgpr0_vgpr1
.LBB25_2882:                            ;   in Loop: Header=BB25_17 Depth=1
	s_and_not1_saveexec_b32 s0, s0
	s_cbranch_execz .LBB25_2884
; %bb.2883:                             ;   in Loop: Header=BB25_17 Depth=1
	s_waitcnt vmcnt(0) lgkmcnt(0)
	flat_load_b32 v12, v[0:1]
.LBB25_2884:                            ;   in Loop: Header=BB25_17 Depth=1
	s_or_b32 exec_lo, exec_lo, s0
                                        ; implicit-def: $vgpr0_vgpr1
.LBB25_2885:                            ;   in Loop: Header=BB25_17 Depth=1
	s_and_not1_saveexec_b32 s0, s54
	s_cbranch_execz .LBB25_2887
; %bb.2886:                             ;   in Loop: Header=BB25_17 Depth=1
	flat_load_u16 v0, v[0:1]
	s_waitcnt vmcnt(0) lgkmcnt(0)
	v_cvt_f32_f16_e32 v12, v0
.LBB25_2887:                            ;   in Loop: Header=BB25_17 Depth=1
	s_or_b32 exec_lo, exec_lo, s0
.LBB25_2888:                            ;   in Loop: Header=BB25_17 Depth=1
	s_delay_alu instid0(SALU_CYCLE_1)
	s_or_b32 exec_lo, exec_lo, s53
                                        ; implicit-def: $vgpr13
                                        ; implicit-def: $vgpr0_vgpr1
.LBB25_2889:                            ;   in Loop: Header=BB25_17 Depth=1
	s_and_not1_saveexec_b32 s52, s52
	s_cbranch_execz .LBB25_2907
; %bb.2890:                             ;   in Loop: Header=BB25_17 Depth=1
	s_mov_b32 s53, exec_lo
                                        ; implicit-def: $vgpr12
	v_cmpx_lt_i16_e32 1, v13
	s_xor_b32 s53, exec_lo, s53
	s_cbranch_execz .LBB25_2900
; %bb.2891:                             ;   in Loop: Header=BB25_17 Depth=1
	s_mov_b32 s54, exec_lo
                                        ; implicit-def: $vgpr12
	v_cmpx_lt_i16_e32 2, v13
	s_xor_b32 s54, exec_lo, s54
	s_cbranch_execz .LBB25_2897
; %bb.2892:                             ;   in Loop: Header=BB25_17 Depth=1
	v_cmp_lt_i16_e64 s0, 3, v13
                                        ; implicit-def: $vgpr12
	s_delay_alu instid0(VALU_DEP_1) | instskip(NEXT) | instid1(SALU_CYCLE_1)
	s_and_saveexec_b32 s55, s0
	s_xor_b32 s0, exec_lo, s55
	s_cbranch_execz .LBB25_2894
; %bb.2893:                             ;   in Loop: Header=BB25_17 Depth=1
	flat_load_b64 v[0:1], v[0:1]
	s_waitcnt vmcnt(0) lgkmcnt(0)
	v_xor_b32_e32 v12, v0, v1
	v_cls_i32_e32 v13, v1
	s_delay_alu instid0(VALU_DEP_2) | instskip(NEXT) | instid1(VALU_DEP_2)
	v_ashrrev_i32_e32 v12, 31, v12
	v_add_nc_u32_e32 v13, -1, v13
	s_delay_alu instid0(VALU_DEP_2) | instskip(NEXT) | instid1(VALU_DEP_1)
	v_add_nc_u32_e32 v12, 32, v12
	v_min_u32_e32 v12, v13, v12
	s_delay_alu instid0(VALU_DEP_1) | instskip(NEXT) | instid1(VALU_DEP_1)
	v_lshlrev_b64 v[0:1], v12, v[0:1]
	v_min_u32_e32 v0, 1, v0
	s_delay_alu instid0(VALU_DEP_1) | instskip(SKIP_1) | instid1(VALU_DEP_2)
	v_or_b32_e32 v0, v1, v0
	v_sub_nc_u32_e32 v1, 32, v12
	v_cvt_f32_i32_e32 v0, v0
	s_delay_alu instid0(VALU_DEP_1)
	v_ldexp_f32 v12, v0, v1
                                        ; implicit-def: $vgpr0_vgpr1
.LBB25_2894:                            ;   in Loop: Header=BB25_17 Depth=1
	s_and_not1_saveexec_b32 s0, s0
	s_cbranch_execz .LBB25_2896
; %bb.2895:                             ;   in Loop: Header=BB25_17 Depth=1
	flat_load_b32 v0, v[0:1]
	s_waitcnt vmcnt(0) lgkmcnt(0)
	v_cvt_f32_i32_e32 v12, v0
.LBB25_2896:                            ;   in Loop: Header=BB25_17 Depth=1
	s_or_b32 exec_lo, exec_lo, s0
                                        ; implicit-def: $vgpr0_vgpr1
.LBB25_2897:                            ;   in Loop: Header=BB25_17 Depth=1
	s_and_not1_saveexec_b32 s0, s54
	s_cbranch_execz .LBB25_2899
; %bb.2898:                             ;   in Loop: Header=BB25_17 Depth=1
	flat_load_i16 v0, v[0:1]
	s_waitcnt vmcnt(0) lgkmcnt(0)
	v_cvt_f32_i32_e32 v12, v0
.LBB25_2899:                            ;   in Loop: Header=BB25_17 Depth=1
	s_or_b32 exec_lo, exec_lo, s0
                                        ; implicit-def: $vgpr0_vgpr1
                                        ; implicit-def: $vgpr13
.LBB25_2900:                            ;   in Loop: Header=BB25_17 Depth=1
	s_and_not1_saveexec_b32 s53, s53
	s_cbranch_execz .LBB25_2906
; %bb.2901:                             ;   in Loop: Header=BB25_17 Depth=1
	v_cmp_lt_i16_e64 s0, 0, v13
                                        ; implicit-def: $vgpr12
	s_delay_alu instid0(VALU_DEP_1) | instskip(NEXT) | instid1(SALU_CYCLE_1)
	s_and_saveexec_b32 s54, s0
	s_xor_b32 s0, exec_lo, s54
	s_cbranch_execz .LBB25_2903
; %bb.2902:                             ;   in Loop: Header=BB25_17 Depth=1
	flat_load_i8 v0, v[0:1]
	s_waitcnt vmcnt(0) lgkmcnt(0)
	v_cvt_f32_i32_e32 v12, v0
                                        ; implicit-def: $vgpr0_vgpr1
.LBB25_2903:                            ;   in Loop: Header=BB25_17 Depth=1
	s_and_not1_saveexec_b32 s0, s0
	s_cbranch_execz .LBB25_2905
; %bb.2904:                             ;   in Loop: Header=BB25_17 Depth=1
	flat_load_u8 v0, v[0:1]
	s_waitcnt vmcnt(0) lgkmcnt(0)
	v_cvt_f32_ubyte0_e32 v12, v0
.LBB25_2905:                            ;   in Loop: Header=BB25_17 Depth=1
	s_or_b32 exec_lo, exec_lo, s0
.LBB25_2906:                            ;   in Loop: Header=BB25_17 Depth=1
	s_delay_alu instid0(SALU_CYCLE_1)
	s_or_b32 exec_lo, exec_lo, s53
.LBB25_2907:                            ;   in Loop: Header=BB25_17 Depth=1
	s_delay_alu instid0(SALU_CYCLE_1) | instskip(NEXT) | instid1(SALU_CYCLE_1)
	s_or_b32 exec_lo, exec_lo, s52
	s_and_not1_b32 s50, s50, exec_lo
	s_and_not1_b32 s49, s49, exec_lo
	s_or_b32 s51, s51, exec_lo
	s_or_b32 exec_lo, exec_lo, s48
	s_mov_b32 s0, 0
	s_and_saveexec_b32 s48, s51
	s_cbranch_execnz .LBB25_2784
	s_branch .LBB25_2785
.LBB25_2908:                            ;   in Loop: Header=BB25_17 Depth=1
	s_mov_b32 s46, exec_lo
                                        ; implicit-def: $sgpr52
                                        ; implicit-def: $sgpr47
                                        ; implicit-def: $vgpr13
	v_cmpx_lt_i16_e32 25, v2
	s_xor_b32 s46, exec_lo, s46
	s_cbranch_execz .LBB25_2940
; %bb.2909:                             ;   in Loop: Header=BB25_17 Depth=1
	s_mov_b32 s47, exec_lo
                                        ; implicit-def: $sgpr52
                                        ; implicit-def: $sgpr53
                                        ; implicit-def: $vgpr13
	v_cmpx_lt_i16_e32 28, v2
	s_xor_b32 s47, exec_lo, s47
	s_cbranch_execz .LBB25_2925
; %bb.2910:                             ;   in Loop: Header=BB25_17 Depth=1
	s_mov_b32 s54, 0
	s_mov_b32 s51, exec_lo
                                        ; implicit-def: $sgpr52
                                        ; implicit-def: $sgpr53
                                        ; implicit-def: $vgpr13
	v_cmpx_lt_i16_e32 43, v2
	s_xor_b32 s51, exec_lo, s51
	s_cbranch_execz .LBB25_2920
; %bb.2911:                             ;   in Loop: Header=BB25_17 Depth=1
	s_mov_b32 s53, exec_lo
                                        ; implicit-def: $sgpr52
                                        ; implicit-def: $sgpr55
                                        ; implicit-def: $vgpr13
	v_cmpx_lt_i16_e32 45, v2
	s_xor_b32 s53, exec_lo, s53
	s_cbranch_execz .LBB25_2915
; %bb.2912:                             ;   in Loop: Header=BB25_17 Depth=1
	s_mov_b32 s52, 0
	s_mov_b32 s55, exec_lo
                                        ; implicit-def: $vgpr13
	v_cmpx_eq_u16_e32 46, v2
	s_cbranch_execz .LBB25_2914
; %bb.2913:                             ;   in Loop: Header=BB25_17 Depth=1
	flat_load_b32 v0, v[0:1]
	s_mov_b32 s54, exec_lo
	s_waitcnt vmcnt(0) lgkmcnt(0)
	v_lshlrev_b32_e32 v13, 16, v0
.LBB25_2914:                            ;   in Loop: Header=BB25_17 Depth=1
	s_or_b32 exec_lo, exec_lo, s55
	s_mov_b32 s55, -1
	s_and_b32 s54, s54, exec_lo
                                        ; implicit-def: $vgpr0_vgpr1
.LBB25_2915:                            ;   in Loop: Header=BB25_17 Depth=1
	s_and_not1_saveexec_b32 s53, s53
	s_cbranch_execz .LBB25_2919
; %bb.2916:                             ;   in Loop: Header=BB25_17 Depth=1
	s_mov_b32 s57, s54
	s_mov_b32 s56, exec_lo
                                        ; implicit-def: $vgpr13
	v_cmpx_eq_u16_e32 44, v2
	s_cbranch_execz .LBB25_2918
; %bb.2917:                             ;   in Loop: Header=BB25_17 Depth=1
	flat_load_u8 v0, v[0:1]
	s_or_b32 s57, s54, exec_lo
	s_waitcnt vmcnt(0) lgkmcnt(0)
	v_lshlrev_b32_e32 v1, 23, v0
	v_cmp_ne_u32_e64 s0, 0xff, v0
	s_delay_alu instid0(VALU_DEP_1) | instskip(SKIP_1) | instid1(VALU_DEP_1)
	v_cndmask_b32_e64 v1, 0x7f800001, v1, s0
	v_cmp_ne_u32_e64 s0, 0, v0
	v_cndmask_b32_e64 v13, 0x400000, v1, s0
.LBB25_2918:                            ;   in Loop: Header=BB25_17 Depth=1
	s_or_b32 exec_lo, exec_lo, s56
	s_delay_alu instid0(SALU_CYCLE_1)
	s_and_not1_b32 s0, s54, exec_lo
	s_and_b32 s54, s57, exec_lo
	s_and_not1_b32 s52, s52, exec_lo
	s_or_b32 s55, s55, exec_lo
	s_or_b32 s54, s0, s54
.LBB25_2919:                            ;   in Loop: Header=BB25_17 Depth=1
	s_or_b32 exec_lo, exec_lo, s53
	s_delay_alu instid0(SALU_CYCLE_1)
	s_and_b32 s53, s52, exec_lo
	s_and_b32 s52, s55, exec_lo
	s_and_b32 s54, s54, exec_lo
                                        ; implicit-def: $vgpr0_vgpr1
.LBB25_2920:                            ;   in Loop: Header=BB25_17 Depth=1
	s_and_not1_saveexec_b32 s51, s51
	s_cbranch_execz .LBB25_2924
; %bb.2921:                             ;   in Loop: Header=BB25_17 Depth=1
	s_mov_b32 s56, s54
	s_mov_b32 s55, exec_lo
                                        ; implicit-def: $vgpr13
	v_cmpx_eq_u16_e32 29, v2
	s_cbranch_execz .LBB25_2923
; %bb.2922:                             ;   in Loop: Header=BB25_17 Depth=1
	flat_load_b64 v[0:1], v[0:1]
	s_or_b32 s56, s54, exec_lo
	s_waitcnt vmcnt(0) lgkmcnt(0)
	v_clz_i32_u32_e32 v8, v1
	s_delay_alu instid0(VALU_DEP_1) | instskip(NEXT) | instid1(VALU_DEP_1)
	v_min_u32_e32 v8, 32, v8
	v_lshlrev_b64 v[0:1], v8, v[0:1]
	s_delay_alu instid0(VALU_DEP_1) | instskip(NEXT) | instid1(VALU_DEP_1)
	v_min_u32_e32 v0, 1, v0
	v_or_b32_e32 v0, v1, v0
	v_sub_nc_u32_e32 v1, 32, v8
	s_delay_alu instid0(VALU_DEP_2) | instskip(NEXT) | instid1(VALU_DEP_1)
	v_cvt_f32_u32_e32 v0, v0
	v_ldexp_f32 v13, v0, v1
.LBB25_2923:                            ;   in Loop: Header=BB25_17 Depth=1
	s_or_b32 exec_lo, exec_lo, s55
	s_delay_alu instid0(SALU_CYCLE_1)
	s_and_not1_b32 s0, s54, exec_lo
	s_and_b32 s54, s56, exec_lo
	s_and_not1_b32 s53, s53, exec_lo
	s_or_b32 s52, s52, exec_lo
	s_or_b32 s54, s0, s54
.LBB25_2924:                            ;   in Loop: Header=BB25_17 Depth=1
	s_or_b32 exec_lo, exec_lo, s51
	s_delay_alu instid0(SALU_CYCLE_1)
	s_and_b32 s53, s53, exec_lo
	s_and_b32 s52, s52, exec_lo
	;; [unrolled: 1-line block ×3, first 2 shown]
                                        ; implicit-def: $vgpr0_vgpr1
.LBB25_2925:                            ;   in Loop: Header=BB25_17 Depth=1
	s_and_not1_saveexec_b32 s47, s47
	s_cbranch_execz .LBB25_2939
; %bb.2926:                             ;   in Loop: Header=BB25_17 Depth=1
	s_mov_b32 s54, exec_lo
                                        ; implicit-def: $vgpr13
	v_cmpx_lt_i16_e32 26, v2
	s_xor_b32 s54, exec_lo, s54
	s_cbranch_execz .LBB25_2932
; %bb.2927:                             ;   in Loop: Header=BB25_17 Depth=1
	v_cmp_lt_i16_e64 s0, 27, v2
                                        ; implicit-def: $vgpr13
	s_delay_alu instid0(VALU_DEP_1) | instskip(NEXT) | instid1(SALU_CYCLE_1)
	s_and_saveexec_b32 s55, s0
	s_xor_b32 s0, exec_lo, s55
	s_cbranch_execz .LBB25_2929
; %bb.2928:                             ;   in Loop: Header=BB25_17 Depth=1
	flat_load_b32 v0, v[0:1]
	s_waitcnt vmcnt(0) lgkmcnt(0)
	v_cvt_f32_u32_e32 v13, v0
                                        ; implicit-def: $vgpr0_vgpr1
.LBB25_2929:                            ;   in Loop: Header=BB25_17 Depth=1
	s_and_not1_saveexec_b32 s0, s0
	s_cbranch_execz .LBB25_2931
; %bb.2930:                             ;   in Loop: Header=BB25_17 Depth=1
	flat_load_u16 v0, v[0:1]
	s_waitcnt vmcnt(0) lgkmcnt(0)
	v_cvt_f32_u32_e32 v13, v0
.LBB25_2931:                            ;   in Loop: Header=BB25_17 Depth=1
	s_or_b32 exec_lo, exec_lo, s0
                                        ; implicit-def: $vgpr0_vgpr1
.LBB25_2932:                            ;   in Loop: Header=BB25_17 Depth=1
	s_and_not1_saveexec_b32 s54, s54
	s_cbranch_execz .LBB25_2938
; %bb.2933:                             ;   in Loop: Header=BB25_17 Depth=1
	flat_load_u8 v0, v[0:1]
	s_mov_b32 s55, 0
	s_mov_b32 s57, exec_lo
                                        ; implicit-def: $sgpr56
	s_waitcnt vmcnt(0) lgkmcnt(0)
	v_cmpx_lt_i16_e32 0x7f, v0
	s_xor_b32 s57, exec_lo, s57
	s_cbranch_execnz .LBB25_3598
; %bb.2934:                             ;   in Loop: Header=BB25_17 Depth=1
	s_or_saveexec_b32 s57, s57
	v_mov_b32_e32 v13, s56
	s_xor_b32 exec_lo, exec_lo, s57
	s_cbranch_execnz .LBB25_3601
.LBB25_2935:                            ;   in Loop: Header=BB25_17 Depth=1
	s_or_b32 exec_lo, exec_lo, s57
	s_and_saveexec_b32 s56, s55
	s_cbranch_execz .LBB25_2937
.LBB25_2936:                            ;   in Loop: Header=BB25_17 Depth=1
	v_and_b32_e32 v1, 0xffff, v0
	v_lshlrev_b32_e32 v0, 24, v0
	s_delay_alu instid0(VALU_DEP_2) | instskip(NEXT) | instid1(VALU_DEP_2)
	v_and_b32_e32 v8, 7, v1
	v_and_b32_e32 v0, 0x80000000, v0
	s_delay_alu instid0(VALU_DEP_2) | instskip(NEXT) | instid1(VALU_DEP_1)
	v_clz_i32_u32_e32 v13, v8
	v_min_u32_e32 v13, 32, v13
	s_delay_alu instid0(VALU_DEP_1) | instskip(SKIP_1) | instid1(VALU_DEP_2)
	v_subrev_nc_u32_e32 v14, 28, v13
	v_sub_nc_u32_e32 v13, 29, v13
	v_lshlrev_b32_e32 v14, v14, v1
	v_bfe_u32 v1, v1, 3, 4
	s_delay_alu instid0(VALU_DEP_2) | instskip(NEXT) | instid1(VALU_DEP_2)
	v_and_b32_e32 v14, 7, v14
	v_cmp_eq_u32_e64 s0, 0, v1
	s_delay_alu instid0(VALU_DEP_1) | instskip(NEXT) | instid1(VALU_DEP_3)
	v_cndmask_b32_e64 v1, v1, v13, s0
	v_cndmask_b32_e64 v8, v8, v14, s0
	s_delay_alu instid0(VALU_DEP_2) | instskip(NEXT) | instid1(VALU_DEP_2)
	v_lshl_add_u32 v1, v1, 23, 0x3b800000
	v_lshlrev_b32_e32 v8, 20, v8
	s_delay_alu instid0(VALU_DEP_1)
	v_or3_b32 v13, v0, v1, v8
.LBB25_2937:                            ;   in Loop: Header=BB25_17 Depth=1
	s_or_b32 exec_lo, exec_lo, s56
.LBB25_2938:                            ;   in Loop: Header=BB25_17 Depth=1
	s_delay_alu instid0(SALU_CYCLE_1) | instskip(NEXT) | instid1(SALU_CYCLE_1)
	s_or_b32 exec_lo, exec_lo, s54
	s_and_not1_b32 s53, s53, exec_lo
	s_and_not1_b32 s52, s52, exec_lo
	s_or_b32 s51, s51, exec_lo
.LBB25_2939:                            ;   in Loop: Header=BB25_17 Depth=1
	s_or_b32 exec_lo, exec_lo, s47
	s_delay_alu instid0(SALU_CYCLE_1)
	s_and_b32 s47, s53, exec_lo
	s_and_b32 s52, s52, exec_lo
	;; [unrolled: 1-line block ×3, first 2 shown]
                                        ; implicit-def: $vgpr0_vgpr1
.LBB25_2940:                            ;   in Loop: Header=BB25_17 Depth=1
	s_and_not1_saveexec_b32 s46, s46
	s_cbranch_execz .LBB25_2966
; %bb.2941:                             ;   in Loop: Header=BB25_17 Depth=1
	s_mov_b32 s54, s51
	s_mov_b32 s53, exec_lo
                                        ; implicit-def: $vgpr13
	v_cmpx_lt_i16_e32 22, v2
	s_xor_b32 s53, exec_lo, s53
	s_cbranch_execz .LBB25_2955
; %bb.2942:                             ;   in Loop: Header=BB25_17 Depth=1
	s_mov_b32 s54, exec_lo
                                        ; implicit-def: $vgpr13
	v_cmpx_lt_i16_e32 23, v2
	s_xor_b32 s54, exec_lo, s54
	s_cbranch_execz .LBB25_2952
; %bb.2943:                             ;   in Loop: Header=BB25_17 Depth=1
	;; [unrolled: 6-line block ×3, first 2 shown]
	flat_load_u8 v0, v[0:1]
	s_mov_b32 s56, 0
	s_mov_b32 s58, exec_lo
                                        ; implicit-def: $sgpr57
	s_waitcnt vmcnt(0) lgkmcnt(0)
	v_cmpx_lt_i16_e32 0x7f, v0
	s_xor_b32 s58, exec_lo, s58
	s_cbranch_execnz .LBB25_3606
; %bb.2945:                             ;   in Loop: Header=BB25_17 Depth=1
	s_or_saveexec_b32 s58, s58
	v_mov_b32_e32 v13, s57
	s_xor_b32 exec_lo, exec_lo, s58
	s_cbranch_execnz .LBB25_3609
.LBB25_2946:                            ;   in Loop: Header=BB25_17 Depth=1
	s_or_b32 exec_lo, exec_lo, s58
	s_and_saveexec_b32 s57, s56
	s_cbranch_execz .LBB25_2948
.LBB25_2947:                            ;   in Loop: Header=BB25_17 Depth=1
	v_and_b32_e32 v1, 0xffff, v0
	v_lshlrev_b32_e32 v0, 24, v0
	s_delay_alu instid0(VALU_DEP_2) | instskip(NEXT) | instid1(VALU_DEP_2)
	v_and_b32_e32 v8, 3, v1
	v_and_b32_e32 v0, 0x80000000, v0
	s_delay_alu instid0(VALU_DEP_2) | instskip(NEXT) | instid1(VALU_DEP_1)
	v_clz_i32_u32_e32 v13, v8
	v_min_u32_e32 v13, 32, v13
	s_delay_alu instid0(VALU_DEP_1) | instskip(SKIP_1) | instid1(VALU_DEP_2)
	v_subrev_nc_u32_e32 v14, 29, v13
	v_sub_nc_u32_e32 v13, 30, v13
	v_lshlrev_b32_e32 v14, v14, v1
	v_bfe_u32 v1, v1, 2, 5
	s_delay_alu instid0(VALU_DEP_2) | instskip(NEXT) | instid1(VALU_DEP_2)
	v_and_b32_e32 v14, 3, v14
	v_cmp_eq_u32_e64 s0, 0, v1
	s_delay_alu instid0(VALU_DEP_1) | instskip(NEXT) | instid1(VALU_DEP_3)
	v_cndmask_b32_e64 v1, v1, v13, s0
	v_cndmask_b32_e64 v8, v8, v14, s0
	s_delay_alu instid0(VALU_DEP_2) | instskip(NEXT) | instid1(VALU_DEP_2)
	v_lshl_add_u32 v1, v1, 23, 0x37800000
	v_lshlrev_b32_e32 v8, 21, v8
	s_delay_alu instid0(VALU_DEP_1)
	v_or3_b32 v13, v0, v1, v8
.LBB25_2948:                            ;   in Loop: Header=BB25_17 Depth=1
	s_or_b32 exec_lo, exec_lo, s57
                                        ; implicit-def: $vgpr0_vgpr1
.LBB25_2949:                            ;   in Loop: Header=BB25_17 Depth=1
	s_and_not1_saveexec_b32 s55, s55
	s_cbranch_execz .LBB25_2951
; %bb.2950:                             ;   in Loop: Header=BB25_17 Depth=1
	flat_load_u8 v0, v[0:1]
	s_waitcnt vmcnt(0) lgkmcnt(0)
	v_lshlrev_b32_e32 v0, 24, v0
	s_delay_alu instid0(VALU_DEP_1) | instskip(NEXT) | instid1(VALU_DEP_1)
	v_and_b32_e32 v1, 0x7f000000, v0
	v_clz_i32_u32_e32 v8, v1
	v_add_nc_u32_e32 v14, 0x1000000, v1
	v_cmp_ne_u32_e64 s0, 0, v1
	s_delay_alu instid0(VALU_DEP_3) | instskip(NEXT) | instid1(VALU_DEP_1)
	v_min_u32_e32 v8, 32, v8
	v_sub_nc_u32_e64 v8, v8, 4 clamp
	s_delay_alu instid0(VALU_DEP_1) | instskip(SKIP_1) | instid1(VALU_DEP_2)
	v_lshlrev_b32_e32 v13, v8, v1
	v_lshlrev_b32_e32 v8, 23, v8
	v_lshrrev_b32_e32 v13, 4, v13
	s_delay_alu instid0(VALU_DEP_1) | instskip(SKIP_1) | instid1(VALU_DEP_2)
	v_sub_nc_u32_e32 v8, v13, v8
	v_ashrrev_i32_e32 v13, 8, v14
	v_add_nc_u32_e32 v8, 0x3c000000, v8
	s_delay_alu instid0(VALU_DEP_1) | instskip(NEXT) | instid1(VALU_DEP_1)
	v_and_or_b32 v8, 0x7f800000, v13, v8
	v_cndmask_b32_e64 v1, 0, v8, s0
	s_delay_alu instid0(VALU_DEP_1)
	v_and_or_b32 v13, 0x80000000, v0, v1
.LBB25_2951:                            ;   in Loop: Header=BB25_17 Depth=1
	s_or_b32 exec_lo, exec_lo, s55
                                        ; implicit-def: $vgpr0_vgpr1
.LBB25_2952:                            ;   in Loop: Header=BB25_17 Depth=1
	s_and_not1_saveexec_b32 s54, s54
	s_cbranch_execz .LBB25_2954
; %bb.2953:                             ;   in Loop: Header=BB25_17 Depth=1
	flat_load_u8 v0, v[0:1]
	s_waitcnt vmcnt(0) lgkmcnt(0)
	v_lshlrev_b32_e32 v1, 25, v0
	v_lshlrev_b16 v0, 8, v0
	s_delay_alu instid0(VALU_DEP_2) | instskip(NEXT) | instid1(VALU_DEP_2)
	v_lshrrev_b32_e32 v8, 4, v1
	v_and_or_b32 v13, 0x7f00, v0, 0.5
	v_cmp_gt_u32_e64 s0, 0x8000000, v1
	v_bfe_i32 v0, v0, 0, 16
	s_delay_alu instid0(VALU_DEP_4) | instskip(NEXT) | instid1(VALU_DEP_1)
	v_or_b32_e32 v8, 0x70000000, v8
	v_dual_add_f32 v13, -0.5, v13 :: v_dual_mul_f32 v8, 0x7800000, v8
	s_delay_alu instid0(VALU_DEP_1) | instskip(NEXT) | instid1(VALU_DEP_1)
	v_cndmask_b32_e64 v1, v8, v13, s0
	v_and_or_b32 v13, 0x80000000, v0, v1
.LBB25_2954:                            ;   in Loop: Header=BB25_17 Depth=1
	s_or_b32 exec_lo, exec_lo, s54
	s_delay_alu instid0(SALU_CYCLE_1)
	s_or_b32 s54, s51, exec_lo
                                        ; implicit-def: $vgpr0_vgpr1
.LBB25_2955:                            ;   in Loop: Header=BB25_17 Depth=1
	s_or_saveexec_b32 s53, s53
                                        ; implicit-def: $sgpr55
                                        ; implicit-def: $sgpr0
	s_delay_alu instid0(SALU_CYCLE_1)
	s_xor_b32 exec_lo, exec_lo, s53
	s_cbranch_execz .LBB25_2965
; %bb.2956:                             ;   in Loop: Header=BB25_17 Depth=1
	s_mov_b32 s56, s54
	s_mov_b32 s58, exec_lo
                                        ; implicit-def: $sgpr57
                                        ; implicit-def: $sgpr55
                                        ; implicit-def: $vgpr13
	v_cmpx_lt_i16_e32 14, v2
	s_xor_b32 s58, exec_lo, s58
	s_cbranch_execz .LBB25_2960
; %bb.2957:                             ;   in Loop: Header=BB25_17 Depth=1
	s_mov_b32 s56, s54
	s_mov_b32 s55, exec_lo
                                        ; implicit-def: $vgpr13
	v_cmpx_eq_u16_e32 15, v2
	s_cbranch_execz .LBB25_2959
; %bb.2958:                             ;   in Loop: Header=BB25_17 Depth=1
	flat_load_u16 v0, v[0:1]
	s_or_b32 s56, s54, exec_lo
	s_waitcnt vmcnt(0) lgkmcnt(0)
	v_lshlrev_b32_e32 v13, 16, v0
.LBB25_2959:                            ;   in Loop: Header=BB25_17 Depth=1
	s_or_b32 exec_lo, exec_lo, s55
	s_delay_alu instid0(SALU_CYCLE_1)
	s_and_not1_b32 s0, s54, exec_lo
	s_and_b32 s56, s56, exec_lo
	s_mov_b32 s55, -1
	s_mov_b32 s57, 0
	s_or_b32 s56, s0, s56
                                        ; implicit-def: $vgpr0_vgpr1
.LBB25_2960:                            ;   in Loop: Header=BB25_17 Depth=1
	s_and_not1_saveexec_b32 s58, s58
	s_cbranch_execz .LBB25_2964
; %bb.2961:                             ;   in Loop: Header=BB25_17 Depth=1
	s_mov_b32 s59, s56
	s_mov_b32 s60, exec_lo
                                        ; implicit-def: $vgpr13
	v_cmpx_eq_u16_e32 11, v2
	s_cbranch_execz .LBB25_2963
; %bb.2962:                             ;   in Loop: Header=BB25_17 Depth=1
	flat_load_u8 v0, v[0:1]
	s_or_b32 s59, s56, exec_lo
	s_waitcnt vmcnt(0) lgkmcnt(0)
	v_cmp_ne_u16_e64 s0, 0, v0
	s_delay_alu instid0(VALU_DEP_1)
	v_cndmask_b32_e64 v13, 0, 1.0, s0
.LBB25_2963:                            ;   in Loop: Header=BB25_17 Depth=1
	s_or_b32 exec_lo, exec_lo, s60
	s_delay_alu instid0(SALU_CYCLE_1)
	s_and_not1_b32 s0, s56, exec_lo
	s_and_b32 s56, s59, exec_lo
	s_and_not1_b32 s57, s57, exec_lo
	s_or_b32 s55, s55, exec_lo
	s_or_b32 s56, s0, s56
.LBB25_2964:                            ;   in Loop: Header=BB25_17 Depth=1
	s_or_b32 exec_lo, exec_lo, s58
	s_delay_alu instid0(SALU_CYCLE_1)
	s_and_not1_b32 s54, s54, exec_lo
	s_and_b32 s56, s56, exec_lo
	s_and_b32 s0, s57, exec_lo
	;; [unrolled: 1-line block ×3, first 2 shown]
	s_or_b32 s54, s54, s56
.LBB25_2965:                            ;   in Loop: Header=BB25_17 Depth=1
	s_or_b32 exec_lo, exec_lo, s53
	s_delay_alu instid0(SALU_CYCLE_1)
	s_and_not1_b32 s47, s47, exec_lo
	s_and_b32 s0, s0, exec_lo
	s_and_not1_b32 s51, s51, exec_lo
	s_or_b32 s47, s47, s0
	s_and_not1_b32 s0, s52, exec_lo
	s_and_b32 s52, s55, exec_lo
	s_and_b32 s53, s54, exec_lo
	s_or_b32 s52, s0, s52
	s_or_b32 s51, s51, s53
.LBB25_2966:                            ;   in Loop: Header=BB25_17 Depth=1
	s_or_b32 exec_lo, exec_lo, s46
	s_delay_alu instid0(SALU_CYCLE_1)
	s_and_b32 s47, s47, exec_lo
	s_and_b32 s46, s52, exec_lo
	;; [unrolled: 1-line block ×3, first 2 shown]
                                        ; implicit-def: $vgpr0_vgpr1
	s_and_not1_saveexec_b32 s50, s50
	s_cbranch_execz .LBB25_2791
.LBB25_2967:                            ;   in Loop: Header=BB25_17 Depth=1
	s_mov_b32 s52, exec_lo
                                        ; implicit-def: $vgpr13
	v_cmpx_lt_i16_e32 4, v2
	s_xor_b32 s52, exec_lo, s52
	s_cbranch_execz .LBB25_2989
; %bb.2968:                             ;   in Loop: Header=BB25_17 Depth=1
	s_mov_b32 s53, exec_lo
                                        ; implicit-def: $vgpr13
	v_cmpx_lt_i16_e32 7, v2
	s_xor_b32 s53, exec_lo, s53
	s_cbranch_execz .LBB25_2978
; %bb.2969:                             ;   in Loop: Header=BB25_17 Depth=1
	;; [unrolled: 6-line block ×3, first 2 shown]
	v_cmp_lt_i16_e64 s0, 9, v2
                                        ; implicit-def: $vgpr13
	s_delay_alu instid0(VALU_DEP_1) | instskip(NEXT) | instid1(SALU_CYCLE_1)
	s_and_saveexec_b32 s55, s0
	s_xor_b32 s0, exec_lo, s55
	s_cbranch_execz .LBB25_2972
; %bb.2971:                             ;   in Loop: Header=BB25_17 Depth=1
	flat_load_b64 v[0:1], v[0:1]
	s_waitcnt vmcnt(0) lgkmcnt(0)
	v_cvt_f32_f64_e32 v13, v[0:1]
                                        ; implicit-def: $vgpr0_vgpr1
.LBB25_2972:                            ;   in Loop: Header=BB25_17 Depth=1
	s_and_not1_saveexec_b32 s0, s0
	s_cbranch_execz .LBB25_2974
; %bb.2973:                             ;   in Loop: Header=BB25_17 Depth=1
	flat_load_b32 v13, v[0:1]
.LBB25_2974:                            ;   in Loop: Header=BB25_17 Depth=1
	s_or_b32 exec_lo, exec_lo, s0
                                        ; implicit-def: $vgpr0_vgpr1
.LBB25_2975:                            ;   in Loop: Header=BB25_17 Depth=1
	s_and_not1_saveexec_b32 s0, s54
	s_cbranch_execz .LBB25_2977
; %bb.2976:                             ;   in Loop: Header=BB25_17 Depth=1
	flat_load_b32 v0, v[0:1]
	s_waitcnt vmcnt(0) lgkmcnt(0)
	v_cvt_f32_f16_e32 v13, v0
.LBB25_2977:                            ;   in Loop: Header=BB25_17 Depth=1
	s_or_b32 exec_lo, exec_lo, s0
                                        ; implicit-def: $vgpr0_vgpr1
.LBB25_2978:                            ;   in Loop: Header=BB25_17 Depth=1
	s_and_not1_saveexec_b32 s53, s53
	s_cbranch_execz .LBB25_2988
; %bb.2979:                             ;   in Loop: Header=BB25_17 Depth=1
	s_mov_b32 s54, exec_lo
                                        ; implicit-def: $vgpr13
	v_cmpx_lt_i16_e32 5, v2
	s_xor_b32 s54, exec_lo, s54
	s_cbranch_execz .LBB25_2985
; %bb.2980:                             ;   in Loop: Header=BB25_17 Depth=1
	v_cmp_lt_i16_e64 s0, 6, v2
                                        ; implicit-def: $vgpr13
	s_delay_alu instid0(VALU_DEP_1) | instskip(NEXT) | instid1(SALU_CYCLE_1)
	s_and_saveexec_b32 s55, s0
	s_xor_b32 s0, exec_lo, s55
	s_cbranch_execz .LBB25_2982
; %bb.2981:                             ;   in Loop: Header=BB25_17 Depth=1
	flat_load_b64 v[0:1], v[0:1]
	s_waitcnt vmcnt(0) lgkmcnt(0)
	v_cvt_f32_f64_e32 v13, v[0:1]
                                        ; implicit-def: $vgpr0_vgpr1
.LBB25_2982:                            ;   in Loop: Header=BB25_17 Depth=1
	s_and_not1_saveexec_b32 s0, s0
	s_cbranch_execz .LBB25_2984
; %bb.2983:                             ;   in Loop: Header=BB25_17 Depth=1
	s_waitcnt vmcnt(0) lgkmcnt(0)
	flat_load_b32 v13, v[0:1]
.LBB25_2984:                            ;   in Loop: Header=BB25_17 Depth=1
	s_or_b32 exec_lo, exec_lo, s0
                                        ; implicit-def: $vgpr0_vgpr1
.LBB25_2985:                            ;   in Loop: Header=BB25_17 Depth=1
	s_and_not1_saveexec_b32 s0, s54
	s_cbranch_execz .LBB25_2987
; %bb.2986:                             ;   in Loop: Header=BB25_17 Depth=1
	flat_load_u16 v0, v[0:1]
	s_waitcnt vmcnt(0) lgkmcnt(0)
	v_cvt_f32_f16_e32 v13, v0
.LBB25_2987:                            ;   in Loop: Header=BB25_17 Depth=1
	s_or_b32 exec_lo, exec_lo, s0
.LBB25_2988:                            ;   in Loop: Header=BB25_17 Depth=1
	s_delay_alu instid0(SALU_CYCLE_1)
	s_or_b32 exec_lo, exec_lo, s53
                                        ; implicit-def: $vgpr0_vgpr1
.LBB25_2989:                            ;   in Loop: Header=BB25_17 Depth=1
	s_and_not1_saveexec_b32 s52, s52
	s_cbranch_execz .LBB25_3007
; %bb.2990:                             ;   in Loop: Header=BB25_17 Depth=1
	s_mov_b32 s53, exec_lo
                                        ; implicit-def: $vgpr13
	v_cmpx_lt_i16_e32 1, v2
	s_xor_b32 s53, exec_lo, s53
	s_cbranch_execz .LBB25_3000
; %bb.2991:                             ;   in Loop: Header=BB25_17 Depth=1
	s_mov_b32 s54, exec_lo
                                        ; implicit-def: $vgpr13
	v_cmpx_lt_i16_e32 2, v2
	s_xor_b32 s54, exec_lo, s54
	s_cbranch_execz .LBB25_2997
; %bb.2992:                             ;   in Loop: Header=BB25_17 Depth=1
	v_cmp_lt_i16_e64 s0, 3, v2
                                        ; implicit-def: $vgpr13
	s_delay_alu instid0(VALU_DEP_1) | instskip(NEXT) | instid1(SALU_CYCLE_1)
	s_and_saveexec_b32 s55, s0
	s_xor_b32 s0, exec_lo, s55
	s_cbranch_execz .LBB25_2994
; %bb.2993:                             ;   in Loop: Header=BB25_17 Depth=1
	flat_load_b64 v[0:1], v[0:1]
	s_waitcnt vmcnt(0) lgkmcnt(0)
	v_xor_b32_e32 v8, v0, v1
	v_cls_i32_e32 v13, v1
	s_delay_alu instid0(VALU_DEP_2) | instskip(NEXT) | instid1(VALU_DEP_2)
	v_ashrrev_i32_e32 v8, 31, v8
	v_add_nc_u32_e32 v13, -1, v13
	s_delay_alu instid0(VALU_DEP_2) | instskip(NEXT) | instid1(VALU_DEP_1)
	v_add_nc_u32_e32 v8, 32, v8
	v_min_u32_e32 v8, v13, v8
	s_delay_alu instid0(VALU_DEP_1) | instskip(NEXT) | instid1(VALU_DEP_1)
	v_lshlrev_b64 v[0:1], v8, v[0:1]
	v_min_u32_e32 v0, 1, v0
	s_delay_alu instid0(VALU_DEP_1) | instskip(SKIP_1) | instid1(VALU_DEP_2)
	v_or_b32_e32 v0, v1, v0
	v_sub_nc_u32_e32 v1, 32, v8
	v_cvt_f32_i32_e32 v0, v0
	s_delay_alu instid0(VALU_DEP_1)
	v_ldexp_f32 v13, v0, v1
                                        ; implicit-def: $vgpr0_vgpr1
.LBB25_2994:                            ;   in Loop: Header=BB25_17 Depth=1
	s_and_not1_saveexec_b32 s0, s0
	s_cbranch_execz .LBB25_2996
; %bb.2995:                             ;   in Loop: Header=BB25_17 Depth=1
	flat_load_b32 v0, v[0:1]
	s_waitcnt vmcnt(0) lgkmcnt(0)
	v_cvt_f32_i32_e32 v13, v0
.LBB25_2996:                            ;   in Loop: Header=BB25_17 Depth=1
	s_or_b32 exec_lo, exec_lo, s0
                                        ; implicit-def: $vgpr0_vgpr1
.LBB25_2997:                            ;   in Loop: Header=BB25_17 Depth=1
	s_and_not1_saveexec_b32 s0, s54
	s_cbranch_execz .LBB25_2999
; %bb.2998:                             ;   in Loop: Header=BB25_17 Depth=1
	flat_load_i16 v0, v[0:1]
	s_waitcnt vmcnt(0) lgkmcnt(0)
	v_cvt_f32_i32_e32 v13, v0
.LBB25_2999:                            ;   in Loop: Header=BB25_17 Depth=1
	s_or_b32 exec_lo, exec_lo, s0
                                        ; implicit-def: $vgpr0_vgpr1
.LBB25_3000:                            ;   in Loop: Header=BB25_17 Depth=1
	s_and_not1_saveexec_b32 s53, s53
	s_cbranch_execz .LBB25_3006
; %bb.3001:                             ;   in Loop: Header=BB25_17 Depth=1
	v_cmp_lt_i16_e64 s0, 0, v2
                                        ; implicit-def: $vgpr13
	s_delay_alu instid0(VALU_DEP_1) | instskip(NEXT) | instid1(SALU_CYCLE_1)
	s_and_saveexec_b32 s54, s0
	s_xor_b32 s0, exec_lo, s54
	s_cbranch_execz .LBB25_3003
; %bb.3002:                             ;   in Loop: Header=BB25_17 Depth=1
	flat_load_i8 v0, v[0:1]
	s_waitcnt vmcnt(0) lgkmcnt(0)
	v_cvt_f32_i32_e32 v13, v0
                                        ; implicit-def: $vgpr0_vgpr1
.LBB25_3003:                            ;   in Loop: Header=BB25_17 Depth=1
	s_and_not1_saveexec_b32 s0, s0
	s_cbranch_execz .LBB25_3005
; %bb.3004:                             ;   in Loop: Header=BB25_17 Depth=1
	flat_load_u8 v0, v[0:1]
	s_waitcnt vmcnt(0) lgkmcnt(0)
	v_cvt_f32_ubyte0_e32 v13, v0
.LBB25_3005:                            ;   in Loop: Header=BB25_17 Depth=1
	s_or_b32 exec_lo, exec_lo, s0
.LBB25_3006:                            ;   in Loop: Header=BB25_17 Depth=1
	s_delay_alu instid0(SALU_CYCLE_1)
	s_or_b32 exec_lo, exec_lo, s53
.LBB25_3007:                            ;   in Loop: Header=BB25_17 Depth=1
	s_delay_alu instid0(SALU_CYCLE_1) | instskip(NEXT) | instid1(SALU_CYCLE_1)
	s_or_b32 exec_lo, exec_lo, s52
	s_and_not1_b32 s47, s47, exec_lo
	s_and_not1_b32 s46, s46, exec_lo
	s_or_b32 s51, s51, exec_lo
	s_or_b32 exec_lo, exec_lo, s50
	s_mov_b32 s0, 0
	s_and_saveexec_b32 s50, s51
	s_cbranch_execz .LBB25_3013
.LBB25_3008:                            ;   in Loop: Header=BB25_17 Depth=1
	s_add_i32 s0, s33, 16
	s_mov_b32 s54, 0
	v_add_nc_u32_e64 v8, s1, s0
	s_mov_b32 s51, exec_lo
                                        ; implicit-def: $sgpr52
                                        ; implicit-def: $sgpr53
	s_delay_alu instid0(VALU_DEP_1) | instskip(SKIP_4) | instid1(VALU_DEP_2)
	v_add_nc_u32_e32 v0, 0x6c, v8
	s_waitcnt vmcnt(0) lgkmcnt(0)
	scratch_store_b32 v0, v13, off
	v_mul_lo_u32 v0, v12, v11
	v_and_b32_e32 v13, 0xff, v9
                                        ; implicit-def: $vgpr12
	v_add_co_u32 v0, s0, v5, v0
	s_delay_alu instid0(VALU_DEP_1) | instskip(NEXT) | instid1(VALU_DEP_3)
	v_add_co_ci_u32_e64 v1, s0, 0, v6, s0
	v_cmpx_lt_i16_e32 10, v13
	s_xor_b32 s51, exec_lo, s51
	s_cbranch_execnz .LBB25_3035
; %bb.3009:                             ;   in Loop: Header=BB25_17 Depth=1
	s_and_not1_saveexec_b32 s51, s51
	s_cbranch_execnz .LBB25_3094
.LBB25_3010:                            ;   in Loop: Header=BB25_17 Depth=1
	s_or_b32 exec_lo, exec_lo, s51
	s_mov_b32 s0, 0
	s_and_saveexec_b32 s51, s54
	s_cbranch_execz .LBB25_3012
.LBB25_3011:                            ;   in Loop: Header=BB25_17 Depth=1
	v_add_nc_u32_e32 v0, 0x68, v8
	v_add_nc_u32_e32 v7, 0x200, v7
	s_mov_b32 s0, exec_lo
	s_and_not1_b32 s53, s53, exec_lo
	s_and_not1_b32 s52, s52, exec_lo
	s_waitcnt vmcnt(0) lgkmcnt(0)
	scratch_store_b32 v0, v12, off
.LBB25_3012:                            ;   in Loop: Header=BB25_17 Depth=1
	s_or_b32 exec_lo, exec_lo, s51
	s_delay_alu instid0(SALU_CYCLE_1)
	s_and_not1_b32 s47, s47, exec_lo
	s_and_b32 s51, s53, exec_lo
	s_and_not1_b32 s46, s46, exec_lo
	s_and_b32 s52, s52, exec_lo
	s_or_b32 s47, s47, s51
	s_or_b32 s46, s46, s52
	s_and_b32 s0, s0, exec_lo
.LBB25_3013:                            ;   in Loop: Header=BB25_17 Depth=1
	s_or_b32 exec_lo, exec_lo, s50
	s_delay_alu instid0(SALU_CYCLE_1)
	s_and_b32 s47, s47, exec_lo
	s_and_b32 s46, s46, exec_lo
	s_or_not1_b32 s50, s0, exec_lo
.LBB25_3014:                            ;   in Loop: Header=BB25_17 Depth=1
	s_or_b32 exec_lo, exec_lo, s48
	s_and_saveexec_b32 s48, s50
	s_cbranch_execz .LBB25_3
; %bb.3015:                             ;   in Loop: Header=BB25_17 Depth=1
	s_mov_b32 s52, -1
	s_mov_b32 s53, -1
	s_mov_b32 s51, exec_lo
                                        ; implicit-def: $sgpr49
                                        ; implicit-def: $sgpr50
	v_cmpx_lt_i32_e64 v7, v146
	s_cbranch_execz .LBB25_3241
; %bb.3016:                             ;   in Loop: Header=BB25_17 Depth=1
	s_waitcnt vmcnt(0) lgkmcnt(0)
	v_add_nc_u32_e32 v12, s38, v7
	s_mov_b32 s54, 0
	s_mov_b32 s53, exec_lo
                                        ; implicit-def: $sgpr49
                                        ; implicit-def: $sgpr50
                                        ; implicit-def: $vgpr13
	s_delay_alu instid0(VALU_DEP_1) | instskip(NEXT) | instid1(VALU_DEP_1)
	v_mul_lo_u32 v0, v12, v10
	v_add_co_u32 v0, s0, v3, v0
	s_delay_alu instid0(VALU_DEP_1)
	v_add_co_ci_u32_e64 v1, s0, 0, v4, s0
	v_cmpx_lt_i16_e32 10, v2
	s_xor_b32 s53, exec_lo, s53
	s_cbranch_execnz .LBB25_3135
; %bb.3017:                             ;   in Loop: Header=BB25_17 Depth=1
	s_and_not1_saveexec_b32 s53, s53
	s_cbranch_execnz .LBB25_3194
.LBB25_3018:                            ;   in Loop: Header=BB25_17 Depth=1
	s_or_b32 exec_lo, exec_lo, s53
	s_mov_b32 s0, 0
	s_and_saveexec_b32 s53, s54
	s_cbranch_execnz .LBB25_3235
	s_branch .LBB25_3240
.LBB25_3019:                            ;   in Loop: Header=BB25_17 Depth=1
	s_mov_b32 s44, -1
	s_mov_b32 s47, exec_lo
                                        ; implicit-def: $sgpr45
	v_cmpx_eq_u16_e32 0x80, v0
; %bb.3020:                             ;   in Loop: Header=BB25_17 Depth=1
	s_mov_b32 s45, 0x7f800001
	s_xor_b32 s44, exec_lo, -1
; %bb.3021:                             ;   in Loop: Header=BB25_17 Depth=1
	s_or_b32 exec_lo, exec_lo, s47
	s_delay_alu instid0(SALU_CYCLE_1)
	s_and_b32 s44, s44, exec_lo
	s_or_saveexec_b32 s46, s46
	v_mov_b32_e32 v12, s45
	s_xor_b32 exec_lo, exec_lo, s46
	s_cbranch_execz .LBB25_1938
.LBB25_3022:                            ;   in Loop: Header=BB25_17 Depth=1
	v_cmp_ne_u16_e64 s0, 0, v0
	v_mov_b32_e32 v12, 0
	s_and_not1_b32 s44, s44, exec_lo
	s_delay_alu instid0(VALU_DEP_2) | instskip(NEXT) | instid1(SALU_CYCLE_1)
	s_and_b32 s0, s0, exec_lo
	s_or_b32 s44, s44, s0
	s_or_b32 exec_lo, exec_lo, s46
	s_and_saveexec_b32 s45, s44
	s_cbranch_execnz .LBB25_1939
	s_branch .LBB25_1940
.LBB25_3023:                            ;   in Loop: Header=BB25_17 Depth=1
	s_mov_b32 s44, -1
	s_mov_b32 s47, exec_lo
                                        ; implicit-def: $sgpr45
	v_cmpx_eq_u16_e32 0x80, v0
; %bb.3024:                             ;   in Loop: Header=BB25_17 Depth=1
	s_mov_b32 s45, 0x7f800001
	s_xor_b32 s44, exec_lo, -1
; %bb.3025:                             ;   in Loop: Header=BB25_17 Depth=1
	s_or_b32 exec_lo, exec_lo, s47
	s_delay_alu instid0(SALU_CYCLE_1)
	s_and_b32 s44, s44, exec_lo
	s_or_saveexec_b32 s46, s46
	v_mov_b32_e32 v13, s45
	s_xor_b32 exec_lo, exec_lo, s46
	s_cbranch_execz .LBB25_2038
.LBB25_3026:                            ;   in Loop: Header=BB25_17 Depth=1
	v_cmp_ne_u16_e64 s0, 0, v0
	v_mov_b32_e32 v13, 0
	s_and_not1_b32 s44, s44, exec_lo
	s_delay_alu instid0(VALU_DEP_2) | instskip(NEXT) | instid1(SALU_CYCLE_1)
	s_and_b32 s0, s0, exec_lo
	s_or_b32 s44, s44, s0
	s_or_b32 exec_lo, exec_lo, s46
	s_and_saveexec_b32 s45, s44
	s_cbranch_execnz .LBB25_2039
	s_branch .LBB25_2040
.LBB25_3027:                            ;   in Loop: Header=BB25_17 Depth=1
	s_mov_b32 s46, -1
	s_mov_b32 s49, exec_lo
                                        ; implicit-def: $sgpr47
	v_cmpx_eq_u16_e32 0x80, v0
; %bb.3028:                             ;   in Loop: Header=BB25_17 Depth=1
	s_mov_b32 s47, 0x7f800001
	s_xor_b32 s46, exec_lo, -1
; %bb.3029:                             ;   in Loop: Header=BB25_17 Depth=1
	s_or_b32 exec_lo, exec_lo, s49
	s_delay_alu instid0(SALU_CYCLE_1)
	s_and_b32 s46, s46, exec_lo
	s_or_saveexec_b32 s48, s48
	v_mov_b32_e32 v12, s47
	s_xor_b32 exec_lo, exec_lo, s48
	s_cbranch_execz .LBB25_2154
.LBB25_3030:                            ;   in Loop: Header=BB25_17 Depth=1
	v_cmp_ne_u16_e64 s0, 0, v0
	v_mov_b32_e32 v12, 0
	s_and_not1_b32 s46, s46, exec_lo
	s_delay_alu instid0(VALU_DEP_2) | instskip(NEXT) | instid1(SALU_CYCLE_1)
	s_and_b32 s0, s0, exec_lo
	s_or_b32 s46, s46, s0
	s_or_b32 exec_lo, exec_lo, s48
	s_and_saveexec_b32 s47, s46
	s_cbranch_execnz .LBB25_2155
	s_branch .LBB25_2156
.LBB25_3031:                            ;   in Loop: Header=BB25_17 Depth=1
	s_mov_b32 s46, -1
	s_mov_b32 s49, exec_lo
                                        ; implicit-def: $sgpr47
	v_cmpx_eq_u16_e32 0x80, v0
; %bb.3032:                             ;   in Loop: Header=BB25_17 Depth=1
	s_mov_b32 s47, 0x7f800001
	s_xor_b32 s46, exec_lo, -1
; %bb.3033:                             ;   in Loop: Header=BB25_17 Depth=1
	s_or_b32 exec_lo, exec_lo, s49
	s_delay_alu instid0(SALU_CYCLE_1)
	s_and_b32 s46, s46, exec_lo
	s_or_saveexec_b32 s48, s48
	v_mov_b32_e32 v13, s47
	s_xor_b32 exec_lo, exec_lo, s48
	s_cbranch_execz .LBB25_2254
.LBB25_3034:                            ;   in Loop: Header=BB25_17 Depth=1
	v_cmp_ne_u16_e64 s0, 0, v0
	v_mov_b32_e32 v13, 0
	s_and_not1_b32 s46, s46, exec_lo
	s_delay_alu instid0(VALU_DEP_2) | instskip(NEXT) | instid1(SALU_CYCLE_1)
	s_and_b32 s0, s0, exec_lo
	s_or_b32 s46, s46, s0
	s_or_b32 exec_lo, exec_lo, s48
	s_and_saveexec_b32 s47, s46
	s_cbranch_execnz .LBB25_2255
	s_branch .LBB25_2256
.LBB25_3035:                            ;   in Loop: Header=BB25_17 Depth=1
	s_mov_b32 s52, exec_lo
                                        ; implicit-def: $sgpr55
                                        ; implicit-def: $sgpr53
                                        ; implicit-def: $vgpr12
	v_cmpx_lt_i16_e32 25, v13
	s_xor_b32 s52, exec_lo, s52
	s_cbranch_execz .LBB25_3067
; %bb.3036:                             ;   in Loop: Header=BB25_17 Depth=1
	s_mov_b32 s53, exec_lo
                                        ; implicit-def: $sgpr55
                                        ; implicit-def: $sgpr56
                                        ; implicit-def: $vgpr12
	v_cmpx_lt_i16_e32 28, v13
	s_xor_b32 s53, exec_lo, s53
	s_cbranch_execz .LBB25_3052
; %bb.3037:                             ;   in Loop: Header=BB25_17 Depth=1
	s_mov_b32 s57, 0
	s_mov_b32 s54, exec_lo
                                        ; implicit-def: $sgpr55
                                        ; implicit-def: $sgpr56
                                        ; implicit-def: $vgpr12
	v_cmpx_lt_i16_e32 43, v13
	s_xor_b32 s54, exec_lo, s54
	s_cbranch_execz .LBB25_3047
; %bb.3038:                             ;   in Loop: Header=BB25_17 Depth=1
	s_mov_b32 s58, exec_lo
                                        ; implicit-def: $sgpr56
                                        ; implicit-def: $sgpr55
                                        ; implicit-def: $vgpr12
	v_cmpx_lt_i16_e32 45, v13
	s_xor_b32 s58, exec_lo, s58
	s_cbranch_execz .LBB25_3042
; %bb.3039:                             ;   in Loop: Header=BB25_17 Depth=1
	s_mov_b32 s55, 0
	s_mov_b32 s56, exec_lo
                                        ; implicit-def: $vgpr12
	v_cmpx_eq_u16_e32 46, v13
	s_cbranch_execz .LBB25_3041
; %bb.3040:                             ;   in Loop: Header=BB25_17 Depth=1
	flat_load_b32 v0, v[0:1]
	s_mov_b32 s57, exec_lo
	s_waitcnt vmcnt(0) lgkmcnt(0)
	v_lshlrev_b32_e32 v12, 16, v0
.LBB25_3041:                            ;   in Loop: Header=BB25_17 Depth=1
	s_or_b32 exec_lo, exec_lo, s56
	s_mov_b32 s56, -1
	s_and_b32 s57, s57, exec_lo
                                        ; implicit-def: $vgpr13
                                        ; implicit-def: $vgpr0_vgpr1
.LBB25_3042:                            ;   in Loop: Header=BB25_17 Depth=1
	s_and_not1_saveexec_b32 s58, s58
	s_cbranch_execz .LBB25_3046
; %bb.3043:                             ;   in Loop: Header=BB25_17 Depth=1
	s_mov_b32 s60, s57
	s_mov_b32 s59, exec_lo
                                        ; implicit-def: $vgpr12
	v_cmpx_eq_u16_e32 44, v13
	s_cbranch_execz .LBB25_3045
; %bb.3044:                             ;   in Loop: Header=BB25_17 Depth=1
	flat_load_u8 v0, v[0:1]
	s_or_b32 s60, s57, exec_lo
	s_waitcnt vmcnt(0) lgkmcnt(0)
	v_lshlrev_b32_e32 v1, 23, v0
	v_cmp_ne_u32_e64 s0, 0xff, v0
	s_delay_alu instid0(VALU_DEP_1) | instskip(SKIP_1) | instid1(VALU_DEP_1)
	v_cndmask_b32_e64 v1, 0x7f800001, v1, s0
	v_cmp_ne_u32_e64 s0, 0, v0
	v_cndmask_b32_e64 v12, 0x400000, v1, s0
.LBB25_3045:                            ;   in Loop: Header=BB25_17 Depth=1
	s_or_b32 exec_lo, exec_lo, s59
	s_delay_alu instid0(SALU_CYCLE_1)
	s_and_not1_b32 s0, s57, exec_lo
	s_and_b32 s57, s60, exec_lo
	s_or_b32 s56, s56, exec_lo
	s_and_not1_b32 s55, s55, exec_lo
	s_or_b32 s57, s0, s57
.LBB25_3046:                            ;   in Loop: Header=BB25_17 Depth=1
	s_or_b32 exec_lo, exec_lo, s58
	s_delay_alu instid0(SALU_CYCLE_1)
	s_and_b32 s56, s56, exec_lo
	s_and_b32 s55, s55, exec_lo
	;; [unrolled: 1-line block ×3, first 2 shown]
                                        ; implicit-def: $vgpr13
                                        ; implicit-def: $vgpr0_vgpr1
.LBB25_3047:                            ;   in Loop: Header=BB25_17 Depth=1
	s_and_not1_saveexec_b32 s54, s54
	s_cbranch_execz .LBB25_3051
; %bb.3048:                             ;   in Loop: Header=BB25_17 Depth=1
	s_mov_b32 s59, s57
	s_mov_b32 s58, exec_lo
                                        ; implicit-def: $vgpr12
	v_cmpx_eq_u16_e32 29, v13
	s_cbranch_execz .LBB25_3050
; %bb.3049:                             ;   in Loop: Header=BB25_17 Depth=1
	flat_load_b64 v[0:1], v[0:1]
	s_or_b32 s59, s57, exec_lo
	s_waitcnt vmcnt(0) lgkmcnt(0)
	v_clz_i32_u32_e32 v12, v1
	s_delay_alu instid0(VALU_DEP_1) | instskip(NEXT) | instid1(VALU_DEP_1)
	v_min_u32_e32 v12, 32, v12
	v_lshlrev_b64 v[0:1], v12, v[0:1]
	s_delay_alu instid0(VALU_DEP_1) | instskip(NEXT) | instid1(VALU_DEP_1)
	v_min_u32_e32 v0, 1, v0
	v_or_b32_e32 v0, v1, v0
	v_sub_nc_u32_e32 v1, 32, v12
	s_delay_alu instid0(VALU_DEP_2) | instskip(NEXT) | instid1(VALU_DEP_1)
	v_cvt_f32_u32_e32 v0, v0
	v_ldexp_f32 v12, v0, v1
.LBB25_3050:                            ;   in Loop: Header=BB25_17 Depth=1
	s_or_b32 exec_lo, exec_lo, s58
	s_delay_alu instid0(SALU_CYCLE_1)
	s_and_not1_b32 s0, s57, exec_lo
	s_and_b32 s57, s59, exec_lo
	s_or_b32 s56, s56, exec_lo
	s_and_not1_b32 s55, s55, exec_lo
	s_or_b32 s57, s0, s57
.LBB25_3051:                            ;   in Loop: Header=BB25_17 Depth=1
	s_or_b32 exec_lo, exec_lo, s54
	s_delay_alu instid0(SALU_CYCLE_1)
	s_and_b32 s56, s56, exec_lo
	s_and_b32 s55, s55, exec_lo
	;; [unrolled: 1-line block ×3, first 2 shown]
                                        ; implicit-def: $vgpr13
                                        ; implicit-def: $vgpr0_vgpr1
.LBB25_3052:                            ;   in Loop: Header=BB25_17 Depth=1
	s_and_not1_saveexec_b32 s53, s53
	s_cbranch_execz .LBB25_3066
; %bb.3053:                             ;   in Loop: Header=BB25_17 Depth=1
	s_mov_b32 s57, exec_lo
                                        ; implicit-def: $vgpr12
	v_cmpx_lt_i16_e32 26, v13
	s_xor_b32 s57, exec_lo, s57
	s_cbranch_execz .LBB25_3059
; %bb.3054:                             ;   in Loop: Header=BB25_17 Depth=1
	v_cmp_lt_i16_e64 s0, 27, v13
                                        ; implicit-def: $vgpr12
	s_delay_alu instid0(VALU_DEP_1) | instskip(NEXT) | instid1(SALU_CYCLE_1)
	s_and_saveexec_b32 s58, s0
	s_xor_b32 s0, exec_lo, s58
	s_cbranch_execz .LBB25_3056
; %bb.3055:                             ;   in Loop: Header=BB25_17 Depth=1
	flat_load_b32 v0, v[0:1]
	s_waitcnt vmcnt(0) lgkmcnt(0)
	v_cvt_f32_u32_e32 v12, v0
                                        ; implicit-def: $vgpr0_vgpr1
.LBB25_3056:                            ;   in Loop: Header=BB25_17 Depth=1
	s_and_not1_saveexec_b32 s0, s0
	s_cbranch_execz .LBB25_3058
; %bb.3057:                             ;   in Loop: Header=BB25_17 Depth=1
	flat_load_u16 v0, v[0:1]
	s_waitcnt vmcnt(0) lgkmcnt(0)
	v_cvt_f32_u32_e32 v12, v0
.LBB25_3058:                            ;   in Loop: Header=BB25_17 Depth=1
	s_or_b32 exec_lo, exec_lo, s0
                                        ; implicit-def: $vgpr0_vgpr1
.LBB25_3059:                            ;   in Loop: Header=BB25_17 Depth=1
	s_and_not1_saveexec_b32 s57, s57
	s_cbranch_execz .LBB25_3065
; %bb.3060:                             ;   in Loop: Header=BB25_17 Depth=1
	flat_load_u8 v0, v[0:1]
	s_mov_b32 s58, 0
	s_mov_b32 s60, exec_lo
                                        ; implicit-def: $sgpr59
	s_waitcnt vmcnt(0) lgkmcnt(0)
	v_cmpx_lt_i16_e32 0x7f, v0
	s_xor_b32 s60, exec_lo, s60
	s_cbranch_execnz .LBB25_3610
; %bb.3061:                             ;   in Loop: Header=BB25_17 Depth=1
	s_or_saveexec_b32 s60, s60
	v_mov_b32_e32 v12, s59
	s_xor_b32 exec_lo, exec_lo, s60
	s_cbranch_execnz .LBB25_3613
.LBB25_3062:                            ;   in Loop: Header=BB25_17 Depth=1
	s_or_b32 exec_lo, exec_lo, s60
	s_and_saveexec_b32 s59, s58
	s_cbranch_execz .LBB25_3064
.LBB25_3063:                            ;   in Loop: Header=BB25_17 Depth=1
	v_and_b32_e32 v1, 0xffff, v0
	v_lshlrev_b32_e32 v0, 24, v0
	s_delay_alu instid0(VALU_DEP_2) | instskip(NEXT) | instid1(VALU_DEP_2)
	v_and_b32_e32 v12, 7, v1
	v_and_b32_e32 v0, 0x80000000, v0
	s_delay_alu instid0(VALU_DEP_2) | instskip(NEXT) | instid1(VALU_DEP_1)
	v_clz_i32_u32_e32 v13, v12
	v_min_u32_e32 v13, 32, v13
	s_delay_alu instid0(VALU_DEP_1) | instskip(SKIP_1) | instid1(VALU_DEP_2)
	v_subrev_nc_u32_e32 v14, 28, v13
	v_sub_nc_u32_e32 v13, 29, v13
	v_lshlrev_b32_e32 v14, v14, v1
	v_bfe_u32 v1, v1, 3, 4
	s_delay_alu instid0(VALU_DEP_2) | instskip(NEXT) | instid1(VALU_DEP_2)
	v_and_b32_e32 v14, 7, v14
	v_cmp_eq_u32_e64 s0, 0, v1
	s_delay_alu instid0(VALU_DEP_1) | instskip(NEXT) | instid1(VALU_DEP_3)
	v_cndmask_b32_e64 v1, v1, v13, s0
	v_cndmask_b32_e64 v12, v12, v14, s0
	s_delay_alu instid0(VALU_DEP_2) | instskip(NEXT) | instid1(VALU_DEP_2)
	v_lshl_add_u32 v1, v1, 23, 0x3b800000
	v_lshlrev_b32_e32 v12, 20, v12
	s_delay_alu instid0(VALU_DEP_1)
	v_or3_b32 v12, v0, v1, v12
.LBB25_3064:                            ;   in Loop: Header=BB25_17 Depth=1
	s_or_b32 exec_lo, exec_lo, s59
.LBB25_3065:                            ;   in Loop: Header=BB25_17 Depth=1
	s_delay_alu instid0(SALU_CYCLE_1) | instskip(NEXT) | instid1(SALU_CYCLE_1)
	s_or_b32 exec_lo, exec_lo, s57
	s_and_not1_b32 s56, s56, exec_lo
	s_and_not1_b32 s55, s55, exec_lo
	s_or_b32 s54, s54, exec_lo
.LBB25_3066:                            ;   in Loop: Header=BB25_17 Depth=1
	s_or_b32 exec_lo, exec_lo, s53
	s_delay_alu instid0(SALU_CYCLE_1)
	s_and_b32 s53, s56, exec_lo
	s_and_b32 s55, s55, exec_lo
	;; [unrolled: 1-line block ×3, first 2 shown]
                                        ; implicit-def: $vgpr13
                                        ; implicit-def: $vgpr0_vgpr1
.LBB25_3067:                            ;   in Loop: Header=BB25_17 Depth=1
	s_and_not1_saveexec_b32 s52, s52
	s_cbranch_execz .LBB25_3093
; %bb.3068:                             ;   in Loop: Header=BB25_17 Depth=1
	s_mov_b32 s57, s54
	s_mov_b32 s56, exec_lo
                                        ; implicit-def: $vgpr12
	v_cmpx_lt_i16_e32 22, v13
	s_xor_b32 s56, exec_lo, s56
	s_cbranch_execz .LBB25_3082
; %bb.3069:                             ;   in Loop: Header=BB25_17 Depth=1
	s_mov_b32 s57, exec_lo
                                        ; implicit-def: $vgpr12
	v_cmpx_lt_i16_e32 23, v13
	s_xor_b32 s57, exec_lo, s57
	s_cbranch_execz .LBB25_3079
; %bb.3070:                             ;   in Loop: Header=BB25_17 Depth=1
	;; [unrolled: 6-line block ×3, first 2 shown]
	flat_load_u8 v0, v[0:1]
	s_mov_b32 s59, 0
	s_mov_b32 s61, exec_lo
                                        ; implicit-def: $sgpr60
	s_waitcnt vmcnt(0) lgkmcnt(0)
	v_cmpx_lt_i16_e32 0x7f, v0
	s_xor_b32 s61, exec_lo, s61
	s_cbranch_execnz .LBB25_3618
; %bb.3072:                             ;   in Loop: Header=BB25_17 Depth=1
	s_or_saveexec_b32 s61, s61
	v_mov_b32_e32 v12, s60
	s_xor_b32 exec_lo, exec_lo, s61
	s_cbranch_execnz .LBB25_3621
.LBB25_3073:                            ;   in Loop: Header=BB25_17 Depth=1
	s_or_b32 exec_lo, exec_lo, s61
	s_and_saveexec_b32 s60, s59
	s_cbranch_execz .LBB25_3075
.LBB25_3074:                            ;   in Loop: Header=BB25_17 Depth=1
	v_and_b32_e32 v1, 0xffff, v0
	v_lshlrev_b32_e32 v0, 24, v0
	s_delay_alu instid0(VALU_DEP_2) | instskip(NEXT) | instid1(VALU_DEP_2)
	v_and_b32_e32 v12, 3, v1
	v_and_b32_e32 v0, 0x80000000, v0
	s_delay_alu instid0(VALU_DEP_2) | instskip(NEXT) | instid1(VALU_DEP_1)
	v_clz_i32_u32_e32 v13, v12
	v_min_u32_e32 v13, 32, v13
	s_delay_alu instid0(VALU_DEP_1) | instskip(SKIP_1) | instid1(VALU_DEP_2)
	v_subrev_nc_u32_e32 v14, 29, v13
	v_sub_nc_u32_e32 v13, 30, v13
	v_lshlrev_b32_e32 v14, v14, v1
	v_bfe_u32 v1, v1, 2, 5
	s_delay_alu instid0(VALU_DEP_2) | instskip(NEXT) | instid1(VALU_DEP_2)
	v_and_b32_e32 v14, 3, v14
	v_cmp_eq_u32_e64 s0, 0, v1
	s_delay_alu instid0(VALU_DEP_1) | instskip(NEXT) | instid1(VALU_DEP_3)
	v_cndmask_b32_e64 v1, v1, v13, s0
	v_cndmask_b32_e64 v12, v12, v14, s0
	s_delay_alu instid0(VALU_DEP_2) | instskip(NEXT) | instid1(VALU_DEP_2)
	v_lshl_add_u32 v1, v1, 23, 0x37800000
	v_lshlrev_b32_e32 v12, 21, v12
	s_delay_alu instid0(VALU_DEP_1)
	v_or3_b32 v12, v0, v1, v12
.LBB25_3075:                            ;   in Loop: Header=BB25_17 Depth=1
	s_or_b32 exec_lo, exec_lo, s60
                                        ; implicit-def: $vgpr0_vgpr1
.LBB25_3076:                            ;   in Loop: Header=BB25_17 Depth=1
	s_and_not1_saveexec_b32 s58, s58
	s_cbranch_execz .LBB25_3078
; %bb.3077:                             ;   in Loop: Header=BB25_17 Depth=1
	flat_load_u8 v0, v[0:1]
	s_waitcnt vmcnt(0) lgkmcnt(0)
	v_lshlrev_b32_e32 v0, 24, v0
	s_delay_alu instid0(VALU_DEP_1) | instskip(NEXT) | instid1(VALU_DEP_1)
	v_and_b32_e32 v1, 0x7f000000, v0
	v_clz_i32_u32_e32 v12, v1
	v_add_nc_u32_e32 v14, 0x1000000, v1
	v_cmp_ne_u32_e64 s0, 0, v1
	s_delay_alu instid0(VALU_DEP_3) | instskip(NEXT) | instid1(VALU_DEP_1)
	v_min_u32_e32 v12, 32, v12
	v_sub_nc_u32_e64 v12, v12, 4 clamp
	s_delay_alu instid0(VALU_DEP_1) | instskip(SKIP_1) | instid1(VALU_DEP_2)
	v_lshlrev_b32_e32 v13, v12, v1
	v_lshlrev_b32_e32 v12, 23, v12
	v_lshrrev_b32_e32 v13, 4, v13
	s_delay_alu instid0(VALU_DEP_1) | instskip(SKIP_1) | instid1(VALU_DEP_2)
	v_sub_nc_u32_e32 v12, v13, v12
	v_ashrrev_i32_e32 v13, 8, v14
	v_add_nc_u32_e32 v12, 0x3c000000, v12
	s_delay_alu instid0(VALU_DEP_1) | instskip(NEXT) | instid1(VALU_DEP_1)
	v_and_or_b32 v12, 0x7f800000, v13, v12
	v_cndmask_b32_e64 v1, 0, v12, s0
	s_delay_alu instid0(VALU_DEP_1)
	v_and_or_b32 v12, 0x80000000, v0, v1
.LBB25_3078:                            ;   in Loop: Header=BB25_17 Depth=1
	s_or_b32 exec_lo, exec_lo, s58
                                        ; implicit-def: $vgpr0_vgpr1
.LBB25_3079:                            ;   in Loop: Header=BB25_17 Depth=1
	s_and_not1_saveexec_b32 s57, s57
	s_cbranch_execz .LBB25_3081
; %bb.3080:                             ;   in Loop: Header=BB25_17 Depth=1
	flat_load_u8 v0, v[0:1]
	s_waitcnt vmcnt(0) lgkmcnt(0)
	v_lshlrev_b32_e32 v1, 25, v0
	v_lshlrev_b16 v0, 8, v0
	s_delay_alu instid0(VALU_DEP_2) | instskip(NEXT) | instid1(VALU_DEP_2)
	v_lshrrev_b32_e32 v12, 4, v1
	v_and_or_b32 v13, 0x7f00, v0, 0.5
	v_cmp_gt_u32_e64 s0, 0x8000000, v1
	v_bfe_i32 v0, v0, 0, 16
	s_delay_alu instid0(VALU_DEP_4) | instskip(NEXT) | instid1(VALU_DEP_1)
	v_or_b32_e32 v12, 0x70000000, v12
	v_dual_add_f32 v13, -0.5, v13 :: v_dual_mul_f32 v12, 0x7800000, v12
	s_delay_alu instid0(VALU_DEP_1) | instskip(NEXT) | instid1(VALU_DEP_1)
	v_cndmask_b32_e64 v1, v12, v13, s0
	v_and_or_b32 v12, 0x80000000, v0, v1
.LBB25_3081:                            ;   in Loop: Header=BB25_17 Depth=1
	s_or_b32 exec_lo, exec_lo, s57
	s_delay_alu instid0(SALU_CYCLE_1)
	s_or_b32 s57, s54, exec_lo
                                        ; implicit-def: $vgpr13
                                        ; implicit-def: $vgpr0_vgpr1
.LBB25_3082:                            ;   in Loop: Header=BB25_17 Depth=1
	s_or_saveexec_b32 s56, s56
                                        ; implicit-def: $sgpr58
                                        ; implicit-def: $sgpr0
	s_delay_alu instid0(SALU_CYCLE_1)
	s_xor_b32 exec_lo, exec_lo, s56
	s_cbranch_execz .LBB25_3092
; %bb.3083:                             ;   in Loop: Header=BB25_17 Depth=1
	s_mov_b32 s59, s57
	s_mov_b32 s61, exec_lo
                                        ; implicit-def: $sgpr60
                                        ; implicit-def: $sgpr58
                                        ; implicit-def: $vgpr12
	v_cmpx_lt_i16_e32 14, v13
	s_xor_b32 s61, exec_lo, s61
	s_cbranch_execz .LBB25_3087
; %bb.3084:                             ;   in Loop: Header=BB25_17 Depth=1
	s_mov_b32 s59, s57
	s_mov_b32 s58, exec_lo
                                        ; implicit-def: $vgpr12
	v_cmpx_eq_u16_e32 15, v13
	s_cbranch_execz .LBB25_3086
; %bb.3085:                             ;   in Loop: Header=BB25_17 Depth=1
	flat_load_u16 v0, v[0:1]
	s_or_b32 s59, s57, exec_lo
	s_waitcnt vmcnt(0) lgkmcnt(0)
	v_lshlrev_b32_e32 v12, 16, v0
.LBB25_3086:                            ;   in Loop: Header=BB25_17 Depth=1
	s_or_b32 exec_lo, exec_lo, s58
	s_delay_alu instid0(SALU_CYCLE_1)
	s_and_not1_b32 s0, s57, exec_lo
	s_and_b32 s59, s59, exec_lo
	s_mov_b32 s58, 0
	s_mov_b32 s60, -1
	s_or_b32 s59, s0, s59
                                        ; implicit-def: $vgpr13
                                        ; implicit-def: $vgpr0_vgpr1
.LBB25_3087:                            ;   in Loop: Header=BB25_17 Depth=1
	s_and_not1_saveexec_b32 s61, s61
	s_cbranch_execz .LBB25_3091
; %bb.3088:                             ;   in Loop: Header=BB25_17 Depth=1
	s_mov_b32 s62, s59
	s_mov_b32 s63, exec_lo
                                        ; implicit-def: $vgpr12
	v_cmpx_eq_u16_e32 11, v13
	s_cbranch_execz .LBB25_3090
; %bb.3089:                             ;   in Loop: Header=BB25_17 Depth=1
	flat_load_u8 v0, v[0:1]
	s_or_b32 s62, s59, exec_lo
	s_waitcnt vmcnt(0) lgkmcnt(0)
	v_cmp_ne_u16_e64 s0, 0, v0
	s_delay_alu instid0(VALU_DEP_1)
	v_cndmask_b32_e64 v12, 0, 1.0, s0
.LBB25_3090:                            ;   in Loop: Header=BB25_17 Depth=1
	s_or_b32 exec_lo, exec_lo, s63
	s_delay_alu instid0(SALU_CYCLE_1)
	s_and_not1_b32 s0, s59, exec_lo
	s_and_b32 s59, s62, exec_lo
	s_or_b32 s60, s60, exec_lo
	s_and_not1_b32 s58, s58, exec_lo
	s_or_b32 s59, s0, s59
.LBB25_3091:                            ;   in Loop: Header=BB25_17 Depth=1
	s_or_b32 exec_lo, exec_lo, s61
	s_delay_alu instid0(SALU_CYCLE_1)
	s_and_not1_b32 s57, s57, exec_lo
	s_and_b32 s59, s59, exec_lo
	s_and_b32 s0, s60, exec_lo
	;; [unrolled: 1-line block ×3, first 2 shown]
	s_or_b32 s57, s57, s59
.LBB25_3092:                            ;   in Loop: Header=BB25_17 Depth=1
	s_or_b32 exec_lo, exec_lo, s56
	s_delay_alu instid0(SALU_CYCLE_1)
	s_and_not1_b32 s53, s53, exec_lo
	s_and_b32 s0, s0, exec_lo
	s_and_not1_b32 s54, s54, exec_lo
	s_or_b32 s53, s53, s0
	s_and_not1_b32 s0, s55, exec_lo
	s_and_b32 s55, s58, exec_lo
	s_and_b32 s56, s57, exec_lo
	s_or_b32 s55, s0, s55
	s_or_b32 s54, s54, s56
.LBB25_3093:                            ;   in Loop: Header=BB25_17 Depth=1
	s_or_b32 exec_lo, exec_lo, s52
	s_delay_alu instid0(SALU_CYCLE_1)
	s_and_b32 s53, s53, exec_lo
	s_and_b32 s52, s55, exec_lo
	;; [unrolled: 1-line block ×3, first 2 shown]
                                        ; implicit-def: $vgpr13
                                        ; implicit-def: $vgpr0_vgpr1
	s_and_not1_saveexec_b32 s51, s51
	s_cbranch_execz .LBB25_3010
.LBB25_3094:                            ;   in Loop: Header=BB25_17 Depth=1
	s_mov_b32 s55, exec_lo
                                        ; implicit-def: $vgpr12
	v_cmpx_lt_i16_e32 4, v13
	s_xor_b32 s55, exec_lo, s55
	s_cbranch_execz .LBB25_3116
; %bb.3095:                             ;   in Loop: Header=BB25_17 Depth=1
	s_mov_b32 s56, exec_lo
                                        ; implicit-def: $vgpr12
	v_cmpx_lt_i16_e32 7, v13
	s_xor_b32 s56, exec_lo, s56
	s_cbranch_execz .LBB25_3105
; %bb.3096:                             ;   in Loop: Header=BB25_17 Depth=1
	s_mov_b32 s57, exec_lo
                                        ; implicit-def: $vgpr12
	v_cmpx_lt_i16_e32 8, v13
	s_xor_b32 s57, exec_lo, s57
	s_cbranch_execz .LBB25_3102
; %bb.3097:                             ;   in Loop: Header=BB25_17 Depth=1
	v_cmp_lt_i16_e64 s0, 9, v13
                                        ; implicit-def: $vgpr12
	s_delay_alu instid0(VALU_DEP_1) | instskip(NEXT) | instid1(SALU_CYCLE_1)
	s_and_saveexec_b32 s58, s0
	s_xor_b32 s0, exec_lo, s58
	s_cbranch_execz .LBB25_3099
; %bb.3098:                             ;   in Loop: Header=BB25_17 Depth=1
	flat_load_b64 v[0:1], v[0:1]
	s_waitcnt vmcnt(0) lgkmcnt(0)
	v_cvt_f32_f64_e32 v12, v[0:1]
                                        ; implicit-def: $vgpr0_vgpr1
.LBB25_3099:                            ;   in Loop: Header=BB25_17 Depth=1
	s_and_not1_saveexec_b32 s0, s0
	s_cbranch_execz .LBB25_3101
; %bb.3100:                             ;   in Loop: Header=BB25_17 Depth=1
	flat_load_b32 v12, v[0:1]
.LBB25_3101:                            ;   in Loop: Header=BB25_17 Depth=1
	s_or_b32 exec_lo, exec_lo, s0
                                        ; implicit-def: $vgpr0_vgpr1
.LBB25_3102:                            ;   in Loop: Header=BB25_17 Depth=1
	s_and_not1_saveexec_b32 s0, s57
	s_cbranch_execz .LBB25_3104
; %bb.3103:                             ;   in Loop: Header=BB25_17 Depth=1
	flat_load_b32 v0, v[0:1]
	s_waitcnt vmcnt(0) lgkmcnt(0)
	v_cvt_f32_f16_e32 v12, v0
.LBB25_3104:                            ;   in Loop: Header=BB25_17 Depth=1
	s_or_b32 exec_lo, exec_lo, s0
                                        ; implicit-def: $vgpr0_vgpr1
                                        ; implicit-def: $vgpr13
.LBB25_3105:                            ;   in Loop: Header=BB25_17 Depth=1
	s_and_not1_saveexec_b32 s56, s56
	s_cbranch_execz .LBB25_3115
; %bb.3106:                             ;   in Loop: Header=BB25_17 Depth=1
	s_mov_b32 s57, exec_lo
                                        ; implicit-def: $vgpr12
	v_cmpx_lt_i16_e32 5, v13
	s_xor_b32 s57, exec_lo, s57
	s_cbranch_execz .LBB25_3112
; %bb.3107:                             ;   in Loop: Header=BB25_17 Depth=1
	v_cmp_lt_i16_e64 s0, 6, v13
                                        ; implicit-def: $vgpr12
	s_delay_alu instid0(VALU_DEP_1) | instskip(NEXT) | instid1(SALU_CYCLE_1)
	s_and_saveexec_b32 s58, s0
	s_xor_b32 s0, exec_lo, s58
	s_cbranch_execz .LBB25_3109
; %bb.3108:                             ;   in Loop: Header=BB25_17 Depth=1
	flat_load_b64 v[0:1], v[0:1]
	s_waitcnt vmcnt(0) lgkmcnt(0)
	v_cvt_f32_f64_e32 v12, v[0:1]
                                        ; implicit-def: $vgpr0_vgpr1
.LBB25_3109:                            ;   in Loop: Header=BB25_17 Depth=1
	s_and_not1_saveexec_b32 s0, s0
	s_cbranch_execz .LBB25_3111
; %bb.3110:                             ;   in Loop: Header=BB25_17 Depth=1
	s_waitcnt vmcnt(0) lgkmcnt(0)
	flat_load_b32 v12, v[0:1]
.LBB25_3111:                            ;   in Loop: Header=BB25_17 Depth=1
	s_or_b32 exec_lo, exec_lo, s0
                                        ; implicit-def: $vgpr0_vgpr1
.LBB25_3112:                            ;   in Loop: Header=BB25_17 Depth=1
	s_and_not1_saveexec_b32 s0, s57
	s_cbranch_execz .LBB25_3114
; %bb.3113:                             ;   in Loop: Header=BB25_17 Depth=1
	flat_load_u16 v0, v[0:1]
	s_waitcnt vmcnt(0) lgkmcnt(0)
	v_cvt_f32_f16_e32 v12, v0
.LBB25_3114:                            ;   in Loop: Header=BB25_17 Depth=1
	s_or_b32 exec_lo, exec_lo, s0
.LBB25_3115:                            ;   in Loop: Header=BB25_17 Depth=1
	s_delay_alu instid0(SALU_CYCLE_1)
	s_or_b32 exec_lo, exec_lo, s56
                                        ; implicit-def: $vgpr13
                                        ; implicit-def: $vgpr0_vgpr1
.LBB25_3116:                            ;   in Loop: Header=BB25_17 Depth=1
	s_and_not1_saveexec_b32 s55, s55
	s_cbranch_execz .LBB25_3134
; %bb.3117:                             ;   in Loop: Header=BB25_17 Depth=1
	s_mov_b32 s56, exec_lo
                                        ; implicit-def: $vgpr12
	v_cmpx_lt_i16_e32 1, v13
	s_xor_b32 s56, exec_lo, s56
	s_cbranch_execz .LBB25_3127
; %bb.3118:                             ;   in Loop: Header=BB25_17 Depth=1
	s_mov_b32 s57, exec_lo
                                        ; implicit-def: $vgpr12
	v_cmpx_lt_i16_e32 2, v13
	s_xor_b32 s57, exec_lo, s57
	s_cbranch_execz .LBB25_3124
; %bb.3119:                             ;   in Loop: Header=BB25_17 Depth=1
	v_cmp_lt_i16_e64 s0, 3, v13
                                        ; implicit-def: $vgpr12
	s_delay_alu instid0(VALU_DEP_1) | instskip(NEXT) | instid1(SALU_CYCLE_1)
	s_and_saveexec_b32 s58, s0
	s_xor_b32 s0, exec_lo, s58
	s_cbranch_execz .LBB25_3121
; %bb.3120:                             ;   in Loop: Header=BB25_17 Depth=1
	flat_load_b64 v[0:1], v[0:1]
	s_waitcnt vmcnt(0) lgkmcnt(0)
	v_xor_b32_e32 v12, v0, v1
	v_cls_i32_e32 v13, v1
	s_delay_alu instid0(VALU_DEP_2) | instskip(NEXT) | instid1(VALU_DEP_2)
	v_ashrrev_i32_e32 v12, 31, v12
	v_add_nc_u32_e32 v13, -1, v13
	s_delay_alu instid0(VALU_DEP_2) | instskip(NEXT) | instid1(VALU_DEP_1)
	v_add_nc_u32_e32 v12, 32, v12
	v_min_u32_e32 v12, v13, v12
	s_delay_alu instid0(VALU_DEP_1) | instskip(NEXT) | instid1(VALU_DEP_1)
	v_lshlrev_b64 v[0:1], v12, v[0:1]
	v_min_u32_e32 v0, 1, v0
	s_delay_alu instid0(VALU_DEP_1) | instskip(SKIP_1) | instid1(VALU_DEP_2)
	v_or_b32_e32 v0, v1, v0
	v_sub_nc_u32_e32 v1, 32, v12
	v_cvt_f32_i32_e32 v0, v0
	s_delay_alu instid0(VALU_DEP_1)
	v_ldexp_f32 v12, v0, v1
                                        ; implicit-def: $vgpr0_vgpr1
.LBB25_3121:                            ;   in Loop: Header=BB25_17 Depth=1
	s_and_not1_saveexec_b32 s0, s0
	s_cbranch_execz .LBB25_3123
; %bb.3122:                             ;   in Loop: Header=BB25_17 Depth=1
	flat_load_b32 v0, v[0:1]
	s_waitcnt vmcnt(0) lgkmcnt(0)
	v_cvt_f32_i32_e32 v12, v0
.LBB25_3123:                            ;   in Loop: Header=BB25_17 Depth=1
	s_or_b32 exec_lo, exec_lo, s0
                                        ; implicit-def: $vgpr0_vgpr1
.LBB25_3124:                            ;   in Loop: Header=BB25_17 Depth=1
	s_and_not1_saveexec_b32 s0, s57
	s_cbranch_execz .LBB25_3126
; %bb.3125:                             ;   in Loop: Header=BB25_17 Depth=1
	flat_load_i16 v0, v[0:1]
	s_waitcnt vmcnt(0) lgkmcnt(0)
	v_cvt_f32_i32_e32 v12, v0
.LBB25_3126:                            ;   in Loop: Header=BB25_17 Depth=1
	s_or_b32 exec_lo, exec_lo, s0
                                        ; implicit-def: $vgpr0_vgpr1
                                        ; implicit-def: $vgpr13
.LBB25_3127:                            ;   in Loop: Header=BB25_17 Depth=1
	s_and_not1_saveexec_b32 s56, s56
	s_cbranch_execz .LBB25_3133
; %bb.3128:                             ;   in Loop: Header=BB25_17 Depth=1
	v_cmp_lt_i16_e64 s0, 0, v13
                                        ; implicit-def: $vgpr12
	s_delay_alu instid0(VALU_DEP_1) | instskip(NEXT) | instid1(SALU_CYCLE_1)
	s_and_saveexec_b32 s57, s0
	s_xor_b32 s0, exec_lo, s57
	s_cbranch_execz .LBB25_3130
; %bb.3129:                             ;   in Loop: Header=BB25_17 Depth=1
	flat_load_i8 v0, v[0:1]
	s_waitcnt vmcnt(0) lgkmcnt(0)
	v_cvt_f32_i32_e32 v12, v0
                                        ; implicit-def: $vgpr0_vgpr1
.LBB25_3130:                            ;   in Loop: Header=BB25_17 Depth=1
	s_and_not1_saveexec_b32 s0, s0
	s_cbranch_execz .LBB25_3132
; %bb.3131:                             ;   in Loop: Header=BB25_17 Depth=1
	flat_load_u8 v0, v[0:1]
	s_waitcnt vmcnt(0) lgkmcnt(0)
	v_cvt_f32_ubyte0_e32 v12, v0
.LBB25_3132:                            ;   in Loop: Header=BB25_17 Depth=1
	s_or_b32 exec_lo, exec_lo, s0
.LBB25_3133:                            ;   in Loop: Header=BB25_17 Depth=1
	s_delay_alu instid0(SALU_CYCLE_1)
	s_or_b32 exec_lo, exec_lo, s56
.LBB25_3134:                            ;   in Loop: Header=BB25_17 Depth=1
	s_delay_alu instid0(SALU_CYCLE_1) | instskip(NEXT) | instid1(SALU_CYCLE_1)
	s_or_b32 exec_lo, exec_lo, s55
	s_and_not1_b32 s53, s53, exec_lo
	s_and_not1_b32 s52, s52, exec_lo
	s_or_b32 s54, s54, exec_lo
	s_or_b32 exec_lo, exec_lo, s51
	s_mov_b32 s0, 0
	s_and_saveexec_b32 s51, s54
	s_cbranch_execnz .LBB25_3011
	s_branch .LBB25_3012
.LBB25_3135:                            ;   in Loop: Header=BB25_17 Depth=1
	s_mov_b32 s49, exec_lo
                                        ; implicit-def: $sgpr55
                                        ; implicit-def: $sgpr50
                                        ; implicit-def: $vgpr13
	v_cmpx_lt_i16_e32 25, v2
	s_xor_b32 s49, exec_lo, s49
	s_cbranch_execz .LBB25_3167
; %bb.3136:                             ;   in Loop: Header=BB25_17 Depth=1
	s_mov_b32 s50, exec_lo
                                        ; implicit-def: $sgpr55
                                        ; implicit-def: $sgpr56
                                        ; implicit-def: $vgpr13
	v_cmpx_lt_i16_e32 28, v2
	s_xor_b32 s50, exec_lo, s50
	s_cbranch_execz .LBB25_3152
; %bb.3137:                             ;   in Loop: Header=BB25_17 Depth=1
	s_mov_b32 s57, 0
	s_mov_b32 s54, exec_lo
                                        ; implicit-def: $sgpr55
                                        ; implicit-def: $sgpr56
                                        ; implicit-def: $vgpr13
	v_cmpx_lt_i16_e32 43, v2
	s_xor_b32 s54, exec_lo, s54
	s_cbranch_execz .LBB25_3147
; %bb.3138:                             ;   in Loop: Header=BB25_17 Depth=1
	s_mov_b32 s56, exec_lo
                                        ; implicit-def: $sgpr55
                                        ; implicit-def: $sgpr58
                                        ; implicit-def: $vgpr13
	v_cmpx_lt_i16_e32 45, v2
	s_xor_b32 s56, exec_lo, s56
	s_cbranch_execz .LBB25_3142
; %bb.3139:                             ;   in Loop: Header=BB25_17 Depth=1
	s_mov_b32 s55, 0
	s_mov_b32 s58, exec_lo
                                        ; implicit-def: $vgpr13
	v_cmpx_eq_u16_e32 46, v2
	s_cbranch_execz .LBB25_3141
; %bb.3140:                             ;   in Loop: Header=BB25_17 Depth=1
	flat_load_b32 v0, v[0:1]
	s_mov_b32 s57, exec_lo
	s_waitcnt vmcnt(0) lgkmcnt(0)
	v_lshlrev_b32_e32 v13, 16, v0
.LBB25_3141:                            ;   in Loop: Header=BB25_17 Depth=1
	s_or_b32 exec_lo, exec_lo, s58
	s_mov_b32 s58, -1
	s_and_b32 s57, s57, exec_lo
                                        ; implicit-def: $vgpr0_vgpr1
.LBB25_3142:                            ;   in Loop: Header=BB25_17 Depth=1
	s_and_not1_saveexec_b32 s56, s56
	s_cbranch_execz .LBB25_3146
; %bb.3143:                             ;   in Loop: Header=BB25_17 Depth=1
	s_mov_b32 s60, s57
	s_mov_b32 s59, exec_lo
                                        ; implicit-def: $vgpr13
	v_cmpx_eq_u16_e32 44, v2
	s_cbranch_execz .LBB25_3145
; %bb.3144:                             ;   in Loop: Header=BB25_17 Depth=1
	flat_load_u8 v0, v[0:1]
	s_or_b32 s60, s57, exec_lo
	s_waitcnt vmcnt(0) lgkmcnt(0)
	v_lshlrev_b32_e32 v1, 23, v0
	v_cmp_ne_u32_e64 s0, 0xff, v0
	s_delay_alu instid0(VALU_DEP_1) | instskip(SKIP_1) | instid1(VALU_DEP_1)
	v_cndmask_b32_e64 v1, 0x7f800001, v1, s0
	v_cmp_ne_u32_e64 s0, 0, v0
	v_cndmask_b32_e64 v13, 0x400000, v1, s0
.LBB25_3145:                            ;   in Loop: Header=BB25_17 Depth=1
	s_or_b32 exec_lo, exec_lo, s59
	s_delay_alu instid0(SALU_CYCLE_1)
	s_and_not1_b32 s0, s57, exec_lo
	s_and_b32 s57, s60, exec_lo
	s_and_not1_b32 s55, s55, exec_lo
	s_or_b32 s58, s58, exec_lo
	s_or_b32 s57, s0, s57
.LBB25_3146:                            ;   in Loop: Header=BB25_17 Depth=1
	s_or_b32 exec_lo, exec_lo, s56
	s_delay_alu instid0(SALU_CYCLE_1)
	s_and_b32 s56, s55, exec_lo
	s_and_b32 s55, s58, exec_lo
	;; [unrolled: 1-line block ×3, first 2 shown]
                                        ; implicit-def: $vgpr0_vgpr1
.LBB25_3147:                            ;   in Loop: Header=BB25_17 Depth=1
	s_and_not1_saveexec_b32 s54, s54
	s_cbranch_execz .LBB25_3151
; %bb.3148:                             ;   in Loop: Header=BB25_17 Depth=1
	s_mov_b32 s59, s57
	s_mov_b32 s58, exec_lo
                                        ; implicit-def: $vgpr13
	v_cmpx_eq_u16_e32 29, v2
	s_cbranch_execz .LBB25_3150
; %bb.3149:                             ;   in Loop: Header=BB25_17 Depth=1
	flat_load_b64 v[0:1], v[0:1]
	s_or_b32 s59, s57, exec_lo
	s_waitcnt vmcnt(0) lgkmcnt(0)
	v_clz_i32_u32_e32 v8, v1
	s_delay_alu instid0(VALU_DEP_1) | instskip(NEXT) | instid1(VALU_DEP_1)
	v_min_u32_e32 v8, 32, v8
	v_lshlrev_b64 v[0:1], v8, v[0:1]
	s_delay_alu instid0(VALU_DEP_1) | instskip(NEXT) | instid1(VALU_DEP_1)
	v_min_u32_e32 v0, 1, v0
	v_or_b32_e32 v0, v1, v0
	v_sub_nc_u32_e32 v1, 32, v8
	s_delay_alu instid0(VALU_DEP_2) | instskip(NEXT) | instid1(VALU_DEP_1)
	v_cvt_f32_u32_e32 v0, v0
	v_ldexp_f32 v13, v0, v1
.LBB25_3150:                            ;   in Loop: Header=BB25_17 Depth=1
	s_or_b32 exec_lo, exec_lo, s58
	s_delay_alu instid0(SALU_CYCLE_1)
	s_and_not1_b32 s0, s57, exec_lo
	s_and_b32 s57, s59, exec_lo
	s_and_not1_b32 s56, s56, exec_lo
	s_or_b32 s55, s55, exec_lo
	s_or_b32 s57, s0, s57
.LBB25_3151:                            ;   in Loop: Header=BB25_17 Depth=1
	s_or_b32 exec_lo, exec_lo, s54
	s_delay_alu instid0(SALU_CYCLE_1)
	s_and_b32 s56, s56, exec_lo
	s_and_b32 s55, s55, exec_lo
	;; [unrolled: 1-line block ×3, first 2 shown]
                                        ; implicit-def: $vgpr0_vgpr1
.LBB25_3152:                            ;   in Loop: Header=BB25_17 Depth=1
	s_and_not1_saveexec_b32 s50, s50
	s_cbranch_execz .LBB25_3166
; %bb.3153:                             ;   in Loop: Header=BB25_17 Depth=1
	s_mov_b32 s57, exec_lo
                                        ; implicit-def: $vgpr13
	v_cmpx_lt_i16_e32 26, v2
	s_xor_b32 s57, exec_lo, s57
	s_cbranch_execz .LBB25_3159
; %bb.3154:                             ;   in Loop: Header=BB25_17 Depth=1
	v_cmp_lt_i16_e64 s0, 27, v2
                                        ; implicit-def: $vgpr13
	s_delay_alu instid0(VALU_DEP_1) | instskip(NEXT) | instid1(SALU_CYCLE_1)
	s_and_saveexec_b32 s58, s0
	s_xor_b32 s0, exec_lo, s58
	s_cbranch_execz .LBB25_3156
; %bb.3155:                             ;   in Loop: Header=BB25_17 Depth=1
	flat_load_b32 v0, v[0:1]
	s_waitcnt vmcnt(0) lgkmcnt(0)
	v_cvt_f32_u32_e32 v13, v0
                                        ; implicit-def: $vgpr0_vgpr1
.LBB25_3156:                            ;   in Loop: Header=BB25_17 Depth=1
	s_and_not1_saveexec_b32 s0, s0
	s_cbranch_execz .LBB25_3158
; %bb.3157:                             ;   in Loop: Header=BB25_17 Depth=1
	flat_load_u16 v0, v[0:1]
	s_waitcnt vmcnt(0) lgkmcnt(0)
	v_cvt_f32_u32_e32 v13, v0
.LBB25_3158:                            ;   in Loop: Header=BB25_17 Depth=1
	s_or_b32 exec_lo, exec_lo, s0
                                        ; implicit-def: $vgpr0_vgpr1
.LBB25_3159:                            ;   in Loop: Header=BB25_17 Depth=1
	s_and_not1_saveexec_b32 s57, s57
	s_cbranch_execz .LBB25_3165
; %bb.3160:                             ;   in Loop: Header=BB25_17 Depth=1
	flat_load_u8 v0, v[0:1]
	s_mov_b32 s58, 0
	s_mov_b32 s60, exec_lo
                                        ; implicit-def: $sgpr59
	s_waitcnt vmcnt(0) lgkmcnt(0)
	v_cmpx_lt_i16_e32 0x7f, v0
	s_xor_b32 s60, exec_lo, s60
	s_cbranch_execnz .LBB25_3614
; %bb.3161:                             ;   in Loop: Header=BB25_17 Depth=1
	s_or_saveexec_b32 s60, s60
	v_mov_b32_e32 v13, s59
	s_xor_b32 exec_lo, exec_lo, s60
	s_cbranch_execnz .LBB25_3617
.LBB25_3162:                            ;   in Loop: Header=BB25_17 Depth=1
	s_or_b32 exec_lo, exec_lo, s60
	s_and_saveexec_b32 s59, s58
	s_cbranch_execz .LBB25_3164
.LBB25_3163:                            ;   in Loop: Header=BB25_17 Depth=1
	v_and_b32_e32 v1, 0xffff, v0
	v_lshlrev_b32_e32 v0, 24, v0
	s_delay_alu instid0(VALU_DEP_2) | instskip(NEXT) | instid1(VALU_DEP_2)
	v_and_b32_e32 v8, 7, v1
	v_and_b32_e32 v0, 0x80000000, v0
	s_delay_alu instid0(VALU_DEP_2) | instskip(NEXT) | instid1(VALU_DEP_1)
	v_clz_i32_u32_e32 v13, v8
	v_min_u32_e32 v13, 32, v13
	s_delay_alu instid0(VALU_DEP_1) | instskip(SKIP_1) | instid1(VALU_DEP_2)
	v_subrev_nc_u32_e32 v14, 28, v13
	v_sub_nc_u32_e32 v13, 29, v13
	v_lshlrev_b32_e32 v14, v14, v1
	v_bfe_u32 v1, v1, 3, 4
	s_delay_alu instid0(VALU_DEP_2) | instskip(NEXT) | instid1(VALU_DEP_2)
	v_and_b32_e32 v14, 7, v14
	v_cmp_eq_u32_e64 s0, 0, v1
	s_delay_alu instid0(VALU_DEP_1) | instskip(NEXT) | instid1(VALU_DEP_3)
	v_cndmask_b32_e64 v1, v1, v13, s0
	v_cndmask_b32_e64 v8, v8, v14, s0
	s_delay_alu instid0(VALU_DEP_2) | instskip(NEXT) | instid1(VALU_DEP_2)
	v_lshl_add_u32 v1, v1, 23, 0x3b800000
	v_lshlrev_b32_e32 v8, 20, v8
	s_delay_alu instid0(VALU_DEP_1)
	v_or3_b32 v13, v0, v1, v8
.LBB25_3164:                            ;   in Loop: Header=BB25_17 Depth=1
	s_or_b32 exec_lo, exec_lo, s59
.LBB25_3165:                            ;   in Loop: Header=BB25_17 Depth=1
	s_delay_alu instid0(SALU_CYCLE_1) | instskip(NEXT) | instid1(SALU_CYCLE_1)
	s_or_b32 exec_lo, exec_lo, s57
	s_and_not1_b32 s56, s56, exec_lo
	s_and_not1_b32 s55, s55, exec_lo
	s_or_b32 s54, s54, exec_lo
.LBB25_3166:                            ;   in Loop: Header=BB25_17 Depth=1
	s_or_b32 exec_lo, exec_lo, s50
	s_delay_alu instid0(SALU_CYCLE_1)
	s_and_b32 s50, s56, exec_lo
	s_and_b32 s55, s55, exec_lo
	;; [unrolled: 1-line block ×3, first 2 shown]
                                        ; implicit-def: $vgpr0_vgpr1
.LBB25_3167:                            ;   in Loop: Header=BB25_17 Depth=1
	s_and_not1_saveexec_b32 s49, s49
	s_cbranch_execz .LBB25_3193
; %bb.3168:                             ;   in Loop: Header=BB25_17 Depth=1
	s_mov_b32 s57, s54
	s_mov_b32 s56, exec_lo
                                        ; implicit-def: $vgpr13
	v_cmpx_lt_i16_e32 22, v2
	s_xor_b32 s56, exec_lo, s56
	s_cbranch_execz .LBB25_3182
; %bb.3169:                             ;   in Loop: Header=BB25_17 Depth=1
	s_mov_b32 s57, exec_lo
                                        ; implicit-def: $vgpr13
	v_cmpx_lt_i16_e32 23, v2
	s_xor_b32 s57, exec_lo, s57
	s_cbranch_execz .LBB25_3179
; %bb.3170:                             ;   in Loop: Header=BB25_17 Depth=1
	s_mov_b32 s58, exec_lo
                                        ; implicit-def: $vgpr13
	v_cmpx_lt_i16_e32 24, v2
	s_xor_b32 s58, exec_lo, s58
	s_cbranch_execz .LBB25_3176
; %bb.3171:                             ;   in Loop: Header=BB25_17 Depth=1
	flat_load_u8 v0, v[0:1]
	s_mov_b32 s59, 0
	s_mov_b32 s61, exec_lo
                                        ; implicit-def: $sgpr60
	s_waitcnt vmcnt(0) lgkmcnt(0)
	v_cmpx_lt_i16_e32 0x7f, v0
	s_xor_b32 s61, exec_lo, s61
	s_cbranch_execnz .LBB25_3622
; %bb.3172:                             ;   in Loop: Header=BB25_17 Depth=1
	s_or_saveexec_b32 s61, s61
	v_mov_b32_e32 v13, s60
	s_xor_b32 exec_lo, exec_lo, s61
	s_cbranch_execnz .LBB25_3625
.LBB25_3173:                            ;   in Loop: Header=BB25_17 Depth=1
	s_or_b32 exec_lo, exec_lo, s61
	s_and_saveexec_b32 s60, s59
	s_cbranch_execz .LBB25_3175
.LBB25_3174:                            ;   in Loop: Header=BB25_17 Depth=1
	v_and_b32_e32 v1, 0xffff, v0
	v_lshlrev_b32_e32 v0, 24, v0
	s_delay_alu instid0(VALU_DEP_2) | instskip(NEXT) | instid1(VALU_DEP_2)
	v_and_b32_e32 v8, 3, v1
	v_and_b32_e32 v0, 0x80000000, v0
	s_delay_alu instid0(VALU_DEP_2) | instskip(NEXT) | instid1(VALU_DEP_1)
	v_clz_i32_u32_e32 v13, v8
	v_min_u32_e32 v13, 32, v13
	s_delay_alu instid0(VALU_DEP_1) | instskip(SKIP_1) | instid1(VALU_DEP_2)
	v_subrev_nc_u32_e32 v14, 29, v13
	v_sub_nc_u32_e32 v13, 30, v13
	v_lshlrev_b32_e32 v14, v14, v1
	v_bfe_u32 v1, v1, 2, 5
	s_delay_alu instid0(VALU_DEP_2) | instskip(NEXT) | instid1(VALU_DEP_2)
	v_and_b32_e32 v14, 3, v14
	v_cmp_eq_u32_e64 s0, 0, v1
	s_delay_alu instid0(VALU_DEP_1) | instskip(NEXT) | instid1(VALU_DEP_3)
	v_cndmask_b32_e64 v1, v1, v13, s0
	v_cndmask_b32_e64 v8, v8, v14, s0
	s_delay_alu instid0(VALU_DEP_2) | instskip(NEXT) | instid1(VALU_DEP_2)
	v_lshl_add_u32 v1, v1, 23, 0x37800000
	v_lshlrev_b32_e32 v8, 21, v8
	s_delay_alu instid0(VALU_DEP_1)
	v_or3_b32 v13, v0, v1, v8
.LBB25_3175:                            ;   in Loop: Header=BB25_17 Depth=1
	s_or_b32 exec_lo, exec_lo, s60
                                        ; implicit-def: $vgpr0_vgpr1
.LBB25_3176:                            ;   in Loop: Header=BB25_17 Depth=1
	s_and_not1_saveexec_b32 s58, s58
	s_cbranch_execz .LBB25_3178
; %bb.3177:                             ;   in Loop: Header=BB25_17 Depth=1
	flat_load_u8 v0, v[0:1]
	s_waitcnt vmcnt(0) lgkmcnt(0)
	v_lshlrev_b32_e32 v0, 24, v0
	s_delay_alu instid0(VALU_DEP_1) | instskip(NEXT) | instid1(VALU_DEP_1)
	v_and_b32_e32 v1, 0x7f000000, v0
	v_clz_i32_u32_e32 v8, v1
	v_add_nc_u32_e32 v14, 0x1000000, v1
	v_cmp_ne_u32_e64 s0, 0, v1
	s_delay_alu instid0(VALU_DEP_3) | instskip(NEXT) | instid1(VALU_DEP_1)
	v_min_u32_e32 v8, 32, v8
	v_sub_nc_u32_e64 v8, v8, 4 clamp
	s_delay_alu instid0(VALU_DEP_1) | instskip(SKIP_1) | instid1(VALU_DEP_2)
	v_lshlrev_b32_e32 v13, v8, v1
	v_lshlrev_b32_e32 v8, 23, v8
	v_lshrrev_b32_e32 v13, 4, v13
	s_delay_alu instid0(VALU_DEP_1) | instskip(SKIP_1) | instid1(VALU_DEP_2)
	v_sub_nc_u32_e32 v8, v13, v8
	v_ashrrev_i32_e32 v13, 8, v14
	v_add_nc_u32_e32 v8, 0x3c000000, v8
	s_delay_alu instid0(VALU_DEP_1) | instskip(NEXT) | instid1(VALU_DEP_1)
	v_and_or_b32 v8, 0x7f800000, v13, v8
	v_cndmask_b32_e64 v1, 0, v8, s0
	s_delay_alu instid0(VALU_DEP_1)
	v_and_or_b32 v13, 0x80000000, v0, v1
.LBB25_3178:                            ;   in Loop: Header=BB25_17 Depth=1
	s_or_b32 exec_lo, exec_lo, s58
                                        ; implicit-def: $vgpr0_vgpr1
.LBB25_3179:                            ;   in Loop: Header=BB25_17 Depth=1
	s_and_not1_saveexec_b32 s57, s57
	s_cbranch_execz .LBB25_3181
; %bb.3180:                             ;   in Loop: Header=BB25_17 Depth=1
	flat_load_u8 v0, v[0:1]
	s_waitcnt vmcnt(0) lgkmcnt(0)
	v_lshlrev_b32_e32 v1, 25, v0
	v_lshlrev_b16 v0, 8, v0
	s_delay_alu instid0(VALU_DEP_2) | instskip(NEXT) | instid1(VALU_DEP_2)
	v_lshrrev_b32_e32 v8, 4, v1
	v_and_or_b32 v13, 0x7f00, v0, 0.5
	v_cmp_gt_u32_e64 s0, 0x8000000, v1
	v_bfe_i32 v0, v0, 0, 16
	s_delay_alu instid0(VALU_DEP_4) | instskip(NEXT) | instid1(VALU_DEP_1)
	v_or_b32_e32 v8, 0x70000000, v8
	v_dual_add_f32 v13, -0.5, v13 :: v_dual_mul_f32 v8, 0x7800000, v8
	s_delay_alu instid0(VALU_DEP_1) | instskip(NEXT) | instid1(VALU_DEP_1)
	v_cndmask_b32_e64 v1, v8, v13, s0
	v_and_or_b32 v13, 0x80000000, v0, v1
.LBB25_3181:                            ;   in Loop: Header=BB25_17 Depth=1
	s_or_b32 exec_lo, exec_lo, s57
	s_delay_alu instid0(SALU_CYCLE_1)
	s_or_b32 s57, s54, exec_lo
                                        ; implicit-def: $vgpr0_vgpr1
.LBB25_3182:                            ;   in Loop: Header=BB25_17 Depth=1
	s_or_saveexec_b32 s56, s56
                                        ; implicit-def: $sgpr58
                                        ; implicit-def: $sgpr0
	s_delay_alu instid0(SALU_CYCLE_1)
	s_xor_b32 exec_lo, exec_lo, s56
	s_cbranch_execz .LBB25_3192
; %bb.3183:                             ;   in Loop: Header=BB25_17 Depth=1
	s_mov_b32 s59, s57
	s_mov_b32 s61, exec_lo
                                        ; implicit-def: $sgpr60
                                        ; implicit-def: $sgpr58
                                        ; implicit-def: $vgpr13
	v_cmpx_lt_i16_e32 14, v2
	s_xor_b32 s61, exec_lo, s61
	s_cbranch_execz .LBB25_3187
; %bb.3184:                             ;   in Loop: Header=BB25_17 Depth=1
	s_mov_b32 s59, s57
	s_mov_b32 s58, exec_lo
                                        ; implicit-def: $vgpr13
	v_cmpx_eq_u16_e32 15, v2
	s_cbranch_execz .LBB25_3186
; %bb.3185:                             ;   in Loop: Header=BB25_17 Depth=1
	flat_load_u16 v0, v[0:1]
	s_or_b32 s59, s57, exec_lo
	s_waitcnt vmcnt(0) lgkmcnt(0)
	v_lshlrev_b32_e32 v13, 16, v0
.LBB25_3186:                            ;   in Loop: Header=BB25_17 Depth=1
	s_or_b32 exec_lo, exec_lo, s58
	s_delay_alu instid0(SALU_CYCLE_1)
	s_and_not1_b32 s0, s57, exec_lo
	s_and_b32 s59, s59, exec_lo
	s_mov_b32 s58, -1
	s_mov_b32 s60, 0
	s_or_b32 s59, s0, s59
                                        ; implicit-def: $vgpr0_vgpr1
.LBB25_3187:                            ;   in Loop: Header=BB25_17 Depth=1
	s_and_not1_saveexec_b32 s61, s61
	s_cbranch_execz .LBB25_3191
; %bb.3188:                             ;   in Loop: Header=BB25_17 Depth=1
	s_mov_b32 s62, s59
	s_mov_b32 s63, exec_lo
                                        ; implicit-def: $vgpr13
	v_cmpx_eq_u16_e32 11, v2
	s_cbranch_execz .LBB25_3190
; %bb.3189:                             ;   in Loop: Header=BB25_17 Depth=1
	flat_load_u8 v0, v[0:1]
	s_or_b32 s62, s59, exec_lo
	s_waitcnt vmcnt(0) lgkmcnt(0)
	v_cmp_ne_u16_e64 s0, 0, v0
	s_delay_alu instid0(VALU_DEP_1)
	v_cndmask_b32_e64 v13, 0, 1.0, s0
.LBB25_3190:                            ;   in Loop: Header=BB25_17 Depth=1
	s_or_b32 exec_lo, exec_lo, s63
	s_delay_alu instid0(SALU_CYCLE_1)
	s_and_not1_b32 s0, s59, exec_lo
	s_and_b32 s59, s62, exec_lo
	s_and_not1_b32 s60, s60, exec_lo
	s_or_b32 s58, s58, exec_lo
	s_or_b32 s59, s0, s59
.LBB25_3191:                            ;   in Loop: Header=BB25_17 Depth=1
	s_or_b32 exec_lo, exec_lo, s61
	s_delay_alu instid0(SALU_CYCLE_1)
	s_and_not1_b32 s57, s57, exec_lo
	s_and_b32 s59, s59, exec_lo
	s_and_b32 s0, s60, exec_lo
	;; [unrolled: 1-line block ×3, first 2 shown]
	s_or_b32 s57, s57, s59
.LBB25_3192:                            ;   in Loop: Header=BB25_17 Depth=1
	s_or_b32 exec_lo, exec_lo, s56
	s_delay_alu instid0(SALU_CYCLE_1)
	s_and_not1_b32 s50, s50, exec_lo
	s_and_b32 s0, s0, exec_lo
	s_and_not1_b32 s54, s54, exec_lo
	s_or_b32 s50, s50, s0
	s_and_not1_b32 s0, s55, exec_lo
	s_and_b32 s55, s58, exec_lo
	s_and_b32 s56, s57, exec_lo
	s_or_b32 s55, s0, s55
	s_or_b32 s54, s54, s56
.LBB25_3193:                            ;   in Loop: Header=BB25_17 Depth=1
	s_or_b32 exec_lo, exec_lo, s49
	s_delay_alu instid0(SALU_CYCLE_1)
	s_and_b32 s50, s50, exec_lo
	s_and_b32 s49, s55, exec_lo
	;; [unrolled: 1-line block ×3, first 2 shown]
                                        ; implicit-def: $vgpr0_vgpr1
	s_and_not1_saveexec_b32 s53, s53
	s_cbranch_execz .LBB25_3018
.LBB25_3194:                            ;   in Loop: Header=BB25_17 Depth=1
	s_mov_b32 s55, exec_lo
                                        ; implicit-def: $vgpr13
	v_cmpx_lt_i16_e32 4, v2
	s_xor_b32 s55, exec_lo, s55
	s_cbranch_execz .LBB25_3216
; %bb.3195:                             ;   in Loop: Header=BB25_17 Depth=1
	s_mov_b32 s56, exec_lo
                                        ; implicit-def: $vgpr13
	v_cmpx_lt_i16_e32 7, v2
	s_xor_b32 s56, exec_lo, s56
	s_cbranch_execz .LBB25_3205
; %bb.3196:                             ;   in Loop: Header=BB25_17 Depth=1
	;; [unrolled: 6-line block ×3, first 2 shown]
	v_cmp_lt_i16_e64 s0, 9, v2
                                        ; implicit-def: $vgpr13
	s_delay_alu instid0(VALU_DEP_1) | instskip(NEXT) | instid1(SALU_CYCLE_1)
	s_and_saveexec_b32 s58, s0
	s_xor_b32 s0, exec_lo, s58
	s_cbranch_execz .LBB25_3199
; %bb.3198:                             ;   in Loop: Header=BB25_17 Depth=1
	flat_load_b64 v[0:1], v[0:1]
	s_waitcnt vmcnt(0) lgkmcnt(0)
	v_cvt_f32_f64_e32 v13, v[0:1]
                                        ; implicit-def: $vgpr0_vgpr1
.LBB25_3199:                            ;   in Loop: Header=BB25_17 Depth=1
	s_and_not1_saveexec_b32 s0, s0
	s_cbranch_execz .LBB25_3201
; %bb.3200:                             ;   in Loop: Header=BB25_17 Depth=1
	flat_load_b32 v13, v[0:1]
.LBB25_3201:                            ;   in Loop: Header=BB25_17 Depth=1
	s_or_b32 exec_lo, exec_lo, s0
                                        ; implicit-def: $vgpr0_vgpr1
.LBB25_3202:                            ;   in Loop: Header=BB25_17 Depth=1
	s_and_not1_saveexec_b32 s0, s57
	s_cbranch_execz .LBB25_3204
; %bb.3203:                             ;   in Loop: Header=BB25_17 Depth=1
	flat_load_b32 v0, v[0:1]
	s_waitcnt vmcnt(0) lgkmcnt(0)
	v_cvt_f32_f16_e32 v13, v0
.LBB25_3204:                            ;   in Loop: Header=BB25_17 Depth=1
	s_or_b32 exec_lo, exec_lo, s0
                                        ; implicit-def: $vgpr0_vgpr1
.LBB25_3205:                            ;   in Loop: Header=BB25_17 Depth=1
	s_and_not1_saveexec_b32 s56, s56
	s_cbranch_execz .LBB25_3215
; %bb.3206:                             ;   in Loop: Header=BB25_17 Depth=1
	s_mov_b32 s57, exec_lo
                                        ; implicit-def: $vgpr13
	v_cmpx_lt_i16_e32 5, v2
	s_xor_b32 s57, exec_lo, s57
	s_cbranch_execz .LBB25_3212
; %bb.3207:                             ;   in Loop: Header=BB25_17 Depth=1
	v_cmp_lt_i16_e64 s0, 6, v2
                                        ; implicit-def: $vgpr13
	s_delay_alu instid0(VALU_DEP_1) | instskip(NEXT) | instid1(SALU_CYCLE_1)
	s_and_saveexec_b32 s58, s0
	s_xor_b32 s0, exec_lo, s58
	s_cbranch_execz .LBB25_3209
; %bb.3208:                             ;   in Loop: Header=BB25_17 Depth=1
	flat_load_b64 v[0:1], v[0:1]
	s_waitcnt vmcnt(0) lgkmcnt(0)
	v_cvt_f32_f64_e32 v13, v[0:1]
                                        ; implicit-def: $vgpr0_vgpr1
.LBB25_3209:                            ;   in Loop: Header=BB25_17 Depth=1
	s_and_not1_saveexec_b32 s0, s0
	s_cbranch_execz .LBB25_3211
; %bb.3210:                             ;   in Loop: Header=BB25_17 Depth=1
	s_waitcnt vmcnt(0) lgkmcnt(0)
	flat_load_b32 v13, v[0:1]
.LBB25_3211:                            ;   in Loop: Header=BB25_17 Depth=1
	s_or_b32 exec_lo, exec_lo, s0
                                        ; implicit-def: $vgpr0_vgpr1
.LBB25_3212:                            ;   in Loop: Header=BB25_17 Depth=1
	s_and_not1_saveexec_b32 s0, s57
	s_cbranch_execz .LBB25_3214
; %bb.3213:                             ;   in Loop: Header=BB25_17 Depth=1
	flat_load_u16 v0, v[0:1]
	s_waitcnt vmcnt(0) lgkmcnt(0)
	v_cvt_f32_f16_e32 v13, v0
.LBB25_3214:                            ;   in Loop: Header=BB25_17 Depth=1
	s_or_b32 exec_lo, exec_lo, s0
.LBB25_3215:                            ;   in Loop: Header=BB25_17 Depth=1
	s_delay_alu instid0(SALU_CYCLE_1)
	s_or_b32 exec_lo, exec_lo, s56
                                        ; implicit-def: $vgpr0_vgpr1
.LBB25_3216:                            ;   in Loop: Header=BB25_17 Depth=1
	s_and_not1_saveexec_b32 s55, s55
	s_cbranch_execz .LBB25_3234
; %bb.3217:                             ;   in Loop: Header=BB25_17 Depth=1
	s_mov_b32 s56, exec_lo
                                        ; implicit-def: $vgpr13
	v_cmpx_lt_i16_e32 1, v2
	s_xor_b32 s56, exec_lo, s56
	s_cbranch_execz .LBB25_3227
; %bb.3218:                             ;   in Loop: Header=BB25_17 Depth=1
	s_mov_b32 s57, exec_lo
                                        ; implicit-def: $vgpr13
	v_cmpx_lt_i16_e32 2, v2
	s_xor_b32 s57, exec_lo, s57
	s_cbranch_execz .LBB25_3224
; %bb.3219:                             ;   in Loop: Header=BB25_17 Depth=1
	v_cmp_lt_i16_e64 s0, 3, v2
                                        ; implicit-def: $vgpr13
	s_delay_alu instid0(VALU_DEP_1) | instskip(NEXT) | instid1(SALU_CYCLE_1)
	s_and_saveexec_b32 s58, s0
	s_xor_b32 s0, exec_lo, s58
	s_cbranch_execz .LBB25_3221
; %bb.3220:                             ;   in Loop: Header=BB25_17 Depth=1
	flat_load_b64 v[0:1], v[0:1]
	s_waitcnt vmcnt(0) lgkmcnt(0)
	v_xor_b32_e32 v8, v0, v1
	v_cls_i32_e32 v13, v1
	s_delay_alu instid0(VALU_DEP_2) | instskip(NEXT) | instid1(VALU_DEP_2)
	v_ashrrev_i32_e32 v8, 31, v8
	v_add_nc_u32_e32 v13, -1, v13
	s_delay_alu instid0(VALU_DEP_2) | instskip(NEXT) | instid1(VALU_DEP_1)
	v_add_nc_u32_e32 v8, 32, v8
	v_min_u32_e32 v8, v13, v8
	s_delay_alu instid0(VALU_DEP_1) | instskip(NEXT) | instid1(VALU_DEP_1)
	v_lshlrev_b64 v[0:1], v8, v[0:1]
	v_min_u32_e32 v0, 1, v0
	s_delay_alu instid0(VALU_DEP_1) | instskip(SKIP_1) | instid1(VALU_DEP_2)
	v_or_b32_e32 v0, v1, v0
	v_sub_nc_u32_e32 v1, 32, v8
	v_cvt_f32_i32_e32 v0, v0
	s_delay_alu instid0(VALU_DEP_1)
	v_ldexp_f32 v13, v0, v1
                                        ; implicit-def: $vgpr0_vgpr1
.LBB25_3221:                            ;   in Loop: Header=BB25_17 Depth=1
	s_and_not1_saveexec_b32 s0, s0
	s_cbranch_execz .LBB25_3223
; %bb.3222:                             ;   in Loop: Header=BB25_17 Depth=1
	flat_load_b32 v0, v[0:1]
	s_waitcnt vmcnt(0) lgkmcnt(0)
	v_cvt_f32_i32_e32 v13, v0
.LBB25_3223:                            ;   in Loop: Header=BB25_17 Depth=1
	s_or_b32 exec_lo, exec_lo, s0
                                        ; implicit-def: $vgpr0_vgpr1
.LBB25_3224:                            ;   in Loop: Header=BB25_17 Depth=1
	s_and_not1_saveexec_b32 s0, s57
	s_cbranch_execz .LBB25_3226
; %bb.3225:                             ;   in Loop: Header=BB25_17 Depth=1
	flat_load_i16 v0, v[0:1]
	s_waitcnt vmcnt(0) lgkmcnt(0)
	v_cvt_f32_i32_e32 v13, v0
.LBB25_3226:                            ;   in Loop: Header=BB25_17 Depth=1
	s_or_b32 exec_lo, exec_lo, s0
                                        ; implicit-def: $vgpr0_vgpr1
.LBB25_3227:                            ;   in Loop: Header=BB25_17 Depth=1
	s_and_not1_saveexec_b32 s56, s56
	s_cbranch_execz .LBB25_3233
; %bb.3228:                             ;   in Loop: Header=BB25_17 Depth=1
	v_cmp_lt_i16_e64 s0, 0, v2
                                        ; implicit-def: $vgpr13
	s_delay_alu instid0(VALU_DEP_1) | instskip(NEXT) | instid1(SALU_CYCLE_1)
	s_and_saveexec_b32 s57, s0
	s_xor_b32 s0, exec_lo, s57
	s_cbranch_execz .LBB25_3230
; %bb.3229:                             ;   in Loop: Header=BB25_17 Depth=1
	flat_load_i8 v0, v[0:1]
	s_waitcnt vmcnt(0) lgkmcnt(0)
	v_cvt_f32_i32_e32 v13, v0
                                        ; implicit-def: $vgpr0_vgpr1
.LBB25_3230:                            ;   in Loop: Header=BB25_17 Depth=1
	s_and_not1_saveexec_b32 s0, s0
	s_cbranch_execz .LBB25_3232
; %bb.3231:                             ;   in Loop: Header=BB25_17 Depth=1
	flat_load_u8 v0, v[0:1]
	s_waitcnt vmcnt(0) lgkmcnt(0)
	v_cvt_f32_ubyte0_e32 v13, v0
.LBB25_3232:                            ;   in Loop: Header=BB25_17 Depth=1
	s_or_b32 exec_lo, exec_lo, s0
.LBB25_3233:                            ;   in Loop: Header=BB25_17 Depth=1
	s_delay_alu instid0(SALU_CYCLE_1)
	s_or_b32 exec_lo, exec_lo, s56
.LBB25_3234:                            ;   in Loop: Header=BB25_17 Depth=1
	s_delay_alu instid0(SALU_CYCLE_1) | instskip(NEXT) | instid1(SALU_CYCLE_1)
	s_or_b32 exec_lo, exec_lo, s55
	s_and_not1_b32 s50, s50, exec_lo
	s_and_not1_b32 s49, s49, exec_lo
	s_or_b32 s54, s54, exec_lo
	s_or_b32 exec_lo, exec_lo, s53
	s_mov_b32 s0, 0
	s_and_saveexec_b32 s53, s54
	s_cbranch_execz .LBB25_3240
.LBB25_3235:                            ;   in Loop: Header=BB25_17 Depth=1
	s_add_i32 s0, s33, 16
	s_mov_b32 s57, 0
	v_add_nc_u32_e64 v8, s1, s0
	s_mov_b32 s54, exec_lo
                                        ; implicit-def: $sgpr55
                                        ; implicit-def: $sgpr56
	s_delay_alu instid0(VALU_DEP_1) | instskip(SKIP_4) | instid1(VALU_DEP_2)
	v_add_nc_u32_e32 v0, 0x74, v8
	s_waitcnt vmcnt(0) lgkmcnt(0)
	scratch_store_b32 v0, v13, off
	v_mul_lo_u32 v0, v12, v11
	v_and_b32_e32 v13, 0xff, v9
                                        ; implicit-def: $vgpr12
	v_add_co_u32 v0, s0, v5, v0
	s_delay_alu instid0(VALU_DEP_1) | instskip(NEXT) | instid1(VALU_DEP_3)
	v_add_co_ci_u32_e64 v1, s0, 0, v6, s0
	v_cmpx_lt_i16_e32 10, v13
	s_xor_b32 s54, exec_lo, s54
	s_cbranch_execnz .LBB25_3262
; %bb.3236:                             ;   in Loop: Header=BB25_17 Depth=1
	s_and_not1_saveexec_b32 s54, s54
	s_cbranch_execnz .LBB25_3321
.LBB25_3237:                            ;   in Loop: Header=BB25_17 Depth=1
	s_or_b32 exec_lo, exec_lo, s54
	s_mov_b32 s0, 0
	s_and_saveexec_b32 s54, s57
	s_cbranch_execz .LBB25_3239
.LBB25_3238:                            ;   in Loop: Header=BB25_17 Depth=1
	v_add_nc_u32_e32 v0, 0x70, v8
	v_add_nc_u32_e32 v7, 0x200, v7
	s_mov_b32 s0, exec_lo
	s_and_not1_b32 s56, s56, exec_lo
	s_and_not1_b32 s55, s55, exec_lo
	s_waitcnt vmcnt(0) lgkmcnt(0)
	scratch_store_b32 v0, v12, off
.LBB25_3239:                            ;   in Loop: Header=BB25_17 Depth=1
	s_or_b32 exec_lo, exec_lo, s54
	s_delay_alu instid0(SALU_CYCLE_1)
	s_and_not1_b32 s50, s50, exec_lo
	s_and_b32 s54, s56, exec_lo
	s_and_not1_b32 s49, s49, exec_lo
	s_and_b32 s55, s55, exec_lo
	s_or_b32 s50, s50, s54
	s_or_b32 s49, s49, s55
	s_and_b32 s0, s0, exec_lo
.LBB25_3240:                            ;   in Loop: Header=BB25_17 Depth=1
	s_or_b32 exec_lo, exec_lo, s53
	s_delay_alu instid0(SALU_CYCLE_1)
	s_and_b32 s50, s50, exec_lo
	s_and_b32 s49, s49, exec_lo
	s_or_not1_b32 s53, s0, exec_lo
.LBB25_3241:                            ;   in Loop: Header=BB25_17 Depth=1
	s_or_b32 exec_lo, exec_lo, s51
	s_and_saveexec_b32 s51, s53
	s_cbranch_execz .LBB25_2
; %bb.3242:                             ;   in Loop: Header=BB25_17 Depth=1
	s_mov_b32 s56, -1
	s_mov_b32 s53, exec_lo
                                        ; implicit-def: $sgpr54
                                        ; implicit-def: $sgpr55
	v_cmpx_lt_i32_e64 v7, v146
	s_cbranch_execz .LBB25_3468
; %bb.3243:                             ;   in Loop: Header=BB25_17 Depth=1
	s_waitcnt vmcnt(0) lgkmcnt(0)
	v_add_nc_u32_e32 v12, s38, v7
	s_mov_b32 s57, 0
	s_mov_b32 s56, exec_lo
                                        ; implicit-def: $sgpr54
                                        ; implicit-def: $sgpr55
                                        ; implicit-def: $vgpr13
	s_delay_alu instid0(VALU_DEP_1) | instskip(NEXT) | instid1(VALU_DEP_1)
	v_mul_lo_u32 v0, v12, v10
	v_add_co_u32 v0, s0, v3, v0
	s_delay_alu instid0(VALU_DEP_1)
	v_add_co_ci_u32_e64 v1, s0, 0, v4, s0
	v_cmpx_lt_i16_e32 10, v2
	s_xor_b32 s56, exec_lo, s56
	s_cbranch_execnz .LBB25_3362
; %bb.3244:                             ;   in Loop: Header=BB25_17 Depth=1
	s_and_not1_saveexec_b32 s56, s56
	s_cbranch_execnz .LBB25_3421
.LBB25_3245:                            ;   in Loop: Header=BB25_17 Depth=1
	s_or_b32 exec_lo, exec_lo, s56
	s_mov_b32 s0, 0
	s_and_saveexec_b32 s56, s57
	s_cbranch_execnz .LBB25_3462
	s_branch .LBB25_3467
.LBB25_3246:                            ;   in Loop: Header=BB25_17 Depth=1
	s_mov_b32 s47, -1
	s_mov_b32 s50, exec_lo
                                        ; implicit-def: $sgpr48
	v_cmpx_eq_u16_e32 0x80, v0
; %bb.3247:                             ;   in Loop: Header=BB25_17 Depth=1
	s_mov_b32 s48, 0x7f800001
	s_xor_b32 s47, exec_lo, -1
; %bb.3248:                             ;   in Loop: Header=BB25_17 Depth=1
	s_or_b32 exec_lo, exec_lo, s50
	s_delay_alu instid0(SALU_CYCLE_1)
	s_and_b32 s47, s47, exec_lo
	s_or_saveexec_b32 s49, s49
	v_mov_b32_e32 v12, s48
	s_xor_b32 exec_lo, exec_lo, s49
	s_cbranch_execz .LBB25_2165
.LBB25_3249:                            ;   in Loop: Header=BB25_17 Depth=1
	v_cmp_ne_u16_e64 s0, 0, v0
	v_mov_b32_e32 v12, 0
	s_and_not1_b32 s47, s47, exec_lo
	s_delay_alu instid0(VALU_DEP_2) | instskip(NEXT) | instid1(SALU_CYCLE_1)
	s_and_b32 s0, s0, exec_lo
	s_or_b32 s47, s47, s0
	s_or_b32 exec_lo, exec_lo, s49
	s_and_saveexec_b32 s48, s47
	s_cbranch_execnz .LBB25_2166
	s_branch .LBB25_2167
.LBB25_3250:                            ;   in Loop: Header=BB25_17 Depth=1
	s_mov_b32 s47, -1
	s_mov_b32 s50, exec_lo
                                        ; implicit-def: $sgpr48
	v_cmpx_eq_u16_e32 0x80, v0
; %bb.3251:                             ;   in Loop: Header=BB25_17 Depth=1
	s_mov_b32 s48, 0x7f800001
	s_xor_b32 s47, exec_lo, -1
; %bb.3252:                             ;   in Loop: Header=BB25_17 Depth=1
	s_or_b32 exec_lo, exec_lo, s50
	s_delay_alu instid0(SALU_CYCLE_1)
	s_and_b32 s47, s47, exec_lo
	s_or_saveexec_b32 s49, s49
	v_mov_b32_e32 v13, s48
	s_xor_b32 exec_lo, exec_lo, s49
	s_cbranch_execz .LBB25_2265
.LBB25_3253:                            ;   in Loop: Header=BB25_17 Depth=1
	v_cmp_ne_u16_e64 s0, 0, v0
	v_mov_b32_e32 v13, 0
	s_and_not1_b32 s47, s47, exec_lo
	s_delay_alu instid0(VALU_DEP_2) | instskip(NEXT) | instid1(SALU_CYCLE_1)
	s_and_b32 s0, s0, exec_lo
	s_or_b32 s47, s47, s0
	s_or_b32 exec_lo, exec_lo, s49
	s_and_saveexec_b32 s48, s47
	s_cbranch_execnz .LBB25_2266
	s_branch .LBB25_2267
.LBB25_3254:                            ;   in Loop: Header=BB25_17 Depth=1
	s_mov_b32 s49, -1
	s_mov_b32 s52, exec_lo
                                        ; implicit-def: $sgpr50
	v_cmpx_eq_u16_e32 0x80, v0
; %bb.3255:                             ;   in Loop: Header=BB25_17 Depth=1
	s_mov_b32 s50, 0x7f800001
	s_xor_b32 s49, exec_lo, -1
; %bb.3256:                             ;   in Loop: Header=BB25_17 Depth=1
	s_or_b32 exec_lo, exec_lo, s52
	s_delay_alu instid0(SALU_CYCLE_1)
	s_and_b32 s49, s49, exec_lo
	s_or_saveexec_b32 s51, s51
	v_mov_b32_e32 v12, s50
	s_xor_b32 exec_lo, exec_lo, s51
	s_cbranch_execz .LBB25_2381
.LBB25_3257:                            ;   in Loop: Header=BB25_17 Depth=1
	v_cmp_ne_u16_e64 s0, 0, v0
	v_mov_b32_e32 v12, 0
	s_and_not1_b32 s49, s49, exec_lo
	s_delay_alu instid0(VALU_DEP_2) | instskip(NEXT) | instid1(SALU_CYCLE_1)
	s_and_b32 s0, s0, exec_lo
	s_or_b32 s49, s49, s0
	s_or_b32 exec_lo, exec_lo, s51
	s_and_saveexec_b32 s50, s49
	s_cbranch_execnz .LBB25_2382
	s_branch .LBB25_2383
.LBB25_3258:                            ;   in Loop: Header=BB25_17 Depth=1
	s_mov_b32 s49, -1
	s_mov_b32 s52, exec_lo
                                        ; implicit-def: $sgpr50
	v_cmpx_eq_u16_e32 0x80, v0
; %bb.3259:                             ;   in Loop: Header=BB25_17 Depth=1
	s_mov_b32 s50, 0x7f800001
	s_xor_b32 s49, exec_lo, -1
; %bb.3260:                             ;   in Loop: Header=BB25_17 Depth=1
	s_or_b32 exec_lo, exec_lo, s52
	s_delay_alu instid0(SALU_CYCLE_1)
	s_and_b32 s49, s49, exec_lo
	s_or_saveexec_b32 s51, s51
	v_mov_b32_e32 v13, s50
	s_xor_b32 exec_lo, exec_lo, s51
	s_cbranch_execz .LBB25_2481
.LBB25_3261:                            ;   in Loop: Header=BB25_17 Depth=1
	v_cmp_ne_u16_e64 s0, 0, v0
	v_mov_b32_e32 v13, 0
	s_and_not1_b32 s49, s49, exec_lo
	s_delay_alu instid0(VALU_DEP_2) | instskip(NEXT) | instid1(SALU_CYCLE_1)
	s_and_b32 s0, s0, exec_lo
	s_or_b32 s49, s49, s0
	s_or_b32 exec_lo, exec_lo, s51
	s_and_saveexec_b32 s50, s49
	s_cbranch_execnz .LBB25_2482
	s_branch .LBB25_2483
.LBB25_3262:                            ;   in Loop: Header=BB25_17 Depth=1
	s_mov_b32 s55, exec_lo
                                        ; implicit-def: $sgpr58
                                        ; implicit-def: $sgpr56
                                        ; implicit-def: $vgpr12
	v_cmpx_lt_i16_e32 25, v13
	s_xor_b32 s55, exec_lo, s55
	s_cbranch_execz .LBB25_3294
; %bb.3263:                             ;   in Loop: Header=BB25_17 Depth=1
	s_mov_b32 s56, exec_lo
                                        ; implicit-def: $sgpr58
                                        ; implicit-def: $sgpr59
                                        ; implicit-def: $vgpr12
	v_cmpx_lt_i16_e32 28, v13
	s_xor_b32 s56, exec_lo, s56
	s_cbranch_execz .LBB25_3279
; %bb.3264:                             ;   in Loop: Header=BB25_17 Depth=1
	s_mov_b32 s60, 0
	s_mov_b32 s57, exec_lo
                                        ; implicit-def: $sgpr58
                                        ; implicit-def: $sgpr59
                                        ; implicit-def: $vgpr12
	v_cmpx_lt_i16_e32 43, v13
	s_xor_b32 s57, exec_lo, s57
	s_cbranch_execz .LBB25_3274
; %bb.3265:                             ;   in Loop: Header=BB25_17 Depth=1
	s_mov_b32 s61, exec_lo
                                        ; implicit-def: $sgpr59
                                        ; implicit-def: $sgpr58
                                        ; implicit-def: $vgpr12
	v_cmpx_lt_i16_e32 45, v13
	s_xor_b32 s61, exec_lo, s61
	s_cbranch_execz .LBB25_3269
; %bb.3266:                             ;   in Loop: Header=BB25_17 Depth=1
	s_mov_b32 s58, 0
	s_mov_b32 s59, exec_lo
                                        ; implicit-def: $vgpr12
	v_cmpx_eq_u16_e32 46, v13
	s_cbranch_execz .LBB25_3268
; %bb.3267:                             ;   in Loop: Header=BB25_17 Depth=1
	flat_load_b32 v0, v[0:1]
	s_mov_b32 s60, exec_lo
	s_waitcnt vmcnt(0) lgkmcnt(0)
	v_lshlrev_b32_e32 v12, 16, v0
.LBB25_3268:                            ;   in Loop: Header=BB25_17 Depth=1
	s_or_b32 exec_lo, exec_lo, s59
	s_mov_b32 s59, -1
	s_and_b32 s60, s60, exec_lo
                                        ; implicit-def: $vgpr13
                                        ; implicit-def: $vgpr0_vgpr1
.LBB25_3269:                            ;   in Loop: Header=BB25_17 Depth=1
	s_and_not1_saveexec_b32 s61, s61
	s_cbranch_execz .LBB25_3273
; %bb.3270:                             ;   in Loop: Header=BB25_17 Depth=1
	s_mov_b32 s63, s60
	s_mov_b32 s62, exec_lo
                                        ; implicit-def: $vgpr12
	v_cmpx_eq_u16_e32 44, v13
	s_cbranch_execz .LBB25_3272
; %bb.3271:                             ;   in Loop: Header=BB25_17 Depth=1
	flat_load_u8 v0, v[0:1]
	s_or_b32 s63, s60, exec_lo
	s_waitcnt vmcnt(0) lgkmcnt(0)
	v_lshlrev_b32_e32 v1, 23, v0
	v_cmp_ne_u32_e64 s0, 0xff, v0
	s_delay_alu instid0(VALU_DEP_1) | instskip(SKIP_1) | instid1(VALU_DEP_1)
	v_cndmask_b32_e64 v1, 0x7f800001, v1, s0
	v_cmp_ne_u32_e64 s0, 0, v0
	v_cndmask_b32_e64 v12, 0x400000, v1, s0
.LBB25_3272:                            ;   in Loop: Header=BB25_17 Depth=1
	s_or_b32 exec_lo, exec_lo, s62
	s_delay_alu instid0(SALU_CYCLE_1)
	s_and_not1_b32 s0, s60, exec_lo
	s_and_b32 s60, s63, exec_lo
	s_or_b32 s59, s59, exec_lo
	s_and_not1_b32 s58, s58, exec_lo
	s_or_b32 s60, s0, s60
.LBB25_3273:                            ;   in Loop: Header=BB25_17 Depth=1
	s_or_b32 exec_lo, exec_lo, s61
	s_delay_alu instid0(SALU_CYCLE_1)
	s_and_b32 s59, s59, exec_lo
	s_and_b32 s58, s58, exec_lo
	;; [unrolled: 1-line block ×3, first 2 shown]
                                        ; implicit-def: $vgpr13
                                        ; implicit-def: $vgpr0_vgpr1
.LBB25_3274:                            ;   in Loop: Header=BB25_17 Depth=1
	s_and_not1_saveexec_b32 s57, s57
	s_cbranch_execz .LBB25_3278
; %bb.3275:                             ;   in Loop: Header=BB25_17 Depth=1
	s_mov_b32 s62, s60
	s_mov_b32 s61, exec_lo
                                        ; implicit-def: $vgpr12
	v_cmpx_eq_u16_e32 29, v13
	s_cbranch_execz .LBB25_3277
; %bb.3276:                             ;   in Loop: Header=BB25_17 Depth=1
	flat_load_b64 v[0:1], v[0:1]
	s_or_b32 s62, s60, exec_lo
	s_waitcnt vmcnt(0) lgkmcnt(0)
	v_clz_i32_u32_e32 v12, v1
	s_delay_alu instid0(VALU_DEP_1) | instskip(NEXT) | instid1(VALU_DEP_1)
	v_min_u32_e32 v12, 32, v12
	v_lshlrev_b64 v[0:1], v12, v[0:1]
	s_delay_alu instid0(VALU_DEP_1) | instskip(NEXT) | instid1(VALU_DEP_1)
	v_min_u32_e32 v0, 1, v0
	v_or_b32_e32 v0, v1, v0
	v_sub_nc_u32_e32 v1, 32, v12
	s_delay_alu instid0(VALU_DEP_2) | instskip(NEXT) | instid1(VALU_DEP_1)
	v_cvt_f32_u32_e32 v0, v0
	v_ldexp_f32 v12, v0, v1
.LBB25_3277:                            ;   in Loop: Header=BB25_17 Depth=1
	s_or_b32 exec_lo, exec_lo, s61
	s_delay_alu instid0(SALU_CYCLE_1)
	s_and_not1_b32 s0, s60, exec_lo
	s_and_b32 s60, s62, exec_lo
	s_or_b32 s59, s59, exec_lo
	s_and_not1_b32 s58, s58, exec_lo
	s_or_b32 s60, s0, s60
.LBB25_3278:                            ;   in Loop: Header=BB25_17 Depth=1
	s_or_b32 exec_lo, exec_lo, s57
	s_delay_alu instid0(SALU_CYCLE_1)
	s_and_b32 s59, s59, exec_lo
	s_and_b32 s58, s58, exec_lo
	s_and_b32 s57, s60, exec_lo
                                        ; implicit-def: $vgpr13
                                        ; implicit-def: $vgpr0_vgpr1
.LBB25_3279:                            ;   in Loop: Header=BB25_17 Depth=1
	s_and_not1_saveexec_b32 s56, s56
	s_cbranch_execz .LBB25_3293
; %bb.3280:                             ;   in Loop: Header=BB25_17 Depth=1
	s_mov_b32 s60, exec_lo
                                        ; implicit-def: $vgpr12
	v_cmpx_lt_i16_e32 26, v13
	s_xor_b32 s60, exec_lo, s60
	s_cbranch_execz .LBB25_3286
; %bb.3281:                             ;   in Loop: Header=BB25_17 Depth=1
	v_cmp_lt_i16_e64 s0, 27, v13
                                        ; implicit-def: $vgpr12
	s_delay_alu instid0(VALU_DEP_1) | instskip(NEXT) | instid1(SALU_CYCLE_1)
	s_and_saveexec_b32 s61, s0
	s_xor_b32 s0, exec_lo, s61
	s_cbranch_execz .LBB25_3283
; %bb.3282:                             ;   in Loop: Header=BB25_17 Depth=1
	flat_load_b32 v0, v[0:1]
	s_waitcnt vmcnt(0) lgkmcnt(0)
	v_cvt_f32_u32_e32 v12, v0
                                        ; implicit-def: $vgpr0_vgpr1
.LBB25_3283:                            ;   in Loop: Header=BB25_17 Depth=1
	s_and_not1_saveexec_b32 s0, s0
	s_cbranch_execz .LBB25_3285
; %bb.3284:                             ;   in Loop: Header=BB25_17 Depth=1
	flat_load_u16 v0, v[0:1]
	s_waitcnt vmcnt(0) lgkmcnt(0)
	v_cvt_f32_u32_e32 v12, v0
.LBB25_3285:                            ;   in Loop: Header=BB25_17 Depth=1
	s_or_b32 exec_lo, exec_lo, s0
                                        ; implicit-def: $vgpr0_vgpr1
.LBB25_3286:                            ;   in Loop: Header=BB25_17 Depth=1
	s_and_not1_saveexec_b32 s60, s60
	s_cbranch_execz .LBB25_3292
; %bb.3287:                             ;   in Loop: Header=BB25_17 Depth=1
	flat_load_u8 v0, v[0:1]
	s_mov_b32 s61, 0
	s_mov_b32 s63, exec_lo
                                        ; implicit-def: $sgpr62
	s_waitcnt vmcnt(0) lgkmcnt(0)
	v_cmpx_lt_i16_e32 0x7f, v0
	s_xor_b32 s63, exec_lo, s63
	s_cbranch_execnz .LBB25_3626
; %bb.3288:                             ;   in Loop: Header=BB25_17 Depth=1
	s_or_saveexec_b32 s63, s63
	v_mov_b32_e32 v12, s62
	s_xor_b32 exec_lo, exec_lo, s63
	s_cbranch_execnz .LBB25_3629
.LBB25_3289:                            ;   in Loop: Header=BB25_17 Depth=1
	s_or_b32 exec_lo, exec_lo, s63
	s_and_saveexec_b32 s62, s61
	s_cbranch_execz .LBB25_3291
.LBB25_3290:                            ;   in Loop: Header=BB25_17 Depth=1
	v_and_b32_e32 v1, 0xffff, v0
	v_lshlrev_b32_e32 v0, 24, v0
	s_delay_alu instid0(VALU_DEP_2) | instskip(NEXT) | instid1(VALU_DEP_2)
	v_and_b32_e32 v12, 7, v1
	v_and_b32_e32 v0, 0x80000000, v0
	s_delay_alu instid0(VALU_DEP_2) | instskip(NEXT) | instid1(VALU_DEP_1)
	v_clz_i32_u32_e32 v13, v12
	v_min_u32_e32 v13, 32, v13
	s_delay_alu instid0(VALU_DEP_1) | instskip(SKIP_1) | instid1(VALU_DEP_2)
	v_subrev_nc_u32_e32 v14, 28, v13
	v_sub_nc_u32_e32 v13, 29, v13
	v_lshlrev_b32_e32 v14, v14, v1
	v_bfe_u32 v1, v1, 3, 4
	s_delay_alu instid0(VALU_DEP_2) | instskip(NEXT) | instid1(VALU_DEP_2)
	v_and_b32_e32 v14, 7, v14
	v_cmp_eq_u32_e64 s0, 0, v1
	s_delay_alu instid0(VALU_DEP_1) | instskip(NEXT) | instid1(VALU_DEP_3)
	v_cndmask_b32_e64 v1, v1, v13, s0
	v_cndmask_b32_e64 v12, v12, v14, s0
	s_delay_alu instid0(VALU_DEP_2) | instskip(NEXT) | instid1(VALU_DEP_2)
	v_lshl_add_u32 v1, v1, 23, 0x3b800000
	v_lshlrev_b32_e32 v12, 20, v12
	s_delay_alu instid0(VALU_DEP_1)
	v_or3_b32 v12, v0, v1, v12
.LBB25_3291:                            ;   in Loop: Header=BB25_17 Depth=1
	s_or_b32 exec_lo, exec_lo, s62
.LBB25_3292:                            ;   in Loop: Header=BB25_17 Depth=1
	s_delay_alu instid0(SALU_CYCLE_1) | instskip(NEXT) | instid1(SALU_CYCLE_1)
	s_or_b32 exec_lo, exec_lo, s60
	s_and_not1_b32 s59, s59, exec_lo
	s_and_not1_b32 s58, s58, exec_lo
	s_or_b32 s57, s57, exec_lo
.LBB25_3293:                            ;   in Loop: Header=BB25_17 Depth=1
	s_or_b32 exec_lo, exec_lo, s56
	s_delay_alu instid0(SALU_CYCLE_1)
	s_and_b32 s56, s59, exec_lo
	s_and_b32 s58, s58, exec_lo
	;; [unrolled: 1-line block ×3, first 2 shown]
                                        ; implicit-def: $vgpr13
                                        ; implicit-def: $vgpr0_vgpr1
.LBB25_3294:                            ;   in Loop: Header=BB25_17 Depth=1
	s_and_not1_saveexec_b32 s55, s55
	s_cbranch_execz .LBB25_3320
; %bb.3295:                             ;   in Loop: Header=BB25_17 Depth=1
	s_mov_b32 s60, s57
	s_mov_b32 s59, exec_lo
                                        ; implicit-def: $vgpr12
	v_cmpx_lt_i16_e32 22, v13
	s_xor_b32 s59, exec_lo, s59
	s_cbranch_execz .LBB25_3309
; %bb.3296:                             ;   in Loop: Header=BB25_17 Depth=1
	s_mov_b32 s60, exec_lo
                                        ; implicit-def: $vgpr12
	v_cmpx_lt_i16_e32 23, v13
	s_xor_b32 s60, exec_lo, s60
	s_cbranch_execz .LBB25_3306
; %bb.3297:                             ;   in Loop: Header=BB25_17 Depth=1
	;; [unrolled: 6-line block ×3, first 2 shown]
	flat_load_u8 v0, v[0:1]
	s_mov_b32 s62, 0
	s_mov_b32 s64, exec_lo
                                        ; implicit-def: $sgpr63
	s_waitcnt vmcnt(0) lgkmcnt(0)
	v_cmpx_lt_i16_e32 0x7f, v0
	s_xor_b32 s64, exec_lo, s64
	s_cbranch_execnz .LBB25_3634
; %bb.3299:                             ;   in Loop: Header=BB25_17 Depth=1
	s_or_saveexec_b32 s64, s64
	v_mov_b32_e32 v12, s63
	s_xor_b32 exec_lo, exec_lo, s64
	s_cbranch_execnz .LBB25_3637
.LBB25_3300:                            ;   in Loop: Header=BB25_17 Depth=1
	s_or_b32 exec_lo, exec_lo, s64
	s_and_saveexec_b32 s63, s62
	s_cbranch_execz .LBB25_3302
.LBB25_3301:                            ;   in Loop: Header=BB25_17 Depth=1
	v_and_b32_e32 v1, 0xffff, v0
	v_lshlrev_b32_e32 v0, 24, v0
	s_delay_alu instid0(VALU_DEP_2) | instskip(NEXT) | instid1(VALU_DEP_2)
	v_and_b32_e32 v12, 3, v1
	v_and_b32_e32 v0, 0x80000000, v0
	s_delay_alu instid0(VALU_DEP_2) | instskip(NEXT) | instid1(VALU_DEP_1)
	v_clz_i32_u32_e32 v13, v12
	v_min_u32_e32 v13, 32, v13
	s_delay_alu instid0(VALU_DEP_1) | instskip(SKIP_1) | instid1(VALU_DEP_2)
	v_subrev_nc_u32_e32 v14, 29, v13
	v_sub_nc_u32_e32 v13, 30, v13
	v_lshlrev_b32_e32 v14, v14, v1
	v_bfe_u32 v1, v1, 2, 5
	s_delay_alu instid0(VALU_DEP_2) | instskip(NEXT) | instid1(VALU_DEP_2)
	v_and_b32_e32 v14, 3, v14
	v_cmp_eq_u32_e64 s0, 0, v1
	s_delay_alu instid0(VALU_DEP_1) | instskip(NEXT) | instid1(VALU_DEP_3)
	v_cndmask_b32_e64 v1, v1, v13, s0
	v_cndmask_b32_e64 v12, v12, v14, s0
	s_delay_alu instid0(VALU_DEP_2) | instskip(NEXT) | instid1(VALU_DEP_2)
	v_lshl_add_u32 v1, v1, 23, 0x37800000
	v_lshlrev_b32_e32 v12, 21, v12
	s_delay_alu instid0(VALU_DEP_1)
	v_or3_b32 v12, v0, v1, v12
.LBB25_3302:                            ;   in Loop: Header=BB25_17 Depth=1
	s_or_b32 exec_lo, exec_lo, s63
                                        ; implicit-def: $vgpr0_vgpr1
.LBB25_3303:                            ;   in Loop: Header=BB25_17 Depth=1
	s_and_not1_saveexec_b32 s61, s61
	s_cbranch_execz .LBB25_3305
; %bb.3304:                             ;   in Loop: Header=BB25_17 Depth=1
	flat_load_u8 v0, v[0:1]
	s_waitcnt vmcnt(0) lgkmcnt(0)
	v_lshlrev_b32_e32 v0, 24, v0
	s_delay_alu instid0(VALU_DEP_1) | instskip(NEXT) | instid1(VALU_DEP_1)
	v_and_b32_e32 v1, 0x7f000000, v0
	v_clz_i32_u32_e32 v12, v1
	v_add_nc_u32_e32 v14, 0x1000000, v1
	v_cmp_ne_u32_e64 s0, 0, v1
	s_delay_alu instid0(VALU_DEP_3) | instskip(NEXT) | instid1(VALU_DEP_1)
	v_min_u32_e32 v12, 32, v12
	v_sub_nc_u32_e64 v12, v12, 4 clamp
	s_delay_alu instid0(VALU_DEP_1) | instskip(SKIP_1) | instid1(VALU_DEP_2)
	v_lshlrev_b32_e32 v13, v12, v1
	v_lshlrev_b32_e32 v12, 23, v12
	v_lshrrev_b32_e32 v13, 4, v13
	s_delay_alu instid0(VALU_DEP_1) | instskip(SKIP_1) | instid1(VALU_DEP_2)
	v_sub_nc_u32_e32 v12, v13, v12
	v_ashrrev_i32_e32 v13, 8, v14
	v_add_nc_u32_e32 v12, 0x3c000000, v12
	s_delay_alu instid0(VALU_DEP_1) | instskip(NEXT) | instid1(VALU_DEP_1)
	v_and_or_b32 v12, 0x7f800000, v13, v12
	v_cndmask_b32_e64 v1, 0, v12, s0
	s_delay_alu instid0(VALU_DEP_1)
	v_and_or_b32 v12, 0x80000000, v0, v1
.LBB25_3305:                            ;   in Loop: Header=BB25_17 Depth=1
	s_or_b32 exec_lo, exec_lo, s61
                                        ; implicit-def: $vgpr0_vgpr1
.LBB25_3306:                            ;   in Loop: Header=BB25_17 Depth=1
	s_and_not1_saveexec_b32 s60, s60
	s_cbranch_execz .LBB25_3308
; %bb.3307:                             ;   in Loop: Header=BB25_17 Depth=1
	flat_load_u8 v0, v[0:1]
	s_waitcnt vmcnt(0) lgkmcnt(0)
	v_lshlrev_b32_e32 v1, 25, v0
	v_lshlrev_b16 v0, 8, v0
	s_delay_alu instid0(VALU_DEP_2) | instskip(NEXT) | instid1(VALU_DEP_2)
	v_lshrrev_b32_e32 v12, 4, v1
	v_and_or_b32 v13, 0x7f00, v0, 0.5
	v_cmp_gt_u32_e64 s0, 0x8000000, v1
	v_bfe_i32 v0, v0, 0, 16
	s_delay_alu instid0(VALU_DEP_4) | instskip(NEXT) | instid1(VALU_DEP_1)
	v_or_b32_e32 v12, 0x70000000, v12
	v_dual_add_f32 v13, -0.5, v13 :: v_dual_mul_f32 v12, 0x7800000, v12
	s_delay_alu instid0(VALU_DEP_1) | instskip(NEXT) | instid1(VALU_DEP_1)
	v_cndmask_b32_e64 v1, v12, v13, s0
	v_and_or_b32 v12, 0x80000000, v0, v1
.LBB25_3308:                            ;   in Loop: Header=BB25_17 Depth=1
	s_or_b32 exec_lo, exec_lo, s60
	s_delay_alu instid0(SALU_CYCLE_1)
	s_or_b32 s60, s57, exec_lo
                                        ; implicit-def: $vgpr13
                                        ; implicit-def: $vgpr0_vgpr1
.LBB25_3309:                            ;   in Loop: Header=BB25_17 Depth=1
	s_or_saveexec_b32 s59, s59
                                        ; implicit-def: $sgpr61
                                        ; implicit-def: $sgpr0
	s_delay_alu instid0(SALU_CYCLE_1)
	s_xor_b32 exec_lo, exec_lo, s59
	s_cbranch_execz .LBB25_3319
; %bb.3310:                             ;   in Loop: Header=BB25_17 Depth=1
	s_mov_b32 s62, s60
	s_mov_b32 s64, exec_lo
                                        ; implicit-def: $sgpr63
                                        ; implicit-def: $sgpr61
                                        ; implicit-def: $vgpr12
	v_cmpx_lt_i16_e32 14, v13
	s_xor_b32 s64, exec_lo, s64
	s_cbranch_execz .LBB25_3314
; %bb.3311:                             ;   in Loop: Header=BB25_17 Depth=1
	s_mov_b32 s62, s60
	s_mov_b32 s61, exec_lo
                                        ; implicit-def: $vgpr12
	v_cmpx_eq_u16_e32 15, v13
	s_cbranch_execz .LBB25_3313
; %bb.3312:                             ;   in Loop: Header=BB25_17 Depth=1
	flat_load_u16 v0, v[0:1]
	s_or_b32 s62, s60, exec_lo
	s_waitcnt vmcnt(0) lgkmcnt(0)
	v_lshlrev_b32_e32 v12, 16, v0
.LBB25_3313:                            ;   in Loop: Header=BB25_17 Depth=1
	s_or_b32 exec_lo, exec_lo, s61
	s_delay_alu instid0(SALU_CYCLE_1)
	s_and_not1_b32 s0, s60, exec_lo
	s_and_b32 s62, s62, exec_lo
	s_mov_b32 s61, 0
	s_mov_b32 s63, -1
	s_or_b32 s62, s0, s62
                                        ; implicit-def: $vgpr13
                                        ; implicit-def: $vgpr0_vgpr1
.LBB25_3314:                            ;   in Loop: Header=BB25_17 Depth=1
	s_and_not1_saveexec_b32 s64, s64
	s_cbranch_execz .LBB25_3318
; %bb.3315:                             ;   in Loop: Header=BB25_17 Depth=1
	s_mov_b32 s65, s62
	s_mov_b32 s66, exec_lo
                                        ; implicit-def: $vgpr12
	v_cmpx_eq_u16_e32 11, v13
	s_cbranch_execz .LBB25_3317
; %bb.3316:                             ;   in Loop: Header=BB25_17 Depth=1
	flat_load_u8 v0, v[0:1]
	s_or_b32 s65, s62, exec_lo
	s_waitcnt vmcnt(0) lgkmcnt(0)
	v_cmp_ne_u16_e64 s0, 0, v0
	s_delay_alu instid0(VALU_DEP_1)
	v_cndmask_b32_e64 v12, 0, 1.0, s0
.LBB25_3317:                            ;   in Loop: Header=BB25_17 Depth=1
	s_or_b32 exec_lo, exec_lo, s66
	s_delay_alu instid0(SALU_CYCLE_1)
	s_and_not1_b32 s0, s62, exec_lo
	s_and_b32 s62, s65, exec_lo
	s_or_b32 s63, s63, exec_lo
	s_and_not1_b32 s61, s61, exec_lo
	s_or_b32 s62, s0, s62
.LBB25_3318:                            ;   in Loop: Header=BB25_17 Depth=1
	s_or_b32 exec_lo, exec_lo, s64
	s_delay_alu instid0(SALU_CYCLE_1)
	s_and_not1_b32 s60, s60, exec_lo
	s_and_b32 s62, s62, exec_lo
	s_and_b32 s0, s63, exec_lo
	;; [unrolled: 1-line block ×3, first 2 shown]
	s_or_b32 s60, s60, s62
.LBB25_3319:                            ;   in Loop: Header=BB25_17 Depth=1
	s_or_b32 exec_lo, exec_lo, s59
	s_delay_alu instid0(SALU_CYCLE_1)
	s_and_not1_b32 s56, s56, exec_lo
	s_and_b32 s0, s0, exec_lo
	s_and_not1_b32 s57, s57, exec_lo
	s_or_b32 s56, s56, s0
	s_and_not1_b32 s0, s58, exec_lo
	s_and_b32 s58, s61, exec_lo
	s_and_b32 s59, s60, exec_lo
	s_or_b32 s58, s0, s58
	s_or_b32 s57, s57, s59
.LBB25_3320:                            ;   in Loop: Header=BB25_17 Depth=1
	s_or_b32 exec_lo, exec_lo, s55
	s_delay_alu instid0(SALU_CYCLE_1)
	s_and_b32 s56, s56, exec_lo
	s_and_b32 s55, s58, exec_lo
	;; [unrolled: 1-line block ×3, first 2 shown]
                                        ; implicit-def: $vgpr13
                                        ; implicit-def: $vgpr0_vgpr1
	s_and_not1_saveexec_b32 s54, s54
	s_cbranch_execz .LBB25_3237
.LBB25_3321:                            ;   in Loop: Header=BB25_17 Depth=1
	s_mov_b32 s58, exec_lo
                                        ; implicit-def: $vgpr12
	v_cmpx_lt_i16_e32 4, v13
	s_xor_b32 s58, exec_lo, s58
	s_cbranch_execz .LBB25_3343
; %bb.3322:                             ;   in Loop: Header=BB25_17 Depth=1
	s_mov_b32 s59, exec_lo
                                        ; implicit-def: $vgpr12
	v_cmpx_lt_i16_e32 7, v13
	s_xor_b32 s59, exec_lo, s59
	s_cbranch_execz .LBB25_3332
; %bb.3323:                             ;   in Loop: Header=BB25_17 Depth=1
	;; [unrolled: 6-line block ×3, first 2 shown]
	v_cmp_lt_i16_e64 s0, 9, v13
                                        ; implicit-def: $vgpr12
	s_delay_alu instid0(VALU_DEP_1) | instskip(NEXT) | instid1(SALU_CYCLE_1)
	s_and_saveexec_b32 s61, s0
	s_xor_b32 s0, exec_lo, s61
	s_cbranch_execz .LBB25_3326
; %bb.3325:                             ;   in Loop: Header=BB25_17 Depth=1
	flat_load_b64 v[0:1], v[0:1]
	s_waitcnt vmcnt(0) lgkmcnt(0)
	v_cvt_f32_f64_e32 v12, v[0:1]
                                        ; implicit-def: $vgpr0_vgpr1
.LBB25_3326:                            ;   in Loop: Header=BB25_17 Depth=1
	s_and_not1_saveexec_b32 s0, s0
	s_cbranch_execz .LBB25_3328
; %bb.3327:                             ;   in Loop: Header=BB25_17 Depth=1
	flat_load_b32 v12, v[0:1]
.LBB25_3328:                            ;   in Loop: Header=BB25_17 Depth=1
	s_or_b32 exec_lo, exec_lo, s0
                                        ; implicit-def: $vgpr0_vgpr1
.LBB25_3329:                            ;   in Loop: Header=BB25_17 Depth=1
	s_and_not1_saveexec_b32 s0, s60
	s_cbranch_execz .LBB25_3331
; %bb.3330:                             ;   in Loop: Header=BB25_17 Depth=1
	flat_load_b32 v0, v[0:1]
	s_waitcnt vmcnt(0) lgkmcnt(0)
	v_cvt_f32_f16_e32 v12, v0
.LBB25_3331:                            ;   in Loop: Header=BB25_17 Depth=1
	s_or_b32 exec_lo, exec_lo, s0
                                        ; implicit-def: $vgpr0_vgpr1
                                        ; implicit-def: $vgpr13
.LBB25_3332:                            ;   in Loop: Header=BB25_17 Depth=1
	s_and_not1_saveexec_b32 s59, s59
	s_cbranch_execz .LBB25_3342
; %bb.3333:                             ;   in Loop: Header=BB25_17 Depth=1
	s_mov_b32 s60, exec_lo
                                        ; implicit-def: $vgpr12
	v_cmpx_lt_i16_e32 5, v13
	s_xor_b32 s60, exec_lo, s60
	s_cbranch_execz .LBB25_3339
; %bb.3334:                             ;   in Loop: Header=BB25_17 Depth=1
	v_cmp_lt_i16_e64 s0, 6, v13
                                        ; implicit-def: $vgpr12
	s_delay_alu instid0(VALU_DEP_1) | instskip(NEXT) | instid1(SALU_CYCLE_1)
	s_and_saveexec_b32 s61, s0
	s_xor_b32 s0, exec_lo, s61
	s_cbranch_execz .LBB25_3336
; %bb.3335:                             ;   in Loop: Header=BB25_17 Depth=1
	flat_load_b64 v[0:1], v[0:1]
	s_waitcnt vmcnt(0) lgkmcnt(0)
	v_cvt_f32_f64_e32 v12, v[0:1]
                                        ; implicit-def: $vgpr0_vgpr1
.LBB25_3336:                            ;   in Loop: Header=BB25_17 Depth=1
	s_and_not1_saveexec_b32 s0, s0
	s_cbranch_execz .LBB25_3338
; %bb.3337:                             ;   in Loop: Header=BB25_17 Depth=1
	s_waitcnt vmcnt(0) lgkmcnt(0)
	flat_load_b32 v12, v[0:1]
.LBB25_3338:                            ;   in Loop: Header=BB25_17 Depth=1
	s_or_b32 exec_lo, exec_lo, s0
                                        ; implicit-def: $vgpr0_vgpr1
.LBB25_3339:                            ;   in Loop: Header=BB25_17 Depth=1
	s_and_not1_saveexec_b32 s0, s60
	s_cbranch_execz .LBB25_3341
; %bb.3340:                             ;   in Loop: Header=BB25_17 Depth=1
	flat_load_u16 v0, v[0:1]
	s_waitcnt vmcnt(0) lgkmcnt(0)
	v_cvt_f32_f16_e32 v12, v0
.LBB25_3341:                            ;   in Loop: Header=BB25_17 Depth=1
	s_or_b32 exec_lo, exec_lo, s0
.LBB25_3342:                            ;   in Loop: Header=BB25_17 Depth=1
	s_delay_alu instid0(SALU_CYCLE_1)
	s_or_b32 exec_lo, exec_lo, s59
                                        ; implicit-def: $vgpr13
                                        ; implicit-def: $vgpr0_vgpr1
.LBB25_3343:                            ;   in Loop: Header=BB25_17 Depth=1
	s_and_not1_saveexec_b32 s58, s58
	s_cbranch_execz .LBB25_3361
; %bb.3344:                             ;   in Loop: Header=BB25_17 Depth=1
	s_mov_b32 s59, exec_lo
                                        ; implicit-def: $vgpr12
	v_cmpx_lt_i16_e32 1, v13
	s_xor_b32 s59, exec_lo, s59
	s_cbranch_execz .LBB25_3354
; %bb.3345:                             ;   in Loop: Header=BB25_17 Depth=1
	s_mov_b32 s60, exec_lo
                                        ; implicit-def: $vgpr12
	v_cmpx_lt_i16_e32 2, v13
	s_xor_b32 s60, exec_lo, s60
	s_cbranch_execz .LBB25_3351
; %bb.3346:                             ;   in Loop: Header=BB25_17 Depth=1
	v_cmp_lt_i16_e64 s0, 3, v13
                                        ; implicit-def: $vgpr12
	s_delay_alu instid0(VALU_DEP_1) | instskip(NEXT) | instid1(SALU_CYCLE_1)
	s_and_saveexec_b32 s61, s0
	s_xor_b32 s0, exec_lo, s61
	s_cbranch_execz .LBB25_3348
; %bb.3347:                             ;   in Loop: Header=BB25_17 Depth=1
	flat_load_b64 v[0:1], v[0:1]
	s_waitcnt vmcnt(0) lgkmcnt(0)
	v_xor_b32_e32 v12, v0, v1
	v_cls_i32_e32 v13, v1
	s_delay_alu instid0(VALU_DEP_2) | instskip(NEXT) | instid1(VALU_DEP_2)
	v_ashrrev_i32_e32 v12, 31, v12
	v_add_nc_u32_e32 v13, -1, v13
	s_delay_alu instid0(VALU_DEP_2) | instskip(NEXT) | instid1(VALU_DEP_1)
	v_add_nc_u32_e32 v12, 32, v12
	v_min_u32_e32 v12, v13, v12
	s_delay_alu instid0(VALU_DEP_1) | instskip(NEXT) | instid1(VALU_DEP_1)
	v_lshlrev_b64 v[0:1], v12, v[0:1]
	v_min_u32_e32 v0, 1, v0
	s_delay_alu instid0(VALU_DEP_1) | instskip(SKIP_1) | instid1(VALU_DEP_2)
	v_or_b32_e32 v0, v1, v0
	v_sub_nc_u32_e32 v1, 32, v12
	v_cvt_f32_i32_e32 v0, v0
	s_delay_alu instid0(VALU_DEP_1)
	v_ldexp_f32 v12, v0, v1
                                        ; implicit-def: $vgpr0_vgpr1
.LBB25_3348:                            ;   in Loop: Header=BB25_17 Depth=1
	s_and_not1_saveexec_b32 s0, s0
	s_cbranch_execz .LBB25_3350
; %bb.3349:                             ;   in Loop: Header=BB25_17 Depth=1
	flat_load_b32 v0, v[0:1]
	s_waitcnt vmcnt(0) lgkmcnt(0)
	v_cvt_f32_i32_e32 v12, v0
.LBB25_3350:                            ;   in Loop: Header=BB25_17 Depth=1
	s_or_b32 exec_lo, exec_lo, s0
                                        ; implicit-def: $vgpr0_vgpr1
.LBB25_3351:                            ;   in Loop: Header=BB25_17 Depth=1
	s_and_not1_saveexec_b32 s0, s60
	s_cbranch_execz .LBB25_3353
; %bb.3352:                             ;   in Loop: Header=BB25_17 Depth=1
	flat_load_i16 v0, v[0:1]
	s_waitcnt vmcnt(0) lgkmcnt(0)
	v_cvt_f32_i32_e32 v12, v0
.LBB25_3353:                            ;   in Loop: Header=BB25_17 Depth=1
	s_or_b32 exec_lo, exec_lo, s0
                                        ; implicit-def: $vgpr0_vgpr1
                                        ; implicit-def: $vgpr13
.LBB25_3354:                            ;   in Loop: Header=BB25_17 Depth=1
	s_and_not1_saveexec_b32 s59, s59
	s_cbranch_execz .LBB25_3360
; %bb.3355:                             ;   in Loop: Header=BB25_17 Depth=1
	v_cmp_lt_i16_e64 s0, 0, v13
                                        ; implicit-def: $vgpr12
	s_delay_alu instid0(VALU_DEP_1) | instskip(NEXT) | instid1(SALU_CYCLE_1)
	s_and_saveexec_b32 s60, s0
	s_xor_b32 s0, exec_lo, s60
	s_cbranch_execz .LBB25_3357
; %bb.3356:                             ;   in Loop: Header=BB25_17 Depth=1
	flat_load_i8 v0, v[0:1]
	s_waitcnt vmcnt(0) lgkmcnt(0)
	v_cvt_f32_i32_e32 v12, v0
                                        ; implicit-def: $vgpr0_vgpr1
.LBB25_3357:                            ;   in Loop: Header=BB25_17 Depth=1
	s_and_not1_saveexec_b32 s0, s0
	s_cbranch_execz .LBB25_3359
; %bb.3358:                             ;   in Loop: Header=BB25_17 Depth=1
	flat_load_u8 v0, v[0:1]
	s_waitcnt vmcnt(0) lgkmcnt(0)
	v_cvt_f32_ubyte0_e32 v12, v0
.LBB25_3359:                            ;   in Loop: Header=BB25_17 Depth=1
	s_or_b32 exec_lo, exec_lo, s0
.LBB25_3360:                            ;   in Loop: Header=BB25_17 Depth=1
	s_delay_alu instid0(SALU_CYCLE_1)
	s_or_b32 exec_lo, exec_lo, s59
.LBB25_3361:                            ;   in Loop: Header=BB25_17 Depth=1
	s_delay_alu instid0(SALU_CYCLE_1) | instskip(NEXT) | instid1(SALU_CYCLE_1)
	s_or_b32 exec_lo, exec_lo, s58
	s_and_not1_b32 s56, s56, exec_lo
	s_and_not1_b32 s55, s55, exec_lo
	s_or_b32 s57, s57, exec_lo
	s_or_b32 exec_lo, exec_lo, s54
	s_mov_b32 s0, 0
	s_and_saveexec_b32 s54, s57
	s_cbranch_execnz .LBB25_3238
	s_branch .LBB25_3239
.LBB25_3362:                            ;   in Loop: Header=BB25_17 Depth=1
	s_mov_b32 s54, exec_lo
                                        ; implicit-def: $sgpr58
                                        ; implicit-def: $sgpr55
                                        ; implicit-def: $vgpr13
	v_cmpx_lt_i16_e32 25, v2
	s_xor_b32 s54, exec_lo, s54
	s_cbranch_execz .LBB25_3394
; %bb.3363:                             ;   in Loop: Header=BB25_17 Depth=1
	s_mov_b32 s55, exec_lo
                                        ; implicit-def: $sgpr58
                                        ; implicit-def: $sgpr59
                                        ; implicit-def: $vgpr13
	v_cmpx_lt_i16_e32 28, v2
	s_xor_b32 s55, exec_lo, s55
	s_cbranch_execz .LBB25_3379
; %bb.3364:                             ;   in Loop: Header=BB25_17 Depth=1
	s_mov_b32 s60, 0
	s_mov_b32 s57, exec_lo
                                        ; implicit-def: $sgpr58
                                        ; implicit-def: $sgpr59
                                        ; implicit-def: $vgpr13
	v_cmpx_lt_i16_e32 43, v2
	s_xor_b32 s57, exec_lo, s57
	s_cbranch_execz .LBB25_3374
; %bb.3365:                             ;   in Loop: Header=BB25_17 Depth=1
	s_mov_b32 s59, exec_lo
                                        ; implicit-def: $sgpr58
                                        ; implicit-def: $sgpr61
                                        ; implicit-def: $vgpr13
	v_cmpx_lt_i16_e32 45, v2
	s_xor_b32 s59, exec_lo, s59
	s_cbranch_execz .LBB25_3369
; %bb.3366:                             ;   in Loop: Header=BB25_17 Depth=1
	s_mov_b32 s58, 0
	s_mov_b32 s61, exec_lo
                                        ; implicit-def: $vgpr13
	v_cmpx_eq_u16_e32 46, v2
	s_cbranch_execz .LBB25_3368
; %bb.3367:                             ;   in Loop: Header=BB25_17 Depth=1
	flat_load_b32 v0, v[0:1]
	s_mov_b32 s60, exec_lo
	s_waitcnt vmcnt(0) lgkmcnt(0)
	v_lshlrev_b32_e32 v13, 16, v0
.LBB25_3368:                            ;   in Loop: Header=BB25_17 Depth=1
	s_or_b32 exec_lo, exec_lo, s61
	s_mov_b32 s61, -1
	s_and_b32 s60, s60, exec_lo
                                        ; implicit-def: $vgpr0_vgpr1
.LBB25_3369:                            ;   in Loop: Header=BB25_17 Depth=1
	s_and_not1_saveexec_b32 s59, s59
	s_cbranch_execz .LBB25_3373
; %bb.3370:                             ;   in Loop: Header=BB25_17 Depth=1
	s_mov_b32 s63, s60
	s_mov_b32 s62, exec_lo
                                        ; implicit-def: $vgpr13
	v_cmpx_eq_u16_e32 44, v2
	s_cbranch_execz .LBB25_3372
; %bb.3371:                             ;   in Loop: Header=BB25_17 Depth=1
	flat_load_u8 v0, v[0:1]
	s_or_b32 s63, s60, exec_lo
	s_waitcnt vmcnt(0) lgkmcnt(0)
	v_lshlrev_b32_e32 v1, 23, v0
	v_cmp_ne_u32_e64 s0, 0xff, v0
	s_delay_alu instid0(VALU_DEP_1) | instskip(SKIP_1) | instid1(VALU_DEP_1)
	v_cndmask_b32_e64 v1, 0x7f800001, v1, s0
	v_cmp_ne_u32_e64 s0, 0, v0
	v_cndmask_b32_e64 v13, 0x400000, v1, s0
.LBB25_3372:                            ;   in Loop: Header=BB25_17 Depth=1
	s_or_b32 exec_lo, exec_lo, s62
	s_delay_alu instid0(SALU_CYCLE_1)
	s_and_not1_b32 s0, s60, exec_lo
	s_and_b32 s60, s63, exec_lo
	s_and_not1_b32 s58, s58, exec_lo
	s_or_b32 s61, s61, exec_lo
	s_or_b32 s60, s0, s60
.LBB25_3373:                            ;   in Loop: Header=BB25_17 Depth=1
	s_or_b32 exec_lo, exec_lo, s59
	s_delay_alu instid0(SALU_CYCLE_1)
	s_and_b32 s59, s58, exec_lo
	s_and_b32 s58, s61, exec_lo
	;; [unrolled: 1-line block ×3, first 2 shown]
                                        ; implicit-def: $vgpr0_vgpr1
.LBB25_3374:                            ;   in Loop: Header=BB25_17 Depth=1
	s_and_not1_saveexec_b32 s57, s57
	s_cbranch_execz .LBB25_3378
; %bb.3375:                             ;   in Loop: Header=BB25_17 Depth=1
	s_mov_b32 s62, s60
	s_mov_b32 s61, exec_lo
                                        ; implicit-def: $vgpr13
	v_cmpx_eq_u16_e32 29, v2
	s_cbranch_execz .LBB25_3377
; %bb.3376:                             ;   in Loop: Header=BB25_17 Depth=1
	flat_load_b64 v[0:1], v[0:1]
	s_or_b32 s62, s60, exec_lo
	s_waitcnt vmcnt(0) lgkmcnt(0)
	v_clz_i32_u32_e32 v8, v1
	s_delay_alu instid0(VALU_DEP_1) | instskip(NEXT) | instid1(VALU_DEP_1)
	v_min_u32_e32 v8, 32, v8
	v_lshlrev_b64 v[0:1], v8, v[0:1]
	s_delay_alu instid0(VALU_DEP_1) | instskip(NEXT) | instid1(VALU_DEP_1)
	v_min_u32_e32 v0, 1, v0
	v_or_b32_e32 v0, v1, v0
	v_sub_nc_u32_e32 v1, 32, v8
	s_delay_alu instid0(VALU_DEP_2) | instskip(NEXT) | instid1(VALU_DEP_1)
	v_cvt_f32_u32_e32 v0, v0
	v_ldexp_f32 v13, v0, v1
.LBB25_3377:                            ;   in Loop: Header=BB25_17 Depth=1
	s_or_b32 exec_lo, exec_lo, s61
	s_delay_alu instid0(SALU_CYCLE_1)
	s_and_not1_b32 s0, s60, exec_lo
	s_and_b32 s60, s62, exec_lo
	s_and_not1_b32 s59, s59, exec_lo
	s_or_b32 s58, s58, exec_lo
	s_or_b32 s60, s0, s60
.LBB25_3378:                            ;   in Loop: Header=BB25_17 Depth=1
	s_or_b32 exec_lo, exec_lo, s57
	s_delay_alu instid0(SALU_CYCLE_1)
	s_and_b32 s59, s59, exec_lo
	s_and_b32 s58, s58, exec_lo
	;; [unrolled: 1-line block ×3, first 2 shown]
                                        ; implicit-def: $vgpr0_vgpr1
.LBB25_3379:                            ;   in Loop: Header=BB25_17 Depth=1
	s_and_not1_saveexec_b32 s55, s55
	s_cbranch_execz .LBB25_3393
; %bb.3380:                             ;   in Loop: Header=BB25_17 Depth=1
	s_mov_b32 s60, exec_lo
                                        ; implicit-def: $vgpr13
	v_cmpx_lt_i16_e32 26, v2
	s_xor_b32 s60, exec_lo, s60
	s_cbranch_execz .LBB25_3386
; %bb.3381:                             ;   in Loop: Header=BB25_17 Depth=1
	v_cmp_lt_i16_e64 s0, 27, v2
                                        ; implicit-def: $vgpr13
	s_delay_alu instid0(VALU_DEP_1) | instskip(NEXT) | instid1(SALU_CYCLE_1)
	s_and_saveexec_b32 s61, s0
	s_xor_b32 s0, exec_lo, s61
	s_cbranch_execz .LBB25_3383
; %bb.3382:                             ;   in Loop: Header=BB25_17 Depth=1
	flat_load_b32 v0, v[0:1]
	s_waitcnt vmcnt(0) lgkmcnt(0)
	v_cvt_f32_u32_e32 v13, v0
                                        ; implicit-def: $vgpr0_vgpr1
.LBB25_3383:                            ;   in Loop: Header=BB25_17 Depth=1
	s_and_not1_saveexec_b32 s0, s0
	s_cbranch_execz .LBB25_3385
; %bb.3384:                             ;   in Loop: Header=BB25_17 Depth=1
	flat_load_u16 v0, v[0:1]
	s_waitcnt vmcnt(0) lgkmcnt(0)
	v_cvt_f32_u32_e32 v13, v0
.LBB25_3385:                            ;   in Loop: Header=BB25_17 Depth=1
	s_or_b32 exec_lo, exec_lo, s0
                                        ; implicit-def: $vgpr0_vgpr1
.LBB25_3386:                            ;   in Loop: Header=BB25_17 Depth=1
	s_and_not1_saveexec_b32 s60, s60
	s_cbranch_execz .LBB25_3392
; %bb.3387:                             ;   in Loop: Header=BB25_17 Depth=1
	flat_load_u8 v0, v[0:1]
	s_mov_b32 s61, 0
	s_mov_b32 s63, exec_lo
                                        ; implicit-def: $sgpr62
	s_waitcnt vmcnt(0) lgkmcnt(0)
	v_cmpx_lt_i16_e32 0x7f, v0
	s_xor_b32 s63, exec_lo, s63
	s_cbranch_execnz .LBB25_3630
; %bb.3388:                             ;   in Loop: Header=BB25_17 Depth=1
	s_or_saveexec_b32 s63, s63
	v_mov_b32_e32 v13, s62
	s_xor_b32 exec_lo, exec_lo, s63
	s_cbranch_execnz .LBB25_3633
.LBB25_3389:                            ;   in Loop: Header=BB25_17 Depth=1
	s_or_b32 exec_lo, exec_lo, s63
	s_and_saveexec_b32 s62, s61
	s_cbranch_execz .LBB25_3391
.LBB25_3390:                            ;   in Loop: Header=BB25_17 Depth=1
	v_and_b32_e32 v1, 0xffff, v0
	v_lshlrev_b32_e32 v0, 24, v0
	s_delay_alu instid0(VALU_DEP_2) | instskip(NEXT) | instid1(VALU_DEP_2)
	v_and_b32_e32 v8, 7, v1
	v_and_b32_e32 v0, 0x80000000, v0
	s_delay_alu instid0(VALU_DEP_2) | instskip(NEXT) | instid1(VALU_DEP_1)
	v_clz_i32_u32_e32 v13, v8
	v_min_u32_e32 v13, 32, v13
	s_delay_alu instid0(VALU_DEP_1) | instskip(SKIP_1) | instid1(VALU_DEP_2)
	v_subrev_nc_u32_e32 v14, 28, v13
	v_sub_nc_u32_e32 v13, 29, v13
	v_lshlrev_b32_e32 v14, v14, v1
	v_bfe_u32 v1, v1, 3, 4
	s_delay_alu instid0(VALU_DEP_2) | instskip(NEXT) | instid1(VALU_DEP_2)
	v_and_b32_e32 v14, 7, v14
	v_cmp_eq_u32_e64 s0, 0, v1
	s_delay_alu instid0(VALU_DEP_1) | instskip(NEXT) | instid1(VALU_DEP_3)
	v_cndmask_b32_e64 v1, v1, v13, s0
	v_cndmask_b32_e64 v8, v8, v14, s0
	s_delay_alu instid0(VALU_DEP_2) | instskip(NEXT) | instid1(VALU_DEP_2)
	v_lshl_add_u32 v1, v1, 23, 0x3b800000
	v_lshlrev_b32_e32 v8, 20, v8
	s_delay_alu instid0(VALU_DEP_1)
	v_or3_b32 v13, v0, v1, v8
.LBB25_3391:                            ;   in Loop: Header=BB25_17 Depth=1
	s_or_b32 exec_lo, exec_lo, s62
.LBB25_3392:                            ;   in Loop: Header=BB25_17 Depth=1
	s_delay_alu instid0(SALU_CYCLE_1) | instskip(NEXT) | instid1(SALU_CYCLE_1)
	s_or_b32 exec_lo, exec_lo, s60
	s_and_not1_b32 s59, s59, exec_lo
	s_and_not1_b32 s58, s58, exec_lo
	s_or_b32 s57, s57, exec_lo
.LBB25_3393:                            ;   in Loop: Header=BB25_17 Depth=1
	s_or_b32 exec_lo, exec_lo, s55
	s_delay_alu instid0(SALU_CYCLE_1)
	s_and_b32 s55, s59, exec_lo
	s_and_b32 s58, s58, exec_lo
	;; [unrolled: 1-line block ×3, first 2 shown]
                                        ; implicit-def: $vgpr0_vgpr1
.LBB25_3394:                            ;   in Loop: Header=BB25_17 Depth=1
	s_and_not1_saveexec_b32 s54, s54
	s_cbranch_execz .LBB25_3420
; %bb.3395:                             ;   in Loop: Header=BB25_17 Depth=1
	s_mov_b32 s60, s57
	s_mov_b32 s59, exec_lo
                                        ; implicit-def: $vgpr13
	v_cmpx_lt_i16_e32 22, v2
	s_xor_b32 s59, exec_lo, s59
	s_cbranch_execz .LBB25_3409
; %bb.3396:                             ;   in Loop: Header=BB25_17 Depth=1
	s_mov_b32 s60, exec_lo
                                        ; implicit-def: $vgpr13
	v_cmpx_lt_i16_e32 23, v2
	s_xor_b32 s60, exec_lo, s60
	s_cbranch_execz .LBB25_3406
; %bb.3397:                             ;   in Loop: Header=BB25_17 Depth=1
	;; [unrolled: 6-line block ×3, first 2 shown]
	flat_load_u8 v0, v[0:1]
	s_mov_b32 s62, 0
	s_mov_b32 s64, exec_lo
                                        ; implicit-def: $sgpr63
	s_waitcnt vmcnt(0) lgkmcnt(0)
	v_cmpx_lt_i16_e32 0x7f, v0
	s_xor_b32 s64, exec_lo, s64
	s_cbranch_execnz .LBB25_3638
; %bb.3399:                             ;   in Loop: Header=BB25_17 Depth=1
	s_or_saveexec_b32 s64, s64
	v_mov_b32_e32 v13, s63
	s_xor_b32 exec_lo, exec_lo, s64
	s_cbranch_execnz .LBB25_3641
.LBB25_3400:                            ;   in Loop: Header=BB25_17 Depth=1
	s_or_b32 exec_lo, exec_lo, s64
	s_and_saveexec_b32 s63, s62
	s_cbranch_execz .LBB25_3402
.LBB25_3401:                            ;   in Loop: Header=BB25_17 Depth=1
	v_and_b32_e32 v1, 0xffff, v0
	v_lshlrev_b32_e32 v0, 24, v0
	s_delay_alu instid0(VALU_DEP_2) | instskip(NEXT) | instid1(VALU_DEP_2)
	v_and_b32_e32 v8, 3, v1
	v_and_b32_e32 v0, 0x80000000, v0
	s_delay_alu instid0(VALU_DEP_2) | instskip(NEXT) | instid1(VALU_DEP_1)
	v_clz_i32_u32_e32 v13, v8
	v_min_u32_e32 v13, 32, v13
	s_delay_alu instid0(VALU_DEP_1) | instskip(SKIP_1) | instid1(VALU_DEP_2)
	v_subrev_nc_u32_e32 v14, 29, v13
	v_sub_nc_u32_e32 v13, 30, v13
	v_lshlrev_b32_e32 v14, v14, v1
	v_bfe_u32 v1, v1, 2, 5
	s_delay_alu instid0(VALU_DEP_2) | instskip(NEXT) | instid1(VALU_DEP_2)
	v_and_b32_e32 v14, 3, v14
	v_cmp_eq_u32_e64 s0, 0, v1
	s_delay_alu instid0(VALU_DEP_1) | instskip(NEXT) | instid1(VALU_DEP_3)
	v_cndmask_b32_e64 v1, v1, v13, s0
	v_cndmask_b32_e64 v8, v8, v14, s0
	s_delay_alu instid0(VALU_DEP_2) | instskip(NEXT) | instid1(VALU_DEP_2)
	v_lshl_add_u32 v1, v1, 23, 0x37800000
	v_lshlrev_b32_e32 v8, 21, v8
	s_delay_alu instid0(VALU_DEP_1)
	v_or3_b32 v13, v0, v1, v8
.LBB25_3402:                            ;   in Loop: Header=BB25_17 Depth=1
	s_or_b32 exec_lo, exec_lo, s63
                                        ; implicit-def: $vgpr0_vgpr1
.LBB25_3403:                            ;   in Loop: Header=BB25_17 Depth=1
	s_and_not1_saveexec_b32 s61, s61
	s_cbranch_execz .LBB25_3405
; %bb.3404:                             ;   in Loop: Header=BB25_17 Depth=1
	flat_load_u8 v0, v[0:1]
	s_waitcnt vmcnt(0) lgkmcnt(0)
	v_lshlrev_b32_e32 v0, 24, v0
	s_delay_alu instid0(VALU_DEP_1) | instskip(NEXT) | instid1(VALU_DEP_1)
	v_and_b32_e32 v1, 0x7f000000, v0
	v_clz_i32_u32_e32 v8, v1
	v_add_nc_u32_e32 v14, 0x1000000, v1
	v_cmp_ne_u32_e64 s0, 0, v1
	s_delay_alu instid0(VALU_DEP_3) | instskip(NEXT) | instid1(VALU_DEP_1)
	v_min_u32_e32 v8, 32, v8
	v_sub_nc_u32_e64 v8, v8, 4 clamp
	s_delay_alu instid0(VALU_DEP_1) | instskip(SKIP_1) | instid1(VALU_DEP_2)
	v_lshlrev_b32_e32 v13, v8, v1
	v_lshlrev_b32_e32 v8, 23, v8
	v_lshrrev_b32_e32 v13, 4, v13
	s_delay_alu instid0(VALU_DEP_1) | instskip(SKIP_1) | instid1(VALU_DEP_2)
	v_sub_nc_u32_e32 v8, v13, v8
	v_ashrrev_i32_e32 v13, 8, v14
	v_add_nc_u32_e32 v8, 0x3c000000, v8
	s_delay_alu instid0(VALU_DEP_1) | instskip(NEXT) | instid1(VALU_DEP_1)
	v_and_or_b32 v8, 0x7f800000, v13, v8
	v_cndmask_b32_e64 v1, 0, v8, s0
	s_delay_alu instid0(VALU_DEP_1)
	v_and_or_b32 v13, 0x80000000, v0, v1
.LBB25_3405:                            ;   in Loop: Header=BB25_17 Depth=1
	s_or_b32 exec_lo, exec_lo, s61
                                        ; implicit-def: $vgpr0_vgpr1
.LBB25_3406:                            ;   in Loop: Header=BB25_17 Depth=1
	s_and_not1_saveexec_b32 s60, s60
	s_cbranch_execz .LBB25_3408
; %bb.3407:                             ;   in Loop: Header=BB25_17 Depth=1
	flat_load_u8 v0, v[0:1]
	s_waitcnt vmcnt(0) lgkmcnt(0)
	v_lshlrev_b32_e32 v1, 25, v0
	v_lshlrev_b16 v0, 8, v0
	s_delay_alu instid0(VALU_DEP_2) | instskip(NEXT) | instid1(VALU_DEP_2)
	v_lshrrev_b32_e32 v8, 4, v1
	v_and_or_b32 v13, 0x7f00, v0, 0.5
	v_cmp_gt_u32_e64 s0, 0x8000000, v1
	v_bfe_i32 v0, v0, 0, 16
	s_delay_alu instid0(VALU_DEP_4) | instskip(NEXT) | instid1(VALU_DEP_1)
	v_or_b32_e32 v8, 0x70000000, v8
	v_dual_add_f32 v13, -0.5, v13 :: v_dual_mul_f32 v8, 0x7800000, v8
	s_delay_alu instid0(VALU_DEP_1) | instskip(NEXT) | instid1(VALU_DEP_1)
	v_cndmask_b32_e64 v1, v8, v13, s0
	v_and_or_b32 v13, 0x80000000, v0, v1
.LBB25_3408:                            ;   in Loop: Header=BB25_17 Depth=1
	s_or_b32 exec_lo, exec_lo, s60
	s_delay_alu instid0(SALU_CYCLE_1)
	s_or_b32 s60, s57, exec_lo
                                        ; implicit-def: $vgpr0_vgpr1
.LBB25_3409:                            ;   in Loop: Header=BB25_17 Depth=1
	s_or_saveexec_b32 s59, s59
                                        ; implicit-def: $sgpr61
                                        ; implicit-def: $sgpr0
	s_delay_alu instid0(SALU_CYCLE_1)
	s_xor_b32 exec_lo, exec_lo, s59
	s_cbranch_execz .LBB25_3419
; %bb.3410:                             ;   in Loop: Header=BB25_17 Depth=1
	s_mov_b32 s62, s60
	s_mov_b32 s64, exec_lo
                                        ; implicit-def: $sgpr63
                                        ; implicit-def: $sgpr61
                                        ; implicit-def: $vgpr13
	v_cmpx_lt_i16_e32 14, v2
	s_xor_b32 s64, exec_lo, s64
	s_cbranch_execz .LBB25_3414
; %bb.3411:                             ;   in Loop: Header=BB25_17 Depth=1
	s_mov_b32 s62, s60
	s_mov_b32 s61, exec_lo
                                        ; implicit-def: $vgpr13
	v_cmpx_eq_u16_e32 15, v2
	s_cbranch_execz .LBB25_3413
; %bb.3412:                             ;   in Loop: Header=BB25_17 Depth=1
	flat_load_u16 v0, v[0:1]
	s_or_b32 s62, s60, exec_lo
	s_waitcnt vmcnt(0) lgkmcnt(0)
	v_lshlrev_b32_e32 v13, 16, v0
.LBB25_3413:                            ;   in Loop: Header=BB25_17 Depth=1
	s_or_b32 exec_lo, exec_lo, s61
	s_delay_alu instid0(SALU_CYCLE_1)
	s_and_not1_b32 s0, s60, exec_lo
	s_and_b32 s62, s62, exec_lo
	s_mov_b32 s61, -1
	s_mov_b32 s63, 0
	s_or_b32 s62, s0, s62
                                        ; implicit-def: $vgpr0_vgpr1
.LBB25_3414:                            ;   in Loop: Header=BB25_17 Depth=1
	s_and_not1_saveexec_b32 s64, s64
	s_cbranch_execz .LBB25_3418
; %bb.3415:                             ;   in Loop: Header=BB25_17 Depth=1
	s_mov_b32 s65, s62
	s_mov_b32 s66, exec_lo
                                        ; implicit-def: $vgpr13
	v_cmpx_eq_u16_e32 11, v2
	s_cbranch_execz .LBB25_3417
; %bb.3416:                             ;   in Loop: Header=BB25_17 Depth=1
	flat_load_u8 v0, v[0:1]
	s_or_b32 s65, s62, exec_lo
	s_waitcnt vmcnt(0) lgkmcnt(0)
	v_cmp_ne_u16_e64 s0, 0, v0
	s_delay_alu instid0(VALU_DEP_1)
	v_cndmask_b32_e64 v13, 0, 1.0, s0
.LBB25_3417:                            ;   in Loop: Header=BB25_17 Depth=1
	s_or_b32 exec_lo, exec_lo, s66
	s_delay_alu instid0(SALU_CYCLE_1)
	s_and_not1_b32 s0, s62, exec_lo
	s_and_b32 s62, s65, exec_lo
	s_and_not1_b32 s63, s63, exec_lo
	s_or_b32 s61, s61, exec_lo
	s_or_b32 s62, s0, s62
.LBB25_3418:                            ;   in Loop: Header=BB25_17 Depth=1
	s_or_b32 exec_lo, exec_lo, s64
	s_delay_alu instid0(SALU_CYCLE_1)
	s_and_not1_b32 s60, s60, exec_lo
	s_and_b32 s62, s62, exec_lo
	s_and_b32 s0, s63, exec_lo
	s_and_b32 s61, s61, exec_lo
	s_or_b32 s60, s60, s62
.LBB25_3419:                            ;   in Loop: Header=BB25_17 Depth=1
	s_or_b32 exec_lo, exec_lo, s59
	s_delay_alu instid0(SALU_CYCLE_1)
	s_and_not1_b32 s55, s55, exec_lo
	s_and_b32 s0, s0, exec_lo
	s_and_not1_b32 s57, s57, exec_lo
	s_or_b32 s55, s55, s0
	s_and_not1_b32 s0, s58, exec_lo
	s_and_b32 s58, s61, exec_lo
	s_and_b32 s59, s60, exec_lo
	s_or_b32 s58, s0, s58
	s_or_b32 s57, s57, s59
.LBB25_3420:                            ;   in Loop: Header=BB25_17 Depth=1
	s_or_b32 exec_lo, exec_lo, s54
	s_delay_alu instid0(SALU_CYCLE_1)
	s_and_b32 s55, s55, exec_lo
	s_and_b32 s54, s58, exec_lo
	;; [unrolled: 1-line block ×3, first 2 shown]
                                        ; implicit-def: $vgpr0_vgpr1
	s_and_not1_saveexec_b32 s56, s56
	s_cbranch_execz .LBB25_3245
.LBB25_3421:                            ;   in Loop: Header=BB25_17 Depth=1
	s_mov_b32 s58, exec_lo
                                        ; implicit-def: $vgpr13
	v_cmpx_lt_i16_e32 4, v2
	s_xor_b32 s58, exec_lo, s58
	s_cbranch_execz .LBB25_3443
; %bb.3422:                             ;   in Loop: Header=BB25_17 Depth=1
	s_mov_b32 s59, exec_lo
                                        ; implicit-def: $vgpr13
	v_cmpx_lt_i16_e32 7, v2
	s_xor_b32 s59, exec_lo, s59
	s_cbranch_execz .LBB25_3432
; %bb.3423:                             ;   in Loop: Header=BB25_17 Depth=1
	;; [unrolled: 6-line block ×3, first 2 shown]
	v_cmp_lt_i16_e64 s0, 9, v2
                                        ; implicit-def: $vgpr13
	s_delay_alu instid0(VALU_DEP_1) | instskip(NEXT) | instid1(SALU_CYCLE_1)
	s_and_saveexec_b32 s61, s0
	s_xor_b32 s0, exec_lo, s61
	s_cbranch_execz .LBB25_3426
; %bb.3425:                             ;   in Loop: Header=BB25_17 Depth=1
	flat_load_b64 v[0:1], v[0:1]
	s_waitcnt vmcnt(0) lgkmcnt(0)
	v_cvt_f32_f64_e32 v13, v[0:1]
                                        ; implicit-def: $vgpr0_vgpr1
.LBB25_3426:                            ;   in Loop: Header=BB25_17 Depth=1
	s_and_not1_saveexec_b32 s0, s0
	s_cbranch_execz .LBB25_3428
; %bb.3427:                             ;   in Loop: Header=BB25_17 Depth=1
	flat_load_b32 v13, v[0:1]
.LBB25_3428:                            ;   in Loop: Header=BB25_17 Depth=1
	s_or_b32 exec_lo, exec_lo, s0
                                        ; implicit-def: $vgpr0_vgpr1
.LBB25_3429:                            ;   in Loop: Header=BB25_17 Depth=1
	s_and_not1_saveexec_b32 s0, s60
	s_cbranch_execz .LBB25_3431
; %bb.3430:                             ;   in Loop: Header=BB25_17 Depth=1
	flat_load_b32 v0, v[0:1]
	s_waitcnt vmcnt(0) lgkmcnt(0)
	v_cvt_f32_f16_e32 v13, v0
.LBB25_3431:                            ;   in Loop: Header=BB25_17 Depth=1
	s_or_b32 exec_lo, exec_lo, s0
                                        ; implicit-def: $vgpr0_vgpr1
.LBB25_3432:                            ;   in Loop: Header=BB25_17 Depth=1
	s_and_not1_saveexec_b32 s59, s59
	s_cbranch_execz .LBB25_3442
; %bb.3433:                             ;   in Loop: Header=BB25_17 Depth=1
	s_mov_b32 s60, exec_lo
                                        ; implicit-def: $vgpr13
	v_cmpx_lt_i16_e32 5, v2
	s_xor_b32 s60, exec_lo, s60
	s_cbranch_execz .LBB25_3439
; %bb.3434:                             ;   in Loop: Header=BB25_17 Depth=1
	v_cmp_lt_i16_e64 s0, 6, v2
                                        ; implicit-def: $vgpr13
	s_delay_alu instid0(VALU_DEP_1) | instskip(NEXT) | instid1(SALU_CYCLE_1)
	s_and_saveexec_b32 s61, s0
	s_xor_b32 s0, exec_lo, s61
	s_cbranch_execz .LBB25_3436
; %bb.3435:                             ;   in Loop: Header=BB25_17 Depth=1
	flat_load_b64 v[0:1], v[0:1]
	s_waitcnt vmcnt(0) lgkmcnt(0)
	v_cvt_f32_f64_e32 v13, v[0:1]
                                        ; implicit-def: $vgpr0_vgpr1
.LBB25_3436:                            ;   in Loop: Header=BB25_17 Depth=1
	s_and_not1_saveexec_b32 s0, s0
	s_cbranch_execz .LBB25_3438
; %bb.3437:                             ;   in Loop: Header=BB25_17 Depth=1
	s_waitcnt vmcnt(0) lgkmcnt(0)
	flat_load_b32 v13, v[0:1]
.LBB25_3438:                            ;   in Loop: Header=BB25_17 Depth=1
	s_or_b32 exec_lo, exec_lo, s0
                                        ; implicit-def: $vgpr0_vgpr1
.LBB25_3439:                            ;   in Loop: Header=BB25_17 Depth=1
	s_and_not1_saveexec_b32 s0, s60
	s_cbranch_execz .LBB25_3441
; %bb.3440:                             ;   in Loop: Header=BB25_17 Depth=1
	flat_load_u16 v0, v[0:1]
	s_waitcnt vmcnt(0) lgkmcnt(0)
	v_cvt_f32_f16_e32 v13, v0
.LBB25_3441:                            ;   in Loop: Header=BB25_17 Depth=1
	s_or_b32 exec_lo, exec_lo, s0
.LBB25_3442:                            ;   in Loop: Header=BB25_17 Depth=1
	s_delay_alu instid0(SALU_CYCLE_1)
	s_or_b32 exec_lo, exec_lo, s59
                                        ; implicit-def: $vgpr0_vgpr1
.LBB25_3443:                            ;   in Loop: Header=BB25_17 Depth=1
	s_and_not1_saveexec_b32 s58, s58
	s_cbranch_execz .LBB25_3461
; %bb.3444:                             ;   in Loop: Header=BB25_17 Depth=1
	s_mov_b32 s59, exec_lo
                                        ; implicit-def: $vgpr13
	v_cmpx_lt_i16_e32 1, v2
	s_xor_b32 s59, exec_lo, s59
	s_cbranch_execz .LBB25_3454
; %bb.3445:                             ;   in Loop: Header=BB25_17 Depth=1
	s_mov_b32 s60, exec_lo
                                        ; implicit-def: $vgpr13
	v_cmpx_lt_i16_e32 2, v2
	s_xor_b32 s60, exec_lo, s60
	s_cbranch_execz .LBB25_3451
; %bb.3446:                             ;   in Loop: Header=BB25_17 Depth=1
	v_cmp_lt_i16_e64 s0, 3, v2
                                        ; implicit-def: $vgpr13
	s_delay_alu instid0(VALU_DEP_1) | instskip(NEXT) | instid1(SALU_CYCLE_1)
	s_and_saveexec_b32 s61, s0
	s_xor_b32 s0, exec_lo, s61
	s_cbranch_execz .LBB25_3448
; %bb.3447:                             ;   in Loop: Header=BB25_17 Depth=1
	flat_load_b64 v[0:1], v[0:1]
	s_waitcnt vmcnt(0) lgkmcnt(0)
	v_xor_b32_e32 v8, v0, v1
	v_cls_i32_e32 v13, v1
	s_delay_alu instid0(VALU_DEP_2) | instskip(NEXT) | instid1(VALU_DEP_2)
	v_ashrrev_i32_e32 v8, 31, v8
	v_add_nc_u32_e32 v13, -1, v13
	s_delay_alu instid0(VALU_DEP_2) | instskip(NEXT) | instid1(VALU_DEP_1)
	v_add_nc_u32_e32 v8, 32, v8
	v_min_u32_e32 v8, v13, v8
	s_delay_alu instid0(VALU_DEP_1) | instskip(NEXT) | instid1(VALU_DEP_1)
	v_lshlrev_b64 v[0:1], v8, v[0:1]
	v_min_u32_e32 v0, 1, v0
	s_delay_alu instid0(VALU_DEP_1) | instskip(SKIP_1) | instid1(VALU_DEP_2)
	v_or_b32_e32 v0, v1, v0
	v_sub_nc_u32_e32 v1, 32, v8
	v_cvt_f32_i32_e32 v0, v0
	s_delay_alu instid0(VALU_DEP_1)
	v_ldexp_f32 v13, v0, v1
                                        ; implicit-def: $vgpr0_vgpr1
.LBB25_3448:                            ;   in Loop: Header=BB25_17 Depth=1
	s_and_not1_saveexec_b32 s0, s0
	s_cbranch_execz .LBB25_3450
; %bb.3449:                             ;   in Loop: Header=BB25_17 Depth=1
	flat_load_b32 v0, v[0:1]
	s_waitcnt vmcnt(0) lgkmcnt(0)
	v_cvt_f32_i32_e32 v13, v0
.LBB25_3450:                            ;   in Loop: Header=BB25_17 Depth=1
	s_or_b32 exec_lo, exec_lo, s0
                                        ; implicit-def: $vgpr0_vgpr1
.LBB25_3451:                            ;   in Loop: Header=BB25_17 Depth=1
	s_and_not1_saveexec_b32 s0, s60
	s_cbranch_execz .LBB25_3453
; %bb.3452:                             ;   in Loop: Header=BB25_17 Depth=1
	flat_load_i16 v0, v[0:1]
	s_waitcnt vmcnt(0) lgkmcnt(0)
	v_cvt_f32_i32_e32 v13, v0
.LBB25_3453:                            ;   in Loop: Header=BB25_17 Depth=1
	s_or_b32 exec_lo, exec_lo, s0
                                        ; implicit-def: $vgpr0_vgpr1
.LBB25_3454:                            ;   in Loop: Header=BB25_17 Depth=1
	s_and_not1_saveexec_b32 s59, s59
	s_cbranch_execz .LBB25_3460
; %bb.3455:                             ;   in Loop: Header=BB25_17 Depth=1
	v_cmp_lt_i16_e64 s0, 0, v2
                                        ; implicit-def: $vgpr13
	s_delay_alu instid0(VALU_DEP_1) | instskip(NEXT) | instid1(SALU_CYCLE_1)
	s_and_saveexec_b32 s60, s0
	s_xor_b32 s0, exec_lo, s60
	s_cbranch_execz .LBB25_3457
; %bb.3456:                             ;   in Loop: Header=BB25_17 Depth=1
	flat_load_i8 v0, v[0:1]
	s_waitcnt vmcnt(0) lgkmcnt(0)
	v_cvt_f32_i32_e32 v13, v0
                                        ; implicit-def: $vgpr0_vgpr1
.LBB25_3457:                            ;   in Loop: Header=BB25_17 Depth=1
	s_and_not1_saveexec_b32 s0, s0
	s_cbranch_execz .LBB25_3459
; %bb.3458:                             ;   in Loop: Header=BB25_17 Depth=1
	flat_load_u8 v0, v[0:1]
	s_waitcnt vmcnt(0) lgkmcnt(0)
	v_cvt_f32_ubyte0_e32 v13, v0
.LBB25_3459:                            ;   in Loop: Header=BB25_17 Depth=1
	s_or_b32 exec_lo, exec_lo, s0
.LBB25_3460:                            ;   in Loop: Header=BB25_17 Depth=1
	s_delay_alu instid0(SALU_CYCLE_1)
	s_or_b32 exec_lo, exec_lo, s59
.LBB25_3461:                            ;   in Loop: Header=BB25_17 Depth=1
	s_delay_alu instid0(SALU_CYCLE_1) | instskip(NEXT) | instid1(SALU_CYCLE_1)
	s_or_b32 exec_lo, exec_lo, s58
	s_and_not1_b32 s55, s55, exec_lo
	s_and_not1_b32 s54, s54, exec_lo
	s_or_b32 s57, s57, exec_lo
	s_or_b32 exec_lo, exec_lo, s56
	s_mov_b32 s0, 0
	s_and_saveexec_b32 s56, s57
	s_cbranch_execz .LBB25_3467
.LBB25_3462:                            ;   in Loop: Header=BB25_17 Depth=1
	s_add_i32 s0, s33, 16
	s_mov_b32 s60, 0
	v_add_nc_u32_e64 v8, s1, s0
	s_mov_b32 s57, exec_lo
                                        ; implicit-def: $sgpr58
                                        ; implicit-def: $sgpr59
	s_delay_alu instid0(VALU_DEP_1) | instskip(SKIP_4) | instid1(VALU_DEP_2)
	v_add_nc_u32_e32 v0, 0x7c, v8
	s_waitcnt vmcnt(0) lgkmcnt(0)
	scratch_store_b32 v0, v13, off
	v_mul_lo_u32 v0, v12, v11
	v_and_b32_e32 v13, 0xff, v9
                                        ; implicit-def: $vgpr12
	v_add_co_u32 v0, s0, v5, v0
	s_delay_alu instid0(VALU_DEP_1) | instskip(NEXT) | instid1(VALU_DEP_3)
	v_add_co_ci_u32_e64 v1, s0, 0, v6, s0
	v_cmpx_lt_i16_e32 10, v13
	s_xor_b32 s57, exec_lo, s57
	s_cbranch_execnz .LBB25_3486
; %bb.3463:                             ;   in Loop: Header=BB25_17 Depth=1
	s_and_not1_saveexec_b32 s57, s57
	s_cbranch_execnz .LBB25_3545
.LBB25_3464:                            ;   in Loop: Header=BB25_17 Depth=1
	s_or_b32 exec_lo, exec_lo, s57
	s_mov_b32 s0, 0
	s_and_saveexec_b32 s57, s60
	s_cbranch_execz .LBB25_3466
.LBB25_3465:                            ;   in Loop: Header=BB25_17 Depth=1
	v_add_nc_u32_e32 v0, 0x78, v8
	v_add_nc_u32_e32 v7, 0x200, v7
	s_mov_b32 s0, exec_lo
	s_and_not1_b32 s59, s59, exec_lo
	s_and_not1_b32 s58, s58, exec_lo
	s_waitcnt vmcnt(0) lgkmcnt(0)
	scratch_store_b32 v0, v12, off
.LBB25_3466:                            ;   in Loop: Header=BB25_17 Depth=1
	s_or_b32 exec_lo, exec_lo, s57
	s_delay_alu instid0(SALU_CYCLE_1)
	s_and_not1_b32 s55, s55, exec_lo
	s_and_b32 s57, s59, exec_lo
	s_and_not1_b32 s54, s54, exec_lo
	s_and_b32 s58, s58, exec_lo
	s_or_b32 s55, s55, s57
	s_or_b32 s54, s54, s58
	s_and_b32 s0, s0, exec_lo
.LBB25_3467:                            ;   in Loop: Header=BB25_17 Depth=1
	s_or_b32 exec_lo, exec_lo, s56
	s_delay_alu instid0(SALU_CYCLE_1)
	s_and_b32 s55, s55, exec_lo
	s_and_b32 s54, s54, exec_lo
	s_or_not1_b32 s56, s0, exec_lo
.LBB25_3468:                            ;   in Loop: Header=BB25_17 Depth=1
	s_or_b32 exec_lo, exec_lo, s53
	s_and_saveexec_b32 s0, s56
	s_cbranch_execz .LBB25_1
; %bb.3469:                             ;   in Loop: Header=BB25_17 Depth=1
	s_addk_i32 s1, 0x80
	s_delay_alu instid0(SALU_CYCLE_1)
	s_cmpk_eq_i32 s1, 0x100
	s_cselect_b32 s52, -1, 0
	s_and_not1_b32 s55, s55, exec_lo
	s_and_not1_b32 s54, s54, exec_lo
	s_or_not1_b32 s52, s52, exec_lo
	s_branch .LBB25_1
.LBB25_3470:                            ;   in Loop: Header=BB25_17 Depth=1
	s_mov_b32 s50, -1
	s_mov_b32 s53, exec_lo
                                        ; implicit-def: $sgpr51
	v_cmpx_eq_u16_e32 0x80, v0
; %bb.3471:                             ;   in Loop: Header=BB25_17 Depth=1
	s_mov_b32 s51, 0x7f800001
	s_xor_b32 s50, exec_lo, -1
; %bb.3472:                             ;   in Loop: Header=BB25_17 Depth=1
	s_or_b32 exec_lo, exec_lo, s53
	s_delay_alu instid0(SALU_CYCLE_1)
	s_and_b32 s50, s50, exec_lo
	s_or_saveexec_b32 s52, s52
	v_mov_b32_e32 v12, s51
	s_xor_b32 exec_lo, exec_lo, s52
	s_cbranch_execz .LBB25_2392
.LBB25_3473:                            ;   in Loop: Header=BB25_17 Depth=1
	v_cmp_ne_u16_e64 s0, 0, v0
	v_mov_b32_e32 v12, 0
	s_and_not1_b32 s50, s50, exec_lo
	s_delay_alu instid0(VALU_DEP_2) | instskip(NEXT) | instid1(SALU_CYCLE_1)
	s_and_b32 s0, s0, exec_lo
	s_or_b32 s50, s50, s0
	s_or_b32 exec_lo, exec_lo, s52
	s_and_saveexec_b32 s51, s50
	s_cbranch_execnz .LBB25_2393
	s_branch .LBB25_2394
.LBB25_3474:                            ;   in Loop: Header=BB25_17 Depth=1
	s_mov_b32 s50, -1
	s_mov_b32 s53, exec_lo
                                        ; implicit-def: $sgpr51
	v_cmpx_eq_u16_e32 0x80, v0
; %bb.3475:                             ;   in Loop: Header=BB25_17 Depth=1
	s_mov_b32 s51, 0x7f800001
	s_xor_b32 s50, exec_lo, -1
; %bb.3476:                             ;   in Loop: Header=BB25_17 Depth=1
	s_or_b32 exec_lo, exec_lo, s53
	s_delay_alu instid0(SALU_CYCLE_1)
	s_and_b32 s50, s50, exec_lo
	s_or_saveexec_b32 s52, s52
	v_mov_b32_e32 v13, s51
	s_xor_b32 exec_lo, exec_lo, s52
	s_cbranch_execz .LBB25_2492
.LBB25_3477:                            ;   in Loop: Header=BB25_17 Depth=1
	v_cmp_ne_u16_e64 s0, 0, v0
	v_mov_b32_e32 v13, 0
	s_and_not1_b32 s50, s50, exec_lo
	s_delay_alu instid0(VALU_DEP_2) | instskip(NEXT) | instid1(SALU_CYCLE_1)
	s_and_b32 s0, s0, exec_lo
	s_or_b32 s50, s50, s0
	s_or_b32 exec_lo, exec_lo, s52
	s_and_saveexec_b32 s51, s50
	s_cbranch_execnz .LBB25_2493
	s_branch .LBB25_2494
.LBB25_3478:                            ;   in Loop: Header=BB25_17 Depth=1
	s_mov_b32 s52, -1
	s_mov_b32 s55, exec_lo
                                        ; implicit-def: $sgpr53
	v_cmpx_eq_u16_e32 0x80, v0
; %bb.3479:                             ;   in Loop: Header=BB25_17 Depth=1
	s_mov_b32 s53, 0x7f800001
	s_xor_b32 s52, exec_lo, -1
; %bb.3480:                             ;   in Loop: Header=BB25_17 Depth=1
	s_or_b32 exec_lo, exec_lo, s55
	s_delay_alu instid0(SALU_CYCLE_1)
	s_and_b32 s52, s52, exec_lo
	s_or_saveexec_b32 s54, s54
	v_mov_b32_e32 v12, s53
	s_xor_b32 exec_lo, exec_lo, s54
	s_cbranch_execz .LBB25_2608
.LBB25_3481:                            ;   in Loop: Header=BB25_17 Depth=1
	v_cmp_ne_u16_e64 s0, 0, v0
	v_mov_b32_e32 v12, 0
	s_and_not1_b32 s52, s52, exec_lo
	s_delay_alu instid0(VALU_DEP_2) | instskip(NEXT) | instid1(SALU_CYCLE_1)
	s_and_b32 s0, s0, exec_lo
	s_or_b32 s52, s52, s0
	s_or_b32 exec_lo, exec_lo, s54
	s_and_saveexec_b32 s53, s52
	s_cbranch_execnz .LBB25_2609
	s_branch .LBB25_2610
.LBB25_3482:                            ;   in Loop: Header=BB25_17 Depth=1
	s_mov_b32 s52, -1
	s_mov_b32 s55, exec_lo
                                        ; implicit-def: $sgpr53
	v_cmpx_eq_u16_e32 0x80, v0
; %bb.3483:                             ;   in Loop: Header=BB25_17 Depth=1
	s_mov_b32 s53, 0x7f800001
	s_xor_b32 s52, exec_lo, -1
; %bb.3484:                             ;   in Loop: Header=BB25_17 Depth=1
	s_or_b32 exec_lo, exec_lo, s55
	s_delay_alu instid0(SALU_CYCLE_1)
	s_and_b32 s52, s52, exec_lo
	s_or_saveexec_b32 s54, s54
	v_mov_b32_e32 v13, s53
	s_xor_b32 exec_lo, exec_lo, s54
	s_cbranch_execz .LBB25_2708
.LBB25_3485:                            ;   in Loop: Header=BB25_17 Depth=1
	v_cmp_ne_u16_e64 s0, 0, v0
	v_mov_b32_e32 v13, 0
	s_and_not1_b32 s52, s52, exec_lo
	s_delay_alu instid0(VALU_DEP_2) | instskip(NEXT) | instid1(SALU_CYCLE_1)
	s_and_b32 s0, s0, exec_lo
	s_or_b32 s52, s52, s0
	s_or_b32 exec_lo, exec_lo, s54
	s_and_saveexec_b32 s53, s52
	s_cbranch_execnz .LBB25_2709
	s_branch .LBB25_2710
.LBB25_3486:                            ;   in Loop: Header=BB25_17 Depth=1
	s_mov_b32 s58, exec_lo
                                        ; implicit-def: $sgpr61
                                        ; implicit-def: $sgpr59
                                        ; implicit-def: $vgpr12
	v_cmpx_lt_i16_e32 25, v13
	s_xor_b32 s58, exec_lo, s58
	s_cbranch_execz .LBB25_3518
; %bb.3487:                             ;   in Loop: Header=BB25_17 Depth=1
	s_mov_b32 s59, exec_lo
                                        ; implicit-def: $sgpr61
                                        ; implicit-def: $sgpr62
                                        ; implicit-def: $vgpr12
	v_cmpx_lt_i16_e32 28, v13
	s_xor_b32 s59, exec_lo, s59
	s_cbranch_execz .LBB25_3503
; %bb.3488:                             ;   in Loop: Header=BB25_17 Depth=1
	s_mov_b32 s63, 0
	s_mov_b32 s60, exec_lo
                                        ; implicit-def: $sgpr61
                                        ; implicit-def: $sgpr62
                                        ; implicit-def: $vgpr12
	v_cmpx_lt_i16_e32 43, v13
	s_xor_b32 s60, exec_lo, s60
	s_cbranch_execz .LBB25_3498
; %bb.3489:                             ;   in Loop: Header=BB25_17 Depth=1
	s_mov_b32 s64, exec_lo
                                        ; implicit-def: $sgpr62
                                        ; implicit-def: $sgpr61
                                        ; implicit-def: $vgpr12
	v_cmpx_lt_i16_e32 45, v13
	s_xor_b32 s64, exec_lo, s64
	s_cbranch_execz .LBB25_3493
; %bb.3490:                             ;   in Loop: Header=BB25_17 Depth=1
	s_mov_b32 s61, 0
	s_mov_b32 s62, exec_lo
                                        ; implicit-def: $vgpr12
	v_cmpx_eq_u16_e32 46, v13
	s_cbranch_execz .LBB25_3492
; %bb.3491:                             ;   in Loop: Header=BB25_17 Depth=1
	flat_load_b32 v0, v[0:1]
	s_mov_b32 s63, exec_lo
	s_waitcnt vmcnt(0) lgkmcnt(0)
	v_lshlrev_b32_e32 v12, 16, v0
.LBB25_3492:                            ;   in Loop: Header=BB25_17 Depth=1
	s_or_b32 exec_lo, exec_lo, s62
	s_mov_b32 s62, -1
	s_and_b32 s63, s63, exec_lo
                                        ; implicit-def: $vgpr13
                                        ; implicit-def: $vgpr0_vgpr1
.LBB25_3493:                            ;   in Loop: Header=BB25_17 Depth=1
	s_and_not1_saveexec_b32 s64, s64
	s_cbranch_execz .LBB25_3497
; %bb.3494:                             ;   in Loop: Header=BB25_17 Depth=1
	s_mov_b32 s66, s63
	s_mov_b32 s65, exec_lo
                                        ; implicit-def: $vgpr12
	v_cmpx_eq_u16_e32 44, v13
	s_cbranch_execz .LBB25_3496
; %bb.3495:                             ;   in Loop: Header=BB25_17 Depth=1
	flat_load_u8 v0, v[0:1]
	s_or_b32 s66, s63, exec_lo
	s_waitcnt vmcnt(0) lgkmcnt(0)
	v_lshlrev_b32_e32 v1, 23, v0
	v_cmp_ne_u32_e64 s0, 0xff, v0
	s_delay_alu instid0(VALU_DEP_1) | instskip(SKIP_1) | instid1(VALU_DEP_1)
	v_cndmask_b32_e64 v1, 0x7f800001, v1, s0
	v_cmp_ne_u32_e64 s0, 0, v0
	v_cndmask_b32_e64 v12, 0x400000, v1, s0
.LBB25_3496:                            ;   in Loop: Header=BB25_17 Depth=1
	s_or_b32 exec_lo, exec_lo, s65
	s_delay_alu instid0(SALU_CYCLE_1)
	s_and_not1_b32 s0, s63, exec_lo
	s_and_b32 s63, s66, exec_lo
	s_or_b32 s62, s62, exec_lo
	s_and_not1_b32 s61, s61, exec_lo
	s_or_b32 s63, s0, s63
.LBB25_3497:                            ;   in Loop: Header=BB25_17 Depth=1
	s_or_b32 exec_lo, exec_lo, s64
	s_delay_alu instid0(SALU_CYCLE_1)
	s_and_b32 s62, s62, exec_lo
	s_and_b32 s61, s61, exec_lo
	;; [unrolled: 1-line block ×3, first 2 shown]
                                        ; implicit-def: $vgpr13
                                        ; implicit-def: $vgpr0_vgpr1
.LBB25_3498:                            ;   in Loop: Header=BB25_17 Depth=1
	s_and_not1_saveexec_b32 s60, s60
	s_cbranch_execz .LBB25_3502
; %bb.3499:                             ;   in Loop: Header=BB25_17 Depth=1
	s_mov_b32 s65, s63
	s_mov_b32 s64, exec_lo
                                        ; implicit-def: $vgpr12
	v_cmpx_eq_u16_e32 29, v13
	s_cbranch_execz .LBB25_3501
; %bb.3500:                             ;   in Loop: Header=BB25_17 Depth=1
	flat_load_b64 v[0:1], v[0:1]
	s_or_b32 s65, s63, exec_lo
	s_waitcnt vmcnt(0) lgkmcnt(0)
	v_clz_i32_u32_e32 v12, v1
	s_delay_alu instid0(VALU_DEP_1) | instskip(NEXT) | instid1(VALU_DEP_1)
	v_min_u32_e32 v12, 32, v12
	v_lshlrev_b64 v[0:1], v12, v[0:1]
	s_delay_alu instid0(VALU_DEP_1) | instskip(NEXT) | instid1(VALU_DEP_1)
	v_min_u32_e32 v0, 1, v0
	v_or_b32_e32 v0, v1, v0
	v_sub_nc_u32_e32 v1, 32, v12
	s_delay_alu instid0(VALU_DEP_2) | instskip(NEXT) | instid1(VALU_DEP_1)
	v_cvt_f32_u32_e32 v0, v0
	v_ldexp_f32 v12, v0, v1
.LBB25_3501:                            ;   in Loop: Header=BB25_17 Depth=1
	s_or_b32 exec_lo, exec_lo, s64
	s_delay_alu instid0(SALU_CYCLE_1)
	s_and_not1_b32 s0, s63, exec_lo
	s_and_b32 s63, s65, exec_lo
	s_or_b32 s62, s62, exec_lo
	s_and_not1_b32 s61, s61, exec_lo
	s_or_b32 s63, s0, s63
.LBB25_3502:                            ;   in Loop: Header=BB25_17 Depth=1
	s_or_b32 exec_lo, exec_lo, s60
	s_delay_alu instid0(SALU_CYCLE_1)
	s_and_b32 s62, s62, exec_lo
	s_and_b32 s61, s61, exec_lo
	;; [unrolled: 1-line block ×3, first 2 shown]
                                        ; implicit-def: $vgpr13
                                        ; implicit-def: $vgpr0_vgpr1
.LBB25_3503:                            ;   in Loop: Header=BB25_17 Depth=1
	s_and_not1_saveexec_b32 s59, s59
	s_cbranch_execz .LBB25_3517
; %bb.3504:                             ;   in Loop: Header=BB25_17 Depth=1
	s_mov_b32 s63, exec_lo
                                        ; implicit-def: $vgpr12
	v_cmpx_lt_i16_e32 26, v13
	s_xor_b32 s63, exec_lo, s63
	s_cbranch_execz .LBB25_3510
; %bb.3505:                             ;   in Loop: Header=BB25_17 Depth=1
	v_cmp_lt_i16_e64 s0, 27, v13
                                        ; implicit-def: $vgpr12
	s_delay_alu instid0(VALU_DEP_1) | instskip(NEXT) | instid1(SALU_CYCLE_1)
	s_and_saveexec_b32 s64, s0
	s_xor_b32 s0, exec_lo, s64
	s_cbranch_execz .LBB25_3507
; %bb.3506:                             ;   in Loop: Header=BB25_17 Depth=1
	flat_load_b32 v0, v[0:1]
	s_waitcnt vmcnt(0) lgkmcnt(0)
	v_cvt_f32_u32_e32 v12, v0
                                        ; implicit-def: $vgpr0_vgpr1
.LBB25_3507:                            ;   in Loop: Header=BB25_17 Depth=1
	s_and_not1_saveexec_b32 s0, s0
	s_cbranch_execz .LBB25_3509
; %bb.3508:                             ;   in Loop: Header=BB25_17 Depth=1
	flat_load_u16 v0, v[0:1]
	s_waitcnt vmcnt(0) lgkmcnt(0)
	v_cvt_f32_u32_e32 v12, v0
.LBB25_3509:                            ;   in Loop: Header=BB25_17 Depth=1
	s_or_b32 exec_lo, exec_lo, s0
                                        ; implicit-def: $vgpr0_vgpr1
.LBB25_3510:                            ;   in Loop: Header=BB25_17 Depth=1
	s_and_not1_saveexec_b32 s63, s63
	s_cbranch_execz .LBB25_3516
; %bb.3511:                             ;   in Loop: Header=BB25_17 Depth=1
	flat_load_u8 v0, v[0:1]
	s_mov_b32 s64, 0
	s_mov_b32 s66, exec_lo
                                        ; implicit-def: $sgpr65
	s_waitcnt vmcnt(0) lgkmcnt(0)
	v_cmpx_lt_i16_e32 0x7f, v0
	s_xor_b32 s66, exec_lo, s66
	s_cbranch_execnz .LBB25_3642
; %bb.3512:                             ;   in Loop: Header=BB25_17 Depth=1
	s_or_saveexec_b32 s66, s66
	v_mov_b32_e32 v12, s65
	s_xor_b32 exec_lo, exec_lo, s66
	s_cbranch_execnz .LBB25_3645
.LBB25_3513:                            ;   in Loop: Header=BB25_17 Depth=1
	s_or_b32 exec_lo, exec_lo, s66
	s_and_saveexec_b32 s65, s64
	s_cbranch_execz .LBB25_3515
.LBB25_3514:                            ;   in Loop: Header=BB25_17 Depth=1
	v_and_b32_e32 v1, 0xffff, v0
	v_lshlrev_b32_e32 v0, 24, v0
	s_delay_alu instid0(VALU_DEP_2) | instskip(NEXT) | instid1(VALU_DEP_2)
	v_and_b32_e32 v12, 7, v1
	v_and_b32_e32 v0, 0x80000000, v0
	s_delay_alu instid0(VALU_DEP_2) | instskip(NEXT) | instid1(VALU_DEP_1)
	v_clz_i32_u32_e32 v13, v12
	v_min_u32_e32 v13, 32, v13
	s_delay_alu instid0(VALU_DEP_1) | instskip(SKIP_1) | instid1(VALU_DEP_2)
	v_subrev_nc_u32_e32 v14, 28, v13
	v_sub_nc_u32_e32 v13, 29, v13
	v_lshlrev_b32_e32 v14, v14, v1
	v_bfe_u32 v1, v1, 3, 4
	s_delay_alu instid0(VALU_DEP_2) | instskip(NEXT) | instid1(VALU_DEP_2)
	v_and_b32_e32 v14, 7, v14
	v_cmp_eq_u32_e64 s0, 0, v1
	s_delay_alu instid0(VALU_DEP_1) | instskip(NEXT) | instid1(VALU_DEP_3)
	v_cndmask_b32_e64 v1, v1, v13, s0
	v_cndmask_b32_e64 v12, v12, v14, s0
	s_delay_alu instid0(VALU_DEP_2) | instskip(NEXT) | instid1(VALU_DEP_2)
	v_lshl_add_u32 v1, v1, 23, 0x3b800000
	v_lshlrev_b32_e32 v12, 20, v12
	s_delay_alu instid0(VALU_DEP_1)
	v_or3_b32 v12, v0, v1, v12
.LBB25_3515:                            ;   in Loop: Header=BB25_17 Depth=1
	s_or_b32 exec_lo, exec_lo, s65
.LBB25_3516:                            ;   in Loop: Header=BB25_17 Depth=1
	s_delay_alu instid0(SALU_CYCLE_1) | instskip(NEXT) | instid1(SALU_CYCLE_1)
	s_or_b32 exec_lo, exec_lo, s63
	s_and_not1_b32 s62, s62, exec_lo
	s_and_not1_b32 s61, s61, exec_lo
	s_or_b32 s60, s60, exec_lo
.LBB25_3517:                            ;   in Loop: Header=BB25_17 Depth=1
	s_or_b32 exec_lo, exec_lo, s59
	s_delay_alu instid0(SALU_CYCLE_1)
	s_and_b32 s59, s62, exec_lo
	s_and_b32 s61, s61, exec_lo
	s_and_b32 s60, s60, exec_lo
                                        ; implicit-def: $vgpr13
                                        ; implicit-def: $vgpr0_vgpr1
.LBB25_3518:                            ;   in Loop: Header=BB25_17 Depth=1
	s_and_not1_saveexec_b32 s58, s58
	s_cbranch_execz .LBB25_3544
; %bb.3519:                             ;   in Loop: Header=BB25_17 Depth=1
	s_mov_b32 s63, s60
	s_mov_b32 s62, exec_lo
                                        ; implicit-def: $vgpr12
	v_cmpx_lt_i16_e32 22, v13
	s_xor_b32 s62, exec_lo, s62
	s_cbranch_execz .LBB25_3533
; %bb.3520:                             ;   in Loop: Header=BB25_17 Depth=1
	s_mov_b32 s63, exec_lo
                                        ; implicit-def: $vgpr12
	v_cmpx_lt_i16_e32 23, v13
	s_xor_b32 s63, exec_lo, s63
	s_cbranch_execz .LBB25_3530
; %bb.3521:                             ;   in Loop: Header=BB25_17 Depth=1
	;; [unrolled: 6-line block ×3, first 2 shown]
	flat_load_u8 v0, v[0:1]
	s_mov_b32 s65, 0
	s_mov_b32 s67, exec_lo
                                        ; implicit-def: $sgpr66
	s_waitcnt vmcnt(0) lgkmcnt(0)
	v_cmpx_lt_i16_e32 0x7f, v0
	s_xor_b32 s67, exec_lo, s67
	s_cbranch_execnz .LBB25_3646
; %bb.3523:                             ;   in Loop: Header=BB25_17 Depth=1
	s_or_saveexec_b32 s67, s67
	v_mov_b32_e32 v12, s66
	s_xor_b32 exec_lo, exec_lo, s67
	s_cbranch_execnz .LBB25_3649
.LBB25_3524:                            ;   in Loop: Header=BB25_17 Depth=1
	s_or_b32 exec_lo, exec_lo, s67
	s_and_saveexec_b32 s66, s65
	s_cbranch_execz .LBB25_3526
.LBB25_3525:                            ;   in Loop: Header=BB25_17 Depth=1
	v_and_b32_e32 v1, 0xffff, v0
	v_lshlrev_b32_e32 v0, 24, v0
	s_delay_alu instid0(VALU_DEP_2) | instskip(NEXT) | instid1(VALU_DEP_2)
	v_and_b32_e32 v12, 3, v1
	v_and_b32_e32 v0, 0x80000000, v0
	s_delay_alu instid0(VALU_DEP_2) | instskip(NEXT) | instid1(VALU_DEP_1)
	v_clz_i32_u32_e32 v13, v12
	v_min_u32_e32 v13, 32, v13
	s_delay_alu instid0(VALU_DEP_1) | instskip(SKIP_1) | instid1(VALU_DEP_2)
	v_subrev_nc_u32_e32 v14, 29, v13
	v_sub_nc_u32_e32 v13, 30, v13
	v_lshlrev_b32_e32 v14, v14, v1
	v_bfe_u32 v1, v1, 2, 5
	s_delay_alu instid0(VALU_DEP_2) | instskip(NEXT) | instid1(VALU_DEP_2)
	v_and_b32_e32 v14, 3, v14
	v_cmp_eq_u32_e64 s0, 0, v1
	s_delay_alu instid0(VALU_DEP_1) | instskip(NEXT) | instid1(VALU_DEP_3)
	v_cndmask_b32_e64 v1, v1, v13, s0
	v_cndmask_b32_e64 v12, v12, v14, s0
	s_delay_alu instid0(VALU_DEP_2) | instskip(NEXT) | instid1(VALU_DEP_2)
	v_lshl_add_u32 v1, v1, 23, 0x37800000
	v_lshlrev_b32_e32 v12, 21, v12
	s_delay_alu instid0(VALU_DEP_1)
	v_or3_b32 v12, v0, v1, v12
.LBB25_3526:                            ;   in Loop: Header=BB25_17 Depth=1
	s_or_b32 exec_lo, exec_lo, s66
                                        ; implicit-def: $vgpr0_vgpr1
.LBB25_3527:                            ;   in Loop: Header=BB25_17 Depth=1
	s_and_not1_saveexec_b32 s64, s64
	s_cbranch_execz .LBB25_3529
; %bb.3528:                             ;   in Loop: Header=BB25_17 Depth=1
	flat_load_u8 v0, v[0:1]
	s_waitcnt vmcnt(0) lgkmcnt(0)
	v_lshlrev_b32_e32 v0, 24, v0
	s_delay_alu instid0(VALU_DEP_1) | instskip(NEXT) | instid1(VALU_DEP_1)
	v_and_b32_e32 v1, 0x7f000000, v0
	v_clz_i32_u32_e32 v12, v1
	v_add_nc_u32_e32 v14, 0x1000000, v1
	v_cmp_ne_u32_e64 s0, 0, v1
	s_delay_alu instid0(VALU_DEP_3) | instskip(NEXT) | instid1(VALU_DEP_1)
	v_min_u32_e32 v12, 32, v12
	v_sub_nc_u32_e64 v12, v12, 4 clamp
	s_delay_alu instid0(VALU_DEP_1) | instskip(SKIP_1) | instid1(VALU_DEP_2)
	v_lshlrev_b32_e32 v13, v12, v1
	v_lshlrev_b32_e32 v12, 23, v12
	v_lshrrev_b32_e32 v13, 4, v13
	s_delay_alu instid0(VALU_DEP_1) | instskip(SKIP_1) | instid1(VALU_DEP_2)
	v_sub_nc_u32_e32 v12, v13, v12
	v_ashrrev_i32_e32 v13, 8, v14
	v_add_nc_u32_e32 v12, 0x3c000000, v12
	s_delay_alu instid0(VALU_DEP_1) | instskip(NEXT) | instid1(VALU_DEP_1)
	v_and_or_b32 v12, 0x7f800000, v13, v12
	v_cndmask_b32_e64 v1, 0, v12, s0
	s_delay_alu instid0(VALU_DEP_1)
	v_and_or_b32 v12, 0x80000000, v0, v1
.LBB25_3529:                            ;   in Loop: Header=BB25_17 Depth=1
	s_or_b32 exec_lo, exec_lo, s64
                                        ; implicit-def: $vgpr0_vgpr1
.LBB25_3530:                            ;   in Loop: Header=BB25_17 Depth=1
	s_and_not1_saveexec_b32 s63, s63
	s_cbranch_execz .LBB25_3532
; %bb.3531:                             ;   in Loop: Header=BB25_17 Depth=1
	flat_load_u8 v0, v[0:1]
	s_waitcnt vmcnt(0) lgkmcnt(0)
	v_lshlrev_b32_e32 v1, 25, v0
	v_lshlrev_b16 v0, 8, v0
	s_delay_alu instid0(VALU_DEP_2) | instskip(NEXT) | instid1(VALU_DEP_2)
	v_lshrrev_b32_e32 v12, 4, v1
	v_and_or_b32 v13, 0x7f00, v0, 0.5
	v_cmp_gt_u32_e64 s0, 0x8000000, v1
	v_bfe_i32 v0, v0, 0, 16
	s_delay_alu instid0(VALU_DEP_4) | instskip(NEXT) | instid1(VALU_DEP_1)
	v_or_b32_e32 v12, 0x70000000, v12
	v_dual_add_f32 v13, -0.5, v13 :: v_dual_mul_f32 v12, 0x7800000, v12
	s_delay_alu instid0(VALU_DEP_1) | instskip(NEXT) | instid1(VALU_DEP_1)
	v_cndmask_b32_e64 v1, v12, v13, s0
	v_and_or_b32 v12, 0x80000000, v0, v1
.LBB25_3532:                            ;   in Loop: Header=BB25_17 Depth=1
	s_or_b32 exec_lo, exec_lo, s63
	s_delay_alu instid0(SALU_CYCLE_1)
	s_or_b32 s63, s60, exec_lo
                                        ; implicit-def: $vgpr13
                                        ; implicit-def: $vgpr0_vgpr1
.LBB25_3533:                            ;   in Loop: Header=BB25_17 Depth=1
	s_or_saveexec_b32 s62, s62
                                        ; implicit-def: $sgpr64
                                        ; implicit-def: $sgpr0
	s_delay_alu instid0(SALU_CYCLE_1)
	s_xor_b32 exec_lo, exec_lo, s62
	s_cbranch_execz .LBB25_3543
; %bb.3534:                             ;   in Loop: Header=BB25_17 Depth=1
	s_mov_b32 s65, s63
	s_mov_b32 s67, exec_lo
                                        ; implicit-def: $sgpr66
                                        ; implicit-def: $sgpr64
                                        ; implicit-def: $vgpr12
	v_cmpx_lt_i16_e32 14, v13
	s_xor_b32 s67, exec_lo, s67
	s_cbranch_execz .LBB25_3538
; %bb.3535:                             ;   in Loop: Header=BB25_17 Depth=1
	s_mov_b32 s65, s63
	s_mov_b32 s64, exec_lo
                                        ; implicit-def: $vgpr12
	v_cmpx_eq_u16_e32 15, v13
	s_cbranch_execz .LBB25_3537
; %bb.3536:                             ;   in Loop: Header=BB25_17 Depth=1
	flat_load_u16 v0, v[0:1]
	s_or_b32 s65, s63, exec_lo
	s_waitcnt vmcnt(0) lgkmcnt(0)
	v_lshlrev_b32_e32 v12, 16, v0
.LBB25_3537:                            ;   in Loop: Header=BB25_17 Depth=1
	s_or_b32 exec_lo, exec_lo, s64
	s_delay_alu instid0(SALU_CYCLE_1)
	s_and_not1_b32 s0, s63, exec_lo
	s_and_b32 s65, s65, exec_lo
	s_mov_b32 s64, 0
	s_mov_b32 s66, -1
	s_or_b32 s65, s0, s65
                                        ; implicit-def: $vgpr13
                                        ; implicit-def: $vgpr0_vgpr1
.LBB25_3538:                            ;   in Loop: Header=BB25_17 Depth=1
	s_and_not1_saveexec_b32 s67, s67
	s_cbranch_execz .LBB25_3542
; %bb.3539:                             ;   in Loop: Header=BB25_17 Depth=1
	s_mov_b32 s68, s65
	s_mov_b32 s69, exec_lo
                                        ; implicit-def: $vgpr12
	v_cmpx_eq_u16_e32 11, v13
	s_cbranch_execz .LBB25_3541
; %bb.3540:                             ;   in Loop: Header=BB25_17 Depth=1
	flat_load_u8 v0, v[0:1]
	s_or_b32 s68, s65, exec_lo
	s_waitcnt vmcnt(0) lgkmcnt(0)
	v_cmp_ne_u16_e64 s0, 0, v0
	s_delay_alu instid0(VALU_DEP_1)
	v_cndmask_b32_e64 v12, 0, 1.0, s0
.LBB25_3541:                            ;   in Loop: Header=BB25_17 Depth=1
	s_or_b32 exec_lo, exec_lo, s69
	s_delay_alu instid0(SALU_CYCLE_1)
	s_and_not1_b32 s0, s65, exec_lo
	s_and_b32 s65, s68, exec_lo
	s_or_b32 s66, s66, exec_lo
	s_and_not1_b32 s64, s64, exec_lo
	s_or_b32 s65, s0, s65
.LBB25_3542:                            ;   in Loop: Header=BB25_17 Depth=1
	s_or_b32 exec_lo, exec_lo, s67
	s_delay_alu instid0(SALU_CYCLE_1)
	s_and_not1_b32 s63, s63, exec_lo
	s_and_b32 s65, s65, exec_lo
	s_and_b32 s0, s66, exec_lo
	;; [unrolled: 1-line block ×3, first 2 shown]
	s_or_b32 s63, s63, s65
.LBB25_3543:                            ;   in Loop: Header=BB25_17 Depth=1
	s_or_b32 exec_lo, exec_lo, s62
	s_delay_alu instid0(SALU_CYCLE_1)
	s_and_not1_b32 s59, s59, exec_lo
	s_and_b32 s0, s0, exec_lo
	s_and_not1_b32 s60, s60, exec_lo
	s_or_b32 s59, s59, s0
	s_and_not1_b32 s0, s61, exec_lo
	s_and_b32 s61, s64, exec_lo
	s_and_b32 s62, s63, exec_lo
	s_or_b32 s61, s0, s61
	s_or_b32 s60, s60, s62
.LBB25_3544:                            ;   in Loop: Header=BB25_17 Depth=1
	s_or_b32 exec_lo, exec_lo, s58
	s_delay_alu instid0(SALU_CYCLE_1)
	s_and_b32 s59, s59, exec_lo
	s_and_b32 s58, s61, exec_lo
	;; [unrolled: 1-line block ×3, first 2 shown]
                                        ; implicit-def: $vgpr13
                                        ; implicit-def: $vgpr0_vgpr1
	s_and_not1_saveexec_b32 s57, s57
	s_cbranch_execz .LBB25_3464
.LBB25_3545:                            ;   in Loop: Header=BB25_17 Depth=1
	s_mov_b32 s61, exec_lo
                                        ; implicit-def: $vgpr12
	v_cmpx_lt_i16_e32 4, v13
	s_xor_b32 s61, exec_lo, s61
	s_cbranch_execz .LBB25_3567
; %bb.3546:                             ;   in Loop: Header=BB25_17 Depth=1
	s_mov_b32 s62, exec_lo
                                        ; implicit-def: $vgpr12
	v_cmpx_lt_i16_e32 7, v13
	s_xor_b32 s62, exec_lo, s62
	s_cbranch_execz .LBB25_3556
; %bb.3547:                             ;   in Loop: Header=BB25_17 Depth=1
	;; [unrolled: 6-line block ×3, first 2 shown]
	v_cmp_lt_i16_e64 s0, 9, v13
                                        ; implicit-def: $vgpr12
	s_delay_alu instid0(VALU_DEP_1) | instskip(NEXT) | instid1(SALU_CYCLE_1)
	s_and_saveexec_b32 s64, s0
	s_xor_b32 s0, exec_lo, s64
	s_cbranch_execz .LBB25_3550
; %bb.3549:                             ;   in Loop: Header=BB25_17 Depth=1
	flat_load_b64 v[0:1], v[0:1]
	s_waitcnt vmcnt(0) lgkmcnt(0)
	v_cvt_f32_f64_e32 v12, v[0:1]
                                        ; implicit-def: $vgpr0_vgpr1
.LBB25_3550:                            ;   in Loop: Header=BB25_17 Depth=1
	s_and_not1_saveexec_b32 s0, s0
	s_cbranch_execz .LBB25_3552
; %bb.3551:                             ;   in Loop: Header=BB25_17 Depth=1
	flat_load_b32 v12, v[0:1]
.LBB25_3552:                            ;   in Loop: Header=BB25_17 Depth=1
	s_or_b32 exec_lo, exec_lo, s0
                                        ; implicit-def: $vgpr0_vgpr1
.LBB25_3553:                            ;   in Loop: Header=BB25_17 Depth=1
	s_and_not1_saveexec_b32 s0, s63
	s_cbranch_execz .LBB25_3555
; %bb.3554:                             ;   in Loop: Header=BB25_17 Depth=1
	flat_load_b32 v0, v[0:1]
	s_waitcnt vmcnt(0) lgkmcnt(0)
	v_cvt_f32_f16_e32 v12, v0
.LBB25_3555:                            ;   in Loop: Header=BB25_17 Depth=1
	s_or_b32 exec_lo, exec_lo, s0
                                        ; implicit-def: $vgpr0_vgpr1
                                        ; implicit-def: $vgpr13
.LBB25_3556:                            ;   in Loop: Header=BB25_17 Depth=1
	s_and_not1_saveexec_b32 s62, s62
	s_cbranch_execz .LBB25_3566
; %bb.3557:                             ;   in Loop: Header=BB25_17 Depth=1
	s_mov_b32 s63, exec_lo
                                        ; implicit-def: $vgpr12
	v_cmpx_lt_i16_e32 5, v13
	s_xor_b32 s63, exec_lo, s63
	s_cbranch_execz .LBB25_3563
; %bb.3558:                             ;   in Loop: Header=BB25_17 Depth=1
	v_cmp_lt_i16_e64 s0, 6, v13
                                        ; implicit-def: $vgpr12
	s_delay_alu instid0(VALU_DEP_1) | instskip(NEXT) | instid1(SALU_CYCLE_1)
	s_and_saveexec_b32 s64, s0
	s_xor_b32 s0, exec_lo, s64
	s_cbranch_execz .LBB25_3560
; %bb.3559:                             ;   in Loop: Header=BB25_17 Depth=1
	flat_load_b64 v[0:1], v[0:1]
	s_waitcnt vmcnt(0) lgkmcnt(0)
	v_cvt_f32_f64_e32 v12, v[0:1]
                                        ; implicit-def: $vgpr0_vgpr1
.LBB25_3560:                            ;   in Loop: Header=BB25_17 Depth=1
	s_and_not1_saveexec_b32 s0, s0
	s_cbranch_execz .LBB25_3562
; %bb.3561:                             ;   in Loop: Header=BB25_17 Depth=1
	s_waitcnt vmcnt(0) lgkmcnt(0)
	flat_load_b32 v12, v[0:1]
.LBB25_3562:                            ;   in Loop: Header=BB25_17 Depth=1
	s_or_b32 exec_lo, exec_lo, s0
                                        ; implicit-def: $vgpr0_vgpr1
.LBB25_3563:                            ;   in Loop: Header=BB25_17 Depth=1
	s_and_not1_saveexec_b32 s0, s63
	s_cbranch_execz .LBB25_3565
; %bb.3564:                             ;   in Loop: Header=BB25_17 Depth=1
	flat_load_u16 v0, v[0:1]
	s_waitcnt vmcnt(0) lgkmcnt(0)
	v_cvt_f32_f16_e32 v12, v0
.LBB25_3565:                            ;   in Loop: Header=BB25_17 Depth=1
	s_or_b32 exec_lo, exec_lo, s0
.LBB25_3566:                            ;   in Loop: Header=BB25_17 Depth=1
	s_delay_alu instid0(SALU_CYCLE_1)
	s_or_b32 exec_lo, exec_lo, s62
                                        ; implicit-def: $vgpr13
                                        ; implicit-def: $vgpr0_vgpr1
.LBB25_3567:                            ;   in Loop: Header=BB25_17 Depth=1
	s_and_not1_saveexec_b32 s61, s61
	s_cbranch_execz .LBB25_3585
; %bb.3568:                             ;   in Loop: Header=BB25_17 Depth=1
	s_mov_b32 s62, exec_lo
                                        ; implicit-def: $vgpr12
	v_cmpx_lt_i16_e32 1, v13
	s_xor_b32 s62, exec_lo, s62
	s_cbranch_execz .LBB25_3578
; %bb.3569:                             ;   in Loop: Header=BB25_17 Depth=1
	s_mov_b32 s63, exec_lo
                                        ; implicit-def: $vgpr12
	v_cmpx_lt_i16_e32 2, v13
	s_xor_b32 s63, exec_lo, s63
	s_cbranch_execz .LBB25_3575
; %bb.3570:                             ;   in Loop: Header=BB25_17 Depth=1
	v_cmp_lt_i16_e64 s0, 3, v13
                                        ; implicit-def: $vgpr12
	s_delay_alu instid0(VALU_DEP_1) | instskip(NEXT) | instid1(SALU_CYCLE_1)
	s_and_saveexec_b32 s64, s0
	s_xor_b32 s0, exec_lo, s64
	s_cbranch_execz .LBB25_3572
; %bb.3571:                             ;   in Loop: Header=BB25_17 Depth=1
	flat_load_b64 v[0:1], v[0:1]
	s_waitcnt vmcnt(0) lgkmcnt(0)
	v_xor_b32_e32 v12, v0, v1
	v_cls_i32_e32 v13, v1
	s_delay_alu instid0(VALU_DEP_2) | instskip(NEXT) | instid1(VALU_DEP_2)
	v_ashrrev_i32_e32 v12, 31, v12
	v_add_nc_u32_e32 v13, -1, v13
	s_delay_alu instid0(VALU_DEP_2) | instskip(NEXT) | instid1(VALU_DEP_1)
	v_add_nc_u32_e32 v12, 32, v12
	v_min_u32_e32 v12, v13, v12
	s_delay_alu instid0(VALU_DEP_1) | instskip(NEXT) | instid1(VALU_DEP_1)
	v_lshlrev_b64 v[0:1], v12, v[0:1]
	v_min_u32_e32 v0, 1, v0
	s_delay_alu instid0(VALU_DEP_1) | instskip(SKIP_1) | instid1(VALU_DEP_2)
	v_or_b32_e32 v0, v1, v0
	v_sub_nc_u32_e32 v1, 32, v12
	v_cvt_f32_i32_e32 v0, v0
	s_delay_alu instid0(VALU_DEP_1)
	v_ldexp_f32 v12, v0, v1
                                        ; implicit-def: $vgpr0_vgpr1
.LBB25_3572:                            ;   in Loop: Header=BB25_17 Depth=1
	s_and_not1_saveexec_b32 s0, s0
	s_cbranch_execz .LBB25_3574
; %bb.3573:                             ;   in Loop: Header=BB25_17 Depth=1
	flat_load_b32 v0, v[0:1]
	s_waitcnt vmcnt(0) lgkmcnt(0)
	v_cvt_f32_i32_e32 v12, v0
.LBB25_3574:                            ;   in Loop: Header=BB25_17 Depth=1
	s_or_b32 exec_lo, exec_lo, s0
                                        ; implicit-def: $vgpr0_vgpr1
.LBB25_3575:                            ;   in Loop: Header=BB25_17 Depth=1
	s_and_not1_saveexec_b32 s0, s63
	s_cbranch_execz .LBB25_3577
; %bb.3576:                             ;   in Loop: Header=BB25_17 Depth=1
	flat_load_i16 v0, v[0:1]
	s_waitcnt vmcnt(0) lgkmcnt(0)
	v_cvt_f32_i32_e32 v12, v0
.LBB25_3577:                            ;   in Loop: Header=BB25_17 Depth=1
	s_or_b32 exec_lo, exec_lo, s0
                                        ; implicit-def: $vgpr0_vgpr1
                                        ; implicit-def: $vgpr13
.LBB25_3578:                            ;   in Loop: Header=BB25_17 Depth=1
	s_and_not1_saveexec_b32 s62, s62
	s_cbranch_execz .LBB25_3584
; %bb.3579:                             ;   in Loop: Header=BB25_17 Depth=1
	v_cmp_lt_i16_e64 s0, 0, v13
                                        ; implicit-def: $vgpr12
	s_delay_alu instid0(VALU_DEP_1) | instskip(NEXT) | instid1(SALU_CYCLE_1)
	s_and_saveexec_b32 s63, s0
	s_xor_b32 s0, exec_lo, s63
	s_cbranch_execz .LBB25_3581
; %bb.3580:                             ;   in Loop: Header=BB25_17 Depth=1
	flat_load_i8 v0, v[0:1]
	s_waitcnt vmcnt(0) lgkmcnt(0)
	v_cvt_f32_i32_e32 v12, v0
                                        ; implicit-def: $vgpr0_vgpr1
.LBB25_3581:                            ;   in Loop: Header=BB25_17 Depth=1
	s_and_not1_saveexec_b32 s0, s0
	s_cbranch_execz .LBB25_3583
; %bb.3582:                             ;   in Loop: Header=BB25_17 Depth=1
	flat_load_u8 v0, v[0:1]
	s_waitcnt vmcnt(0) lgkmcnt(0)
	v_cvt_f32_ubyte0_e32 v12, v0
.LBB25_3583:                            ;   in Loop: Header=BB25_17 Depth=1
	s_or_b32 exec_lo, exec_lo, s0
.LBB25_3584:                            ;   in Loop: Header=BB25_17 Depth=1
	s_delay_alu instid0(SALU_CYCLE_1)
	s_or_b32 exec_lo, exec_lo, s62
.LBB25_3585:                            ;   in Loop: Header=BB25_17 Depth=1
	s_delay_alu instid0(SALU_CYCLE_1) | instskip(NEXT) | instid1(SALU_CYCLE_1)
	s_or_b32 exec_lo, exec_lo, s61
	s_and_not1_b32 s59, s59, exec_lo
	s_and_not1_b32 s58, s58, exec_lo
	s_or_b32 s60, s60, exec_lo
	s_or_b32 exec_lo, exec_lo, s57
	s_mov_b32 s0, 0
	s_and_saveexec_b32 s57, s60
	s_cbranch_execnz .LBB25_3465
	s_branch .LBB25_3466
.LBB25_3586:                            ;   in Loop: Header=BB25_17 Depth=1
	s_mov_b32 s53, -1
	s_mov_b32 s56, exec_lo
                                        ; implicit-def: $sgpr54
	v_cmpx_eq_u16_e32 0x80, v0
; %bb.3587:                             ;   in Loop: Header=BB25_17 Depth=1
	s_mov_b32 s54, 0x7f800001
	s_xor_b32 s53, exec_lo, -1
; %bb.3588:                             ;   in Loop: Header=BB25_17 Depth=1
	s_or_b32 exec_lo, exec_lo, s56
	s_delay_alu instid0(SALU_CYCLE_1)
	s_and_b32 s53, s53, exec_lo
	s_or_saveexec_b32 s55, s55
	v_mov_b32_e32 v12, s54
	s_xor_b32 exec_lo, exec_lo, s55
	s_cbranch_execz .LBB25_2619
.LBB25_3589:                            ;   in Loop: Header=BB25_17 Depth=1
	v_cmp_ne_u16_e64 s0, 0, v0
	v_mov_b32_e32 v12, 0
	s_and_not1_b32 s53, s53, exec_lo
	s_delay_alu instid0(VALU_DEP_2) | instskip(NEXT) | instid1(SALU_CYCLE_1)
	s_and_b32 s0, s0, exec_lo
	s_or_b32 s53, s53, s0
	s_or_b32 exec_lo, exec_lo, s55
	s_and_saveexec_b32 s54, s53
	s_cbranch_execnz .LBB25_2620
	s_branch .LBB25_2621
.LBB25_3590:                            ;   in Loop: Header=BB25_17 Depth=1
	s_mov_b32 s53, -1
	s_mov_b32 s56, exec_lo
                                        ; implicit-def: $sgpr54
	v_cmpx_eq_u16_e32 0x80, v0
; %bb.3591:                             ;   in Loop: Header=BB25_17 Depth=1
	s_mov_b32 s54, 0x7f800001
	s_xor_b32 s53, exec_lo, -1
; %bb.3592:                             ;   in Loop: Header=BB25_17 Depth=1
	s_or_b32 exec_lo, exec_lo, s56
	s_delay_alu instid0(SALU_CYCLE_1)
	s_and_b32 s53, s53, exec_lo
	s_or_saveexec_b32 s55, s55
	v_mov_b32_e32 v13, s54
	s_xor_b32 exec_lo, exec_lo, s55
	s_cbranch_execz .LBB25_2719
.LBB25_3593:                            ;   in Loop: Header=BB25_17 Depth=1
	v_cmp_ne_u16_e64 s0, 0, v0
	v_mov_b32_e32 v13, 0
	s_and_not1_b32 s53, s53, exec_lo
	s_delay_alu instid0(VALU_DEP_2) | instskip(NEXT) | instid1(SALU_CYCLE_1)
	s_and_b32 s0, s0, exec_lo
	s_or_b32 s53, s53, s0
	s_or_b32 exec_lo, exec_lo, s55
	s_and_saveexec_b32 s54, s53
	s_cbranch_execnz .LBB25_2720
	s_branch .LBB25_2721
.LBB25_3594:                            ;   in Loop: Header=BB25_17 Depth=1
	s_mov_b32 s55, -1
	s_mov_b32 s58, exec_lo
                                        ; implicit-def: $sgpr56
	v_cmpx_eq_u16_e32 0x80, v0
; %bb.3595:                             ;   in Loop: Header=BB25_17 Depth=1
	s_mov_b32 s56, 0x7f800001
	s_xor_b32 s55, exec_lo, -1
; %bb.3596:                             ;   in Loop: Header=BB25_17 Depth=1
	s_or_b32 exec_lo, exec_lo, s58
	s_delay_alu instid0(SALU_CYCLE_1)
	s_and_b32 s55, s55, exec_lo
	s_or_saveexec_b32 s57, s57
	v_mov_b32_e32 v12, s56
	s_xor_b32 exec_lo, exec_lo, s57
	s_cbranch_execz .LBB25_2835
.LBB25_3597:                            ;   in Loop: Header=BB25_17 Depth=1
	v_cmp_ne_u16_e64 s0, 0, v0
	v_mov_b32_e32 v12, 0
	s_and_not1_b32 s55, s55, exec_lo
	s_delay_alu instid0(VALU_DEP_2) | instskip(NEXT) | instid1(SALU_CYCLE_1)
	s_and_b32 s0, s0, exec_lo
	s_or_b32 s55, s55, s0
	s_or_b32 exec_lo, exec_lo, s57
	s_and_saveexec_b32 s56, s55
	s_cbranch_execnz .LBB25_2836
	s_branch .LBB25_2837
.LBB25_3598:                            ;   in Loop: Header=BB25_17 Depth=1
	s_mov_b32 s55, -1
	s_mov_b32 s58, exec_lo
                                        ; implicit-def: $sgpr56
	v_cmpx_eq_u16_e32 0x80, v0
; %bb.3599:                             ;   in Loop: Header=BB25_17 Depth=1
	s_mov_b32 s56, 0x7f800001
	s_xor_b32 s55, exec_lo, -1
; %bb.3600:                             ;   in Loop: Header=BB25_17 Depth=1
	s_or_b32 exec_lo, exec_lo, s58
	s_delay_alu instid0(SALU_CYCLE_1)
	s_and_b32 s55, s55, exec_lo
	s_or_saveexec_b32 s57, s57
	v_mov_b32_e32 v13, s56
	s_xor_b32 exec_lo, exec_lo, s57
	s_cbranch_execz .LBB25_2935
.LBB25_3601:                            ;   in Loop: Header=BB25_17 Depth=1
	v_cmp_ne_u16_e64 s0, 0, v0
	v_mov_b32_e32 v13, 0
	s_and_not1_b32 s55, s55, exec_lo
	s_delay_alu instid0(VALU_DEP_2) | instskip(NEXT) | instid1(SALU_CYCLE_1)
	s_and_b32 s0, s0, exec_lo
	s_or_b32 s55, s55, s0
	s_or_b32 exec_lo, exec_lo, s57
	s_and_saveexec_b32 s56, s55
	s_cbranch_execnz .LBB25_2936
	s_branch .LBB25_2937
.LBB25_3602:                            ;   in Loop: Header=BB25_17 Depth=1
	s_mov_b32 s56, -1
	s_mov_b32 s59, exec_lo
                                        ; implicit-def: $sgpr57
	v_cmpx_eq_u16_e32 0x80, v0
; %bb.3603:                             ;   in Loop: Header=BB25_17 Depth=1
	s_mov_b32 s57, 0x7f800001
	s_xor_b32 s56, exec_lo, -1
; %bb.3604:                             ;   in Loop: Header=BB25_17 Depth=1
	s_or_b32 exec_lo, exec_lo, s59
	s_delay_alu instid0(SALU_CYCLE_1)
	s_and_b32 s56, s56, exec_lo
	s_or_saveexec_b32 s58, s58
	v_mov_b32_e32 v12, s57
	s_xor_b32 exec_lo, exec_lo, s58
	s_cbranch_execz .LBB25_2846
.LBB25_3605:                            ;   in Loop: Header=BB25_17 Depth=1
	v_cmp_ne_u16_e64 s0, 0, v0
	v_mov_b32_e32 v12, 0
	s_and_not1_b32 s56, s56, exec_lo
	s_delay_alu instid0(VALU_DEP_2) | instskip(NEXT) | instid1(SALU_CYCLE_1)
	s_and_b32 s0, s0, exec_lo
	s_or_b32 s56, s56, s0
	s_or_b32 exec_lo, exec_lo, s58
	s_and_saveexec_b32 s57, s56
	s_cbranch_execnz .LBB25_2847
	s_branch .LBB25_2848
.LBB25_3606:                            ;   in Loop: Header=BB25_17 Depth=1
	s_mov_b32 s56, -1
	s_mov_b32 s59, exec_lo
                                        ; implicit-def: $sgpr57
	v_cmpx_eq_u16_e32 0x80, v0
; %bb.3607:                             ;   in Loop: Header=BB25_17 Depth=1
	s_mov_b32 s57, 0x7f800001
	s_xor_b32 s56, exec_lo, -1
; %bb.3608:                             ;   in Loop: Header=BB25_17 Depth=1
	s_or_b32 exec_lo, exec_lo, s59
	s_delay_alu instid0(SALU_CYCLE_1)
	s_and_b32 s56, s56, exec_lo
	s_or_saveexec_b32 s58, s58
	v_mov_b32_e32 v13, s57
	s_xor_b32 exec_lo, exec_lo, s58
	s_cbranch_execz .LBB25_2946
.LBB25_3609:                            ;   in Loop: Header=BB25_17 Depth=1
	v_cmp_ne_u16_e64 s0, 0, v0
	v_mov_b32_e32 v13, 0
	s_and_not1_b32 s56, s56, exec_lo
	s_delay_alu instid0(VALU_DEP_2) | instskip(NEXT) | instid1(SALU_CYCLE_1)
	s_and_b32 s0, s0, exec_lo
	s_or_b32 s56, s56, s0
	s_or_b32 exec_lo, exec_lo, s58
	s_and_saveexec_b32 s57, s56
	s_cbranch_execnz .LBB25_2947
	s_branch .LBB25_2948
.LBB25_3610:                            ;   in Loop: Header=BB25_17 Depth=1
	s_mov_b32 s58, -1
	s_mov_b32 s61, exec_lo
                                        ; implicit-def: $sgpr59
	v_cmpx_eq_u16_e32 0x80, v0
; %bb.3611:                             ;   in Loop: Header=BB25_17 Depth=1
	s_mov_b32 s59, 0x7f800001
	s_xor_b32 s58, exec_lo, -1
; %bb.3612:                             ;   in Loop: Header=BB25_17 Depth=1
	s_or_b32 exec_lo, exec_lo, s61
	s_delay_alu instid0(SALU_CYCLE_1)
	s_and_b32 s58, s58, exec_lo
	s_or_saveexec_b32 s60, s60
	v_mov_b32_e32 v12, s59
	s_xor_b32 exec_lo, exec_lo, s60
	s_cbranch_execz .LBB25_3062
.LBB25_3613:                            ;   in Loop: Header=BB25_17 Depth=1
	v_cmp_ne_u16_e64 s0, 0, v0
	v_mov_b32_e32 v12, 0
	s_and_not1_b32 s58, s58, exec_lo
	s_delay_alu instid0(VALU_DEP_2) | instskip(NEXT) | instid1(SALU_CYCLE_1)
	s_and_b32 s0, s0, exec_lo
	s_or_b32 s58, s58, s0
	s_or_b32 exec_lo, exec_lo, s60
	s_and_saveexec_b32 s59, s58
	s_cbranch_execnz .LBB25_3063
	s_branch .LBB25_3064
.LBB25_3614:                            ;   in Loop: Header=BB25_17 Depth=1
	s_mov_b32 s58, -1
	s_mov_b32 s61, exec_lo
                                        ; implicit-def: $sgpr59
	v_cmpx_eq_u16_e32 0x80, v0
; %bb.3615:                             ;   in Loop: Header=BB25_17 Depth=1
	s_mov_b32 s59, 0x7f800001
	s_xor_b32 s58, exec_lo, -1
; %bb.3616:                             ;   in Loop: Header=BB25_17 Depth=1
	s_or_b32 exec_lo, exec_lo, s61
	s_delay_alu instid0(SALU_CYCLE_1)
	s_and_b32 s58, s58, exec_lo
	s_or_saveexec_b32 s60, s60
	v_mov_b32_e32 v13, s59
	s_xor_b32 exec_lo, exec_lo, s60
	s_cbranch_execz .LBB25_3162
.LBB25_3617:                            ;   in Loop: Header=BB25_17 Depth=1
	v_cmp_ne_u16_e64 s0, 0, v0
	v_mov_b32_e32 v13, 0
	s_and_not1_b32 s58, s58, exec_lo
	s_delay_alu instid0(VALU_DEP_2) | instskip(NEXT) | instid1(SALU_CYCLE_1)
	s_and_b32 s0, s0, exec_lo
	s_or_b32 s58, s58, s0
	s_or_b32 exec_lo, exec_lo, s60
	s_and_saveexec_b32 s59, s58
	s_cbranch_execnz .LBB25_3163
	s_branch .LBB25_3164
.LBB25_3618:                            ;   in Loop: Header=BB25_17 Depth=1
	s_mov_b32 s59, -1
	s_mov_b32 s62, exec_lo
                                        ; implicit-def: $sgpr60
	v_cmpx_eq_u16_e32 0x80, v0
; %bb.3619:                             ;   in Loop: Header=BB25_17 Depth=1
	s_mov_b32 s60, 0x7f800001
	s_xor_b32 s59, exec_lo, -1
; %bb.3620:                             ;   in Loop: Header=BB25_17 Depth=1
	s_or_b32 exec_lo, exec_lo, s62
	s_delay_alu instid0(SALU_CYCLE_1)
	s_and_b32 s59, s59, exec_lo
	s_or_saveexec_b32 s61, s61
	v_mov_b32_e32 v12, s60
	s_xor_b32 exec_lo, exec_lo, s61
	s_cbranch_execz .LBB25_3073
.LBB25_3621:                            ;   in Loop: Header=BB25_17 Depth=1
	v_cmp_ne_u16_e64 s0, 0, v0
	v_mov_b32_e32 v12, 0
	s_and_not1_b32 s59, s59, exec_lo
	s_delay_alu instid0(VALU_DEP_2) | instskip(NEXT) | instid1(SALU_CYCLE_1)
	s_and_b32 s0, s0, exec_lo
	s_or_b32 s59, s59, s0
	s_or_b32 exec_lo, exec_lo, s61
	s_and_saveexec_b32 s60, s59
	s_cbranch_execnz .LBB25_3074
	s_branch .LBB25_3075
.LBB25_3622:                            ;   in Loop: Header=BB25_17 Depth=1
	s_mov_b32 s59, -1
	s_mov_b32 s62, exec_lo
                                        ; implicit-def: $sgpr60
	v_cmpx_eq_u16_e32 0x80, v0
; %bb.3623:                             ;   in Loop: Header=BB25_17 Depth=1
	s_mov_b32 s60, 0x7f800001
	s_xor_b32 s59, exec_lo, -1
; %bb.3624:                             ;   in Loop: Header=BB25_17 Depth=1
	s_or_b32 exec_lo, exec_lo, s62
	s_delay_alu instid0(SALU_CYCLE_1)
	s_and_b32 s59, s59, exec_lo
	s_or_saveexec_b32 s61, s61
	v_mov_b32_e32 v13, s60
	s_xor_b32 exec_lo, exec_lo, s61
	s_cbranch_execz .LBB25_3173
.LBB25_3625:                            ;   in Loop: Header=BB25_17 Depth=1
	v_cmp_ne_u16_e64 s0, 0, v0
	v_mov_b32_e32 v13, 0
	s_and_not1_b32 s59, s59, exec_lo
	s_delay_alu instid0(VALU_DEP_2) | instskip(NEXT) | instid1(SALU_CYCLE_1)
	s_and_b32 s0, s0, exec_lo
	s_or_b32 s59, s59, s0
	s_or_b32 exec_lo, exec_lo, s61
	s_and_saveexec_b32 s60, s59
	s_cbranch_execnz .LBB25_3174
	s_branch .LBB25_3175
.LBB25_3626:                            ;   in Loop: Header=BB25_17 Depth=1
	s_mov_b32 s61, -1
	s_mov_b32 s64, exec_lo
                                        ; implicit-def: $sgpr62
	v_cmpx_eq_u16_e32 0x80, v0
; %bb.3627:                             ;   in Loop: Header=BB25_17 Depth=1
	s_mov_b32 s62, 0x7f800001
	s_xor_b32 s61, exec_lo, -1
; %bb.3628:                             ;   in Loop: Header=BB25_17 Depth=1
	s_or_b32 exec_lo, exec_lo, s64
	s_delay_alu instid0(SALU_CYCLE_1)
	s_and_b32 s61, s61, exec_lo
	s_or_saveexec_b32 s63, s63
	v_mov_b32_e32 v12, s62
	s_xor_b32 exec_lo, exec_lo, s63
	s_cbranch_execz .LBB25_3289
.LBB25_3629:                            ;   in Loop: Header=BB25_17 Depth=1
	v_cmp_ne_u16_e64 s0, 0, v0
	v_mov_b32_e32 v12, 0
	s_and_not1_b32 s61, s61, exec_lo
	s_delay_alu instid0(VALU_DEP_2) | instskip(NEXT) | instid1(SALU_CYCLE_1)
	s_and_b32 s0, s0, exec_lo
	s_or_b32 s61, s61, s0
	s_or_b32 exec_lo, exec_lo, s63
	s_and_saveexec_b32 s62, s61
	s_cbranch_execnz .LBB25_3290
	s_branch .LBB25_3291
.LBB25_3630:                            ;   in Loop: Header=BB25_17 Depth=1
	s_mov_b32 s61, -1
	s_mov_b32 s64, exec_lo
                                        ; implicit-def: $sgpr62
	v_cmpx_eq_u16_e32 0x80, v0
; %bb.3631:                             ;   in Loop: Header=BB25_17 Depth=1
	s_mov_b32 s62, 0x7f800001
	s_xor_b32 s61, exec_lo, -1
; %bb.3632:                             ;   in Loop: Header=BB25_17 Depth=1
	s_or_b32 exec_lo, exec_lo, s64
	s_delay_alu instid0(SALU_CYCLE_1)
	s_and_b32 s61, s61, exec_lo
	s_or_saveexec_b32 s63, s63
	v_mov_b32_e32 v13, s62
	s_xor_b32 exec_lo, exec_lo, s63
	s_cbranch_execz .LBB25_3389
.LBB25_3633:                            ;   in Loop: Header=BB25_17 Depth=1
	v_cmp_ne_u16_e64 s0, 0, v0
	v_mov_b32_e32 v13, 0
	s_and_not1_b32 s61, s61, exec_lo
	s_delay_alu instid0(VALU_DEP_2) | instskip(NEXT) | instid1(SALU_CYCLE_1)
	s_and_b32 s0, s0, exec_lo
	s_or_b32 s61, s61, s0
	s_or_b32 exec_lo, exec_lo, s63
	s_and_saveexec_b32 s62, s61
	s_cbranch_execnz .LBB25_3390
	s_branch .LBB25_3391
.LBB25_3634:                            ;   in Loop: Header=BB25_17 Depth=1
	s_mov_b32 s62, -1
	s_mov_b32 s65, exec_lo
                                        ; implicit-def: $sgpr63
	v_cmpx_eq_u16_e32 0x80, v0
; %bb.3635:                             ;   in Loop: Header=BB25_17 Depth=1
	s_mov_b32 s63, 0x7f800001
	s_xor_b32 s62, exec_lo, -1
; %bb.3636:                             ;   in Loop: Header=BB25_17 Depth=1
	s_or_b32 exec_lo, exec_lo, s65
	s_delay_alu instid0(SALU_CYCLE_1)
	s_and_b32 s62, s62, exec_lo
	s_or_saveexec_b32 s64, s64
	v_mov_b32_e32 v12, s63
	s_xor_b32 exec_lo, exec_lo, s64
	s_cbranch_execz .LBB25_3300
.LBB25_3637:                            ;   in Loop: Header=BB25_17 Depth=1
	v_cmp_ne_u16_e64 s0, 0, v0
	v_mov_b32_e32 v12, 0
	s_and_not1_b32 s62, s62, exec_lo
	s_delay_alu instid0(VALU_DEP_2) | instskip(NEXT) | instid1(SALU_CYCLE_1)
	s_and_b32 s0, s0, exec_lo
	s_or_b32 s62, s62, s0
	s_or_b32 exec_lo, exec_lo, s64
	s_and_saveexec_b32 s63, s62
	s_cbranch_execnz .LBB25_3301
	s_branch .LBB25_3302
.LBB25_3638:                            ;   in Loop: Header=BB25_17 Depth=1
	s_mov_b32 s62, -1
	s_mov_b32 s65, exec_lo
                                        ; implicit-def: $sgpr63
	v_cmpx_eq_u16_e32 0x80, v0
; %bb.3639:                             ;   in Loop: Header=BB25_17 Depth=1
	s_mov_b32 s63, 0x7f800001
	s_xor_b32 s62, exec_lo, -1
; %bb.3640:                             ;   in Loop: Header=BB25_17 Depth=1
	s_or_b32 exec_lo, exec_lo, s65
	s_delay_alu instid0(SALU_CYCLE_1)
	s_and_b32 s62, s62, exec_lo
	s_or_saveexec_b32 s64, s64
	v_mov_b32_e32 v13, s63
	s_xor_b32 exec_lo, exec_lo, s64
	s_cbranch_execz .LBB25_3400
.LBB25_3641:                            ;   in Loop: Header=BB25_17 Depth=1
	v_cmp_ne_u16_e64 s0, 0, v0
	v_mov_b32_e32 v13, 0
	s_and_not1_b32 s62, s62, exec_lo
	s_delay_alu instid0(VALU_DEP_2) | instskip(NEXT) | instid1(SALU_CYCLE_1)
	s_and_b32 s0, s0, exec_lo
	s_or_b32 s62, s62, s0
	s_or_b32 exec_lo, exec_lo, s64
	s_and_saveexec_b32 s63, s62
	s_cbranch_execnz .LBB25_3401
	s_branch .LBB25_3402
.LBB25_3642:                            ;   in Loop: Header=BB25_17 Depth=1
	s_mov_b32 s64, -1
	s_mov_b32 s67, exec_lo
                                        ; implicit-def: $sgpr65
	v_cmpx_eq_u16_e32 0x80, v0
; %bb.3643:                             ;   in Loop: Header=BB25_17 Depth=1
	s_mov_b32 s65, 0x7f800001
	s_xor_b32 s64, exec_lo, -1
; %bb.3644:                             ;   in Loop: Header=BB25_17 Depth=1
	s_or_b32 exec_lo, exec_lo, s67
	s_delay_alu instid0(SALU_CYCLE_1)
	s_and_b32 s64, s64, exec_lo
	s_or_saveexec_b32 s66, s66
	v_mov_b32_e32 v12, s65
	s_xor_b32 exec_lo, exec_lo, s66
	s_cbranch_execz .LBB25_3513
.LBB25_3645:                            ;   in Loop: Header=BB25_17 Depth=1
	v_cmp_ne_u16_e64 s0, 0, v0
	v_mov_b32_e32 v12, 0
	s_and_not1_b32 s64, s64, exec_lo
	s_delay_alu instid0(VALU_DEP_2) | instskip(NEXT) | instid1(SALU_CYCLE_1)
	s_and_b32 s0, s0, exec_lo
	s_or_b32 s64, s64, s0
	s_or_b32 exec_lo, exec_lo, s66
	s_and_saveexec_b32 s65, s64
	s_cbranch_execnz .LBB25_3514
	s_branch .LBB25_3515
.LBB25_3646:                            ;   in Loop: Header=BB25_17 Depth=1
	s_mov_b32 s65, -1
	s_mov_b32 s68, exec_lo
                                        ; implicit-def: $sgpr66
	v_cmpx_eq_u16_e32 0x80, v0
; %bb.3647:                             ;   in Loop: Header=BB25_17 Depth=1
	s_mov_b32 s66, 0x7f800001
	s_xor_b32 s65, exec_lo, -1
; %bb.3648:                             ;   in Loop: Header=BB25_17 Depth=1
	s_or_b32 exec_lo, exec_lo, s68
	s_delay_alu instid0(SALU_CYCLE_1)
	s_and_b32 s65, s65, exec_lo
	s_or_saveexec_b32 s67, s67
	v_mov_b32_e32 v12, s66
	s_xor_b32 exec_lo, exec_lo, s67
	s_cbranch_execz .LBB25_3524
.LBB25_3649:                            ;   in Loop: Header=BB25_17 Depth=1
	v_cmp_ne_u16_e64 s0, 0, v0
	v_mov_b32_e32 v12, 0
	s_and_not1_b32 s65, s65, exec_lo
	s_delay_alu instid0(VALU_DEP_2) | instskip(NEXT) | instid1(SALU_CYCLE_1)
	s_and_b32 s0, s0, exec_lo
	s_or_b32 s65, s65, s0
	s_or_b32 exec_lo, exec_lo, s67
	s_and_saveexec_b32 s66, s65
	s_cbranch_execnz .LBB25_3525
	s_branch .LBB25_3526
.LBB25_3650:
	s_or_b32 exec_lo, exec_lo, s4
	s_xor_b32 s1, s3, -1
	s_xor_b32 s2, s2, -1
	s_mov_b32 s0, 0
	s_and_saveexec_b32 s3, s2
	s_delay_alu instid0(SALU_CYCLE_1)
	s_xor_b32 s39, exec_lo, s3
	s_cbranch_execz .LBB25_4214
; %bb.3651:
	s_and_saveexec_b32 s2, s1
	s_delay_alu instid0(SALU_CYCLE_1)
	s_xor_b32 s40, exec_lo, s2
	s_cbranch_execz .LBB25_4212
; %bb.3652:
	v_cndmask_b32_e64 v71, 0, 1, vcc_lo
	v_cmp_lt_i32_e64 s37, v133, v146
                                        ; implicit-def: $vgpr132
	s_delay_alu instid0(VALU_DEP_1)
	s_and_saveexec_b32 s41, s37
	s_cbranch_execz .LBB25_3654
; %bb.3653:
	scratch_load_b64 v[1:2], off, s33 offset:16
	v_mov_b32_e32 v0, v71
	s_getpc_b64 s[0:1]
	s_add_u32 s0, s0, _ZN3c104guts5applyIRN12_GLOBAL__N_110CalcIgammaIfEERSt5tupleIJffEEEEDaOT_OT0_@rel32@lo+4
	s_addc_u32 s1, s1, _ZN3c104guts5applyIRN12_GLOBAL__N_110CalcIgammaIfEERSt5tupleIJffEEEEDaOT_OT0_@rel32@hi+12
	s_delay_alu instid0(SALU_CYCLE_1)
	s_swappc_b64 s[30:31], s[0:1]
	v_mov_b32_e32 v132, v0
.LBB25_3654:
	s_or_b32 exec_lo, exec_lo, s41
	v_add_nc_u32_e32 v87, 0x200, v133
	s_mov_b32 s41, exec_lo
                                        ; implicit-def: $vgpr131
	s_delay_alu instid0(VALU_DEP_1)
	v_cmpx_lt_i32_e64 v87, v146
	s_cbranch_execz .LBB25_3656
; %bb.3655:
	scratch_load_b64 v[1:2], off, s33 offset:24
	v_mov_b32_e32 v0, v71
	s_getpc_b64 s[0:1]
	s_add_u32 s0, s0, _ZN3c104guts5applyIRN12_GLOBAL__N_110CalcIgammaIfEERSt5tupleIJffEEEEDaOT_OT0_@rel32@lo+4
	s_addc_u32 s1, s1, _ZN3c104guts5applyIRN12_GLOBAL__N_110CalcIgammaIfEERSt5tupleIJffEEEEDaOT_OT0_@rel32@hi+12
	s_delay_alu instid0(SALU_CYCLE_1)
	s_swappc_b64 s[30:31], s[0:1]
	v_mov_b32_e32 v131, v0
.LBB25_3656:
	s_or_b32 exec_lo, exec_lo, s41
	v_or_b32_e32 v0, 0x400, v133
	s_mov_b32 s41, exec_lo
                                        ; implicit-def: $vgpr130
	s_delay_alu instid0(VALU_DEP_1)
	v_cmpx_lt_i32_e64 v0, v146
	s_cbranch_execz .LBB25_3658
; %bb.3657:
	scratch_load_b64 v[1:2], off, s33 offset:32
	v_mov_b32_e32 v0, v71
	s_getpc_b64 s[0:1]
	s_add_u32 s0, s0, _ZN3c104guts5applyIRN12_GLOBAL__N_110CalcIgammaIfEERSt5tupleIJffEEEEDaOT_OT0_@rel32@lo+4
	s_addc_u32 s1, s1, _ZN3c104guts5applyIRN12_GLOBAL__N_110CalcIgammaIfEERSt5tupleIJffEEEEDaOT_OT0_@rel32@hi+12
	s_delay_alu instid0(SALU_CYCLE_1)
	s_swappc_b64 s[30:31], s[0:1]
	v_mov_b32_e32 v130, v0
.LBB25_3658:
	s_or_b32 exec_lo, exec_lo, s41
	v_add_nc_u32_e32 v0, 0x600, v133
	s_mov_b32 s41, exec_lo
                                        ; implicit-def: $vgpr129
	s_delay_alu instid0(VALU_DEP_1)
	v_cmpx_lt_i32_e64 v0, v146
	s_cbranch_execz .LBB25_3660
; %bb.3659:
	scratch_load_b64 v[1:2], off, s33 offset:40
	v_mov_b32_e32 v0, v71
	s_getpc_b64 s[0:1]
	s_add_u32 s0, s0, _ZN3c104guts5applyIRN12_GLOBAL__N_110CalcIgammaIfEERSt5tupleIJffEEEEDaOT_OT0_@rel32@lo+4
	s_addc_u32 s1, s1, _ZN3c104guts5applyIRN12_GLOBAL__N_110CalcIgammaIfEERSt5tupleIJffEEEEDaOT_OT0_@rel32@hi+12
	s_delay_alu instid0(SALU_CYCLE_1)
	s_swappc_b64 s[30:31], s[0:1]
	v_mov_b32_e32 v129, v0
.LBB25_3660:
	s_or_b32 exec_lo, exec_lo, s41
	v_or_b32_e32 v0, 0x800, v133
	s_mov_b32 s41, exec_lo
                                        ; implicit-def: $vgpr128
	s_delay_alu instid0(VALU_DEP_1)
	v_cmpx_lt_i32_e64 v0, v146
	s_cbranch_execz .LBB25_3662
; %bb.3661:
	scratch_load_b64 v[1:2], off, s33 offset:48
	v_mov_b32_e32 v0, v71
	s_getpc_b64 s[0:1]
	s_add_u32 s0, s0, _ZN3c104guts5applyIRN12_GLOBAL__N_110CalcIgammaIfEERSt5tupleIJffEEEEDaOT_OT0_@rel32@lo+4
	s_addc_u32 s1, s1, _ZN3c104guts5applyIRN12_GLOBAL__N_110CalcIgammaIfEERSt5tupleIJffEEEEDaOT_OT0_@rel32@hi+12
	s_delay_alu instid0(SALU_CYCLE_1)
	s_swappc_b64 s[30:31], s[0:1]
	v_mov_b32_e32 v128, v0
.LBB25_3662:
	s_or_b32 exec_lo, exec_lo, s41
	v_add_nc_u32_e32 v0, 0xa00, v133
	s_mov_b32 s41, exec_lo
                                        ; implicit-def: $vgpr118
	s_delay_alu instid0(VALU_DEP_1)
	v_cmpx_lt_i32_e64 v0, v146
	s_cbranch_execz .LBB25_3664
; %bb.3663:
	scratch_load_b64 v[1:2], off, s33 offset:56
	v_mov_b32_e32 v0, v71
	s_getpc_b64 s[0:1]
	s_add_u32 s0, s0, _ZN3c104guts5applyIRN12_GLOBAL__N_110CalcIgammaIfEERSt5tupleIJffEEEEDaOT_OT0_@rel32@lo+4
	s_addc_u32 s1, s1, _ZN3c104guts5applyIRN12_GLOBAL__N_110CalcIgammaIfEERSt5tupleIJffEEEEDaOT_OT0_@rel32@hi+12
	s_delay_alu instid0(SALU_CYCLE_1)
	s_swappc_b64 s[30:31], s[0:1]
	v_mov_b32_e32 v118, v0
.LBB25_3664:
	s_or_b32 exec_lo, exec_lo, s41
	v_or_b32_e32 v0, 0xc00, v133
	s_mov_b32 s41, exec_lo
                                        ; implicit-def: $vgpr117
	s_delay_alu instid0(VALU_DEP_1)
	v_cmpx_lt_i32_e64 v0, v146
	s_cbranch_execz .LBB25_3666
; %bb.3665:
	scratch_load_b64 v[1:2], off, s33 offset:64
	v_mov_b32_e32 v0, v71
	s_getpc_b64 s[0:1]
	s_add_u32 s0, s0, _ZN3c104guts5applyIRN12_GLOBAL__N_110CalcIgammaIfEERSt5tupleIJffEEEEDaOT_OT0_@rel32@lo+4
	s_addc_u32 s1, s1, _ZN3c104guts5applyIRN12_GLOBAL__N_110CalcIgammaIfEERSt5tupleIJffEEEEDaOT_OT0_@rel32@hi+12
	s_delay_alu instid0(SALU_CYCLE_1)
	s_swappc_b64 s[30:31], s[0:1]
	v_mov_b32_e32 v117, v0
.LBB25_3666:
	s_or_b32 exec_lo, exec_lo, s41
	v_add_nc_u32_e32 v0, 0xe00, v133
	s_mov_b32 s41, exec_lo
                                        ; implicit-def: $vgpr116
	s_delay_alu instid0(VALU_DEP_1)
	v_cmpx_lt_i32_e64 v0, v146
	s_cbranch_execz .LBB25_3668
; %bb.3667:
	scratch_load_b64 v[1:2], off, s33 offset:72
	v_mov_b32_e32 v0, v71
	s_getpc_b64 s[0:1]
	s_add_u32 s0, s0, _ZN3c104guts5applyIRN12_GLOBAL__N_110CalcIgammaIfEERSt5tupleIJffEEEEDaOT_OT0_@rel32@lo+4
	s_addc_u32 s1, s1, _ZN3c104guts5applyIRN12_GLOBAL__N_110CalcIgammaIfEERSt5tupleIJffEEEEDaOT_OT0_@rel32@hi+12
	s_delay_alu instid0(SALU_CYCLE_1)
	s_swappc_b64 s[30:31], s[0:1]
	v_mov_b32_e32 v116, v0
.LBB25_3668:
	s_or_b32 exec_lo, exec_lo, s41
	v_or_b32_e32 v0, 0x1000, v133
	s_mov_b32 s41, exec_lo
                                        ; implicit-def: $vgpr115
	s_delay_alu instid0(VALU_DEP_1)
	v_cmpx_lt_i32_e64 v0, v146
	s_cbranch_execz .LBB25_3670
; %bb.3669:
	scratch_load_b64 v[1:2], off, s33 offset:80
	v_mov_b32_e32 v0, v71
	s_getpc_b64 s[0:1]
	s_add_u32 s0, s0, _ZN3c104guts5applyIRN12_GLOBAL__N_110CalcIgammaIfEERSt5tupleIJffEEEEDaOT_OT0_@rel32@lo+4
	s_addc_u32 s1, s1, _ZN3c104guts5applyIRN12_GLOBAL__N_110CalcIgammaIfEERSt5tupleIJffEEEEDaOT_OT0_@rel32@hi+12
	s_delay_alu instid0(SALU_CYCLE_1)
	s_swappc_b64 s[30:31], s[0:1]
	v_mov_b32_e32 v115, v0
.LBB25_3670:
	s_or_b32 exec_lo, exec_lo, s41
	v_add_nc_u32_e32 v0, 0x1200, v133
	s_mov_b32 s41, exec_lo
                                        ; implicit-def: $vgpr114
	s_delay_alu instid0(VALU_DEP_1)
	v_cmpx_lt_i32_e64 v0, v146
	s_cbranch_execz .LBB25_3672
; %bb.3671:
	scratch_load_b64 v[1:2], off, s33 offset:88
	v_mov_b32_e32 v0, v71
	s_getpc_b64 s[0:1]
	s_add_u32 s0, s0, _ZN3c104guts5applyIRN12_GLOBAL__N_110CalcIgammaIfEERSt5tupleIJffEEEEDaOT_OT0_@rel32@lo+4
	s_addc_u32 s1, s1, _ZN3c104guts5applyIRN12_GLOBAL__N_110CalcIgammaIfEERSt5tupleIJffEEEEDaOT_OT0_@rel32@hi+12
	s_delay_alu instid0(SALU_CYCLE_1)
	s_swappc_b64 s[30:31], s[0:1]
	v_mov_b32_e32 v114, v0
.LBB25_3672:
	s_or_b32 exec_lo, exec_lo, s41
	v_or_b32_e32 v0, 0x1400, v133
	s_mov_b32 s41, exec_lo
                                        ; implicit-def: $vgpr113
	s_delay_alu instid0(VALU_DEP_1)
	v_cmpx_lt_i32_e64 v0, v146
	s_cbranch_execz .LBB25_3674
; %bb.3673:
	scratch_load_b64 v[1:2], off, s33 offset:96
	v_mov_b32_e32 v0, v71
	s_getpc_b64 s[0:1]
	s_add_u32 s0, s0, _ZN3c104guts5applyIRN12_GLOBAL__N_110CalcIgammaIfEERSt5tupleIJffEEEEDaOT_OT0_@rel32@lo+4
	s_addc_u32 s1, s1, _ZN3c104guts5applyIRN12_GLOBAL__N_110CalcIgammaIfEERSt5tupleIJffEEEEDaOT_OT0_@rel32@hi+12
	s_delay_alu instid0(SALU_CYCLE_1)
	s_swappc_b64 s[30:31], s[0:1]
	v_mov_b32_e32 v113, v0
.LBB25_3674:
	s_or_b32 exec_lo, exec_lo, s41
	v_add_nc_u32_e32 v0, 0x1600, v133
	s_mov_b32 s41, exec_lo
                                        ; implicit-def: $vgpr112
	s_delay_alu instid0(VALU_DEP_1)
	v_cmpx_lt_i32_e64 v0, v146
	s_cbranch_execz .LBB25_3676
; %bb.3675:
	scratch_load_b64 v[1:2], off, s33 offset:104
	v_mov_b32_e32 v0, v71
	s_getpc_b64 s[0:1]
	s_add_u32 s0, s0, _ZN3c104guts5applyIRN12_GLOBAL__N_110CalcIgammaIfEERSt5tupleIJffEEEEDaOT_OT0_@rel32@lo+4
	s_addc_u32 s1, s1, _ZN3c104guts5applyIRN12_GLOBAL__N_110CalcIgammaIfEERSt5tupleIJffEEEEDaOT_OT0_@rel32@hi+12
	s_delay_alu instid0(SALU_CYCLE_1)
	s_swappc_b64 s[30:31], s[0:1]
	v_mov_b32_e32 v112, v0
.LBB25_3676:
	s_or_b32 exec_lo, exec_lo, s41
	v_or_b32_e32 v0, 0x1800, v133
	s_mov_b32 s41, exec_lo
                                        ; implicit-def: $vgpr102
	s_delay_alu instid0(VALU_DEP_1)
	v_cmpx_lt_i32_e64 v0, v146
	s_cbranch_execz .LBB25_3678
; %bb.3677:
	scratch_load_b64 v[1:2], off, s33 offset:112
	v_mov_b32_e32 v0, v71
	s_getpc_b64 s[0:1]
	s_add_u32 s0, s0, _ZN3c104guts5applyIRN12_GLOBAL__N_110CalcIgammaIfEERSt5tupleIJffEEEEDaOT_OT0_@rel32@lo+4
	s_addc_u32 s1, s1, _ZN3c104guts5applyIRN12_GLOBAL__N_110CalcIgammaIfEERSt5tupleIJffEEEEDaOT_OT0_@rel32@hi+12
	s_delay_alu instid0(SALU_CYCLE_1)
	s_swappc_b64 s[30:31], s[0:1]
	v_mov_b32_e32 v102, v0
.LBB25_3678:
	s_or_b32 exec_lo, exec_lo, s41
	v_add_nc_u32_e32 v0, 0x1a00, v133
	s_mov_b32 s41, exec_lo
                                        ; implicit-def: $vgpr101
	s_delay_alu instid0(VALU_DEP_1)
	v_cmpx_lt_i32_e64 v0, v146
	s_cbranch_execz .LBB25_3680
; %bb.3679:
	scratch_load_b64 v[1:2], off, s33 offset:120
	v_mov_b32_e32 v0, v71
	s_getpc_b64 s[0:1]
	s_add_u32 s0, s0, _ZN3c104guts5applyIRN12_GLOBAL__N_110CalcIgammaIfEERSt5tupleIJffEEEEDaOT_OT0_@rel32@lo+4
	s_addc_u32 s1, s1, _ZN3c104guts5applyIRN12_GLOBAL__N_110CalcIgammaIfEERSt5tupleIJffEEEEDaOT_OT0_@rel32@hi+12
	s_delay_alu instid0(SALU_CYCLE_1)
	s_swappc_b64 s[30:31], s[0:1]
	v_mov_b32_e32 v101, v0
.LBB25_3680:
	s_or_b32 exec_lo, exec_lo, s41
	v_or_b32_e32 v0, 0x1c00, v133
	s_mov_b32 s41, exec_lo
                                        ; implicit-def: $vgpr100
	s_delay_alu instid0(VALU_DEP_1)
	v_cmpx_lt_i32_e64 v0, v146
	s_cbranch_execz .LBB25_3682
; %bb.3681:
	scratch_load_b64 v[1:2], off, s33 offset:128
	v_mov_b32_e32 v0, v71
	s_getpc_b64 s[0:1]
	s_add_u32 s0, s0, _ZN3c104guts5applyIRN12_GLOBAL__N_110CalcIgammaIfEERSt5tupleIJffEEEEDaOT_OT0_@rel32@lo+4
	s_addc_u32 s1, s1, _ZN3c104guts5applyIRN12_GLOBAL__N_110CalcIgammaIfEERSt5tupleIJffEEEEDaOT_OT0_@rel32@hi+12
	s_delay_alu instid0(SALU_CYCLE_1)
	s_swappc_b64 s[30:31], s[0:1]
	v_mov_b32_e32 v100, v0
.LBB25_3682:
	s_or_b32 exec_lo, exec_lo, s41
	v_add_nc_u32_e32 v0, 0x1e00, v133
	s_mov_b32 s41, exec_lo
                                        ; implicit-def: $vgpr99
	s_delay_alu instid0(VALU_DEP_1)
	v_cmpx_lt_i32_e64 v0, v146
	s_cbranch_execz .LBB25_3684
; %bb.3683:
	scratch_load_b64 v[1:2], off, s33 offset:136
	v_mov_b32_e32 v0, v71
	s_getpc_b64 s[0:1]
	s_add_u32 s0, s0, _ZN3c104guts5applyIRN12_GLOBAL__N_110CalcIgammaIfEERSt5tupleIJffEEEEDaOT_OT0_@rel32@lo+4
	s_addc_u32 s1, s1, _ZN3c104guts5applyIRN12_GLOBAL__N_110CalcIgammaIfEERSt5tupleIJffEEEEDaOT_OT0_@rel32@hi+12
	s_delay_alu instid0(SALU_CYCLE_1)
	s_swappc_b64 s[30:31], s[0:1]
	v_mov_b32_e32 v99, v0
.LBB25_3684:
	s_or_b32 exec_lo, exec_lo, s41
	v_or_b32_e32 v0, 0x2000, v133
	s_mov_b32 s41, exec_lo
                                        ; implicit-def: $vgpr98
	s_delay_alu instid0(VALU_DEP_1)
	v_cmpx_lt_i32_e64 v0, v146
	s_cbranch_execz .LBB25_3686
; %bb.3685:
	scratch_load_b64 v[1:2], off, s33 offset:144
	v_mov_b32_e32 v0, v71
	s_getpc_b64 s[0:1]
	s_add_u32 s0, s0, _ZN3c104guts5applyIRN12_GLOBAL__N_110CalcIgammaIfEERSt5tupleIJffEEEEDaOT_OT0_@rel32@lo+4
	s_addc_u32 s1, s1, _ZN3c104guts5applyIRN12_GLOBAL__N_110CalcIgammaIfEERSt5tupleIJffEEEEDaOT_OT0_@rel32@hi+12
	s_delay_alu instid0(SALU_CYCLE_1)
	s_swappc_b64 s[30:31], s[0:1]
	v_mov_b32_e32 v98, v0
.LBB25_3686:
	s_or_b32 exec_lo, exec_lo, s41
	v_add_nc_u32_e32 v0, 0x2200, v133
	s_mov_b32 s41, exec_lo
                                        ; implicit-def: $vgpr97
	s_delay_alu instid0(VALU_DEP_1)
	v_cmpx_lt_i32_e64 v0, v146
	s_cbranch_execz .LBB25_3688
; %bb.3687:
	scratch_load_b64 v[1:2], off, s33 offset:152
	v_mov_b32_e32 v0, v71
	s_getpc_b64 s[0:1]
	s_add_u32 s0, s0, _ZN3c104guts5applyIRN12_GLOBAL__N_110CalcIgammaIfEERSt5tupleIJffEEEEDaOT_OT0_@rel32@lo+4
	s_addc_u32 s1, s1, _ZN3c104guts5applyIRN12_GLOBAL__N_110CalcIgammaIfEERSt5tupleIJffEEEEDaOT_OT0_@rel32@hi+12
	s_delay_alu instid0(SALU_CYCLE_1)
	s_swappc_b64 s[30:31], s[0:1]
	v_mov_b32_e32 v97, v0
.LBB25_3688:
	s_or_b32 exec_lo, exec_lo, s41
	v_or_b32_e32 v0, 0x2400, v133
	s_mov_b32 s41, exec_lo
                                        ; implicit-def: $vgpr96
	s_delay_alu instid0(VALU_DEP_1)
	v_cmpx_lt_i32_e64 v0, v146
	s_cbranch_execz .LBB25_3690
; %bb.3689:
	scratch_load_b64 v[1:2], off, s33 offset:160
	v_mov_b32_e32 v0, v71
	s_getpc_b64 s[0:1]
	s_add_u32 s0, s0, _ZN3c104guts5applyIRN12_GLOBAL__N_110CalcIgammaIfEERSt5tupleIJffEEEEDaOT_OT0_@rel32@lo+4
	s_addc_u32 s1, s1, _ZN3c104guts5applyIRN12_GLOBAL__N_110CalcIgammaIfEERSt5tupleIJffEEEEDaOT_OT0_@rel32@hi+12
	s_delay_alu instid0(SALU_CYCLE_1)
	s_swappc_b64 s[30:31], s[0:1]
	v_mov_b32_e32 v96, v0
.LBB25_3690:
	s_or_b32 exec_lo, exec_lo, s41
	v_add_nc_u32_e32 v0, 0x2600, v133
	s_mov_b32 s41, exec_lo
                                        ; implicit-def: $vgpr86
	s_delay_alu instid0(VALU_DEP_1)
	v_cmpx_lt_i32_e64 v0, v146
	s_cbranch_execz .LBB25_3692
; %bb.3691:
	scratch_load_b64 v[1:2], off, s33 offset:168
	v_mov_b32_e32 v0, v71
	s_getpc_b64 s[0:1]
	s_add_u32 s0, s0, _ZN3c104guts5applyIRN12_GLOBAL__N_110CalcIgammaIfEERSt5tupleIJffEEEEDaOT_OT0_@rel32@lo+4
	s_addc_u32 s1, s1, _ZN3c104guts5applyIRN12_GLOBAL__N_110CalcIgammaIfEERSt5tupleIJffEEEEDaOT_OT0_@rel32@hi+12
	s_delay_alu instid0(SALU_CYCLE_1)
	s_swappc_b64 s[30:31], s[0:1]
	v_mov_b32_e32 v86, v0
.LBB25_3692:
	s_or_b32 exec_lo, exec_lo, s41
	v_or_b32_e32 v0, 0x2800, v133
	s_mov_b32 s41, exec_lo
                                        ; implicit-def: $vgpr85
	s_delay_alu instid0(VALU_DEP_1)
	v_cmpx_lt_i32_e64 v0, v146
	s_cbranch_execz .LBB25_3694
; %bb.3693:
	scratch_load_b64 v[1:2], off, s33 offset:176
	v_mov_b32_e32 v0, v71
	s_getpc_b64 s[0:1]
	s_add_u32 s0, s0, _ZN3c104guts5applyIRN12_GLOBAL__N_110CalcIgammaIfEERSt5tupleIJffEEEEDaOT_OT0_@rel32@lo+4
	s_addc_u32 s1, s1, _ZN3c104guts5applyIRN12_GLOBAL__N_110CalcIgammaIfEERSt5tupleIJffEEEEDaOT_OT0_@rel32@hi+12
	s_delay_alu instid0(SALU_CYCLE_1)
	s_swappc_b64 s[30:31], s[0:1]
	v_mov_b32_e32 v85, v0
.LBB25_3694:
	s_or_b32 exec_lo, exec_lo, s41
	v_add_nc_u32_e32 v0, 0x2a00, v133
	s_mov_b32 s41, exec_lo
                                        ; implicit-def: $vgpr84
	s_delay_alu instid0(VALU_DEP_1)
	v_cmpx_lt_i32_e64 v0, v146
	s_cbranch_execz .LBB25_3696
; %bb.3695:
	scratch_load_b64 v[1:2], off, s33 offset:184
	v_mov_b32_e32 v0, v71
	s_getpc_b64 s[0:1]
	s_add_u32 s0, s0, _ZN3c104guts5applyIRN12_GLOBAL__N_110CalcIgammaIfEERSt5tupleIJffEEEEDaOT_OT0_@rel32@lo+4
	s_addc_u32 s1, s1, _ZN3c104guts5applyIRN12_GLOBAL__N_110CalcIgammaIfEERSt5tupleIJffEEEEDaOT_OT0_@rel32@hi+12
	s_delay_alu instid0(SALU_CYCLE_1)
	s_swappc_b64 s[30:31], s[0:1]
	v_mov_b32_e32 v84, v0
.LBB25_3696:
	s_or_b32 exec_lo, exec_lo, s41
	v_or_b32_e32 v0, 0x2c00, v133
	s_mov_b32 s41, exec_lo
                                        ; implicit-def: $vgpr83
	s_delay_alu instid0(VALU_DEP_1)
	v_cmpx_lt_i32_e64 v0, v146
	s_cbranch_execz .LBB25_3698
; %bb.3697:
	scratch_load_b64 v[1:2], off, s33 offset:192
	v_mov_b32_e32 v0, v71
	s_getpc_b64 s[0:1]
	s_add_u32 s0, s0, _ZN3c104guts5applyIRN12_GLOBAL__N_110CalcIgammaIfEERSt5tupleIJffEEEEDaOT_OT0_@rel32@lo+4
	s_addc_u32 s1, s1, _ZN3c104guts5applyIRN12_GLOBAL__N_110CalcIgammaIfEERSt5tupleIJffEEEEDaOT_OT0_@rel32@hi+12
	s_delay_alu instid0(SALU_CYCLE_1)
	s_swappc_b64 s[30:31], s[0:1]
	v_mov_b32_e32 v83, v0
.LBB25_3698:
	s_or_b32 exec_lo, exec_lo, s41
	v_add_nc_u32_e32 v0, 0x2e00, v133
	s_mov_b32 s41, exec_lo
                                        ; implicit-def: $vgpr82
	s_delay_alu instid0(VALU_DEP_1)
	v_cmpx_lt_i32_e64 v0, v146
	s_cbranch_execz .LBB25_3700
; %bb.3699:
	scratch_load_b64 v[1:2], off, s33 offset:200
	v_mov_b32_e32 v0, v71
	s_getpc_b64 s[0:1]
	s_add_u32 s0, s0, _ZN3c104guts5applyIRN12_GLOBAL__N_110CalcIgammaIfEERSt5tupleIJffEEEEDaOT_OT0_@rel32@lo+4
	s_addc_u32 s1, s1, _ZN3c104guts5applyIRN12_GLOBAL__N_110CalcIgammaIfEERSt5tupleIJffEEEEDaOT_OT0_@rel32@hi+12
	s_delay_alu instid0(SALU_CYCLE_1)
	s_swappc_b64 s[30:31], s[0:1]
	v_mov_b32_e32 v82, v0
.LBB25_3700:
	s_or_b32 exec_lo, exec_lo, s41
	v_or_b32_e32 v0, 0x3000, v133
	s_mov_b32 s41, exec_lo
                                        ; implicit-def: $vgpr81
	s_delay_alu instid0(VALU_DEP_1)
	v_cmpx_lt_i32_e64 v0, v146
	s_cbranch_execz .LBB25_3702
; %bb.3701:
	scratch_load_b64 v[1:2], off, s33 offset:208
	v_mov_b32_e32 v0, v71
	s_getpc_b64 s[0:1]
	s_add_u32 s0, s0, _ZN3c104guts5applyIRN12_GLOBAL__N_110CalcIgammaIfEERSt5tupleIJffEEEEDaOT_OT0_@rel32@lo+4
	s_addc_u32 s1, s1, _ZN3c104guts5applyIRN12_GLOBAL__N_110CalcIgammaIfEERSt5tupleIJffEEEEDaOT_OT0_@rel32@hi+12
	s_delay_alu instid0(SALU_CYCLE_1)
	s_swappc_b64 s[30:31], s[0:1]
	v_mov_b32_e32 v81, v0
.LBB25_3702:
	s_or_b32 exec_lo, exec_lo, s41
	v_add_nc_u32_e32 v0, 0x3200, v133
	s_mov_b32 s41, exec_lo
                                        ; implicit-def: $vgpr80
	s_delay_alu instid0(VALU_DEP_1)
	v_cmpx_lt_i32_e64 v0, v146
	s_cbranch_execz .LBB25_3704
; %bb.3703:
	scratch_load_b64 v[1:2], off, s33 offset:216
	v_mov_b32_e32 v0, v71
	s_getpc_b64 s[0:1]
	s_add_u32 s0, s0, _ZN3c104guts5applyIRN12_GLOBAL__N_110CalcIgammaIfEERSt5tupleIJffEEEEDaOT_OT0_@rel32@lo+4
	s_addc_u32 s1, s1, _ZN3c104guts5applyIRN12_GLOBAL__N_110CalcIgammaIfEERSt5tupleIJffEEEEDaOT_OT0_@rel32@hi+12
	s_delay_alu instid0(SALU_CYCLE_1)
	s_swappc_b64 s[30:31], s[0:1]
	v_mov_b32_e32 v80, v0
.LBB25_3704:
	s_or_b32 exec_lo, exec_lo, s41
	v_or_b32_e32 v0, 0x3400, v133
	s_mov_b32 s41, exec_lo
                                        ; implicit-def: $vgpr70
	s_delay_alu instid0(VALU_DEP_1)
	v_cmpx_lt_i32_e64 v0, v146
	s_cbranch_execz .LBB25_3706
; %bb.3705:
	scratch_load_b64 v[1:2], off, s33 offset:224
	v_mov_b32_e32 v0, v71
	s_getpc_b64 s[0:1]
	s_add_u32 s0, s0, _ZN3c104guts5applyIRN12_GLOBAL__N_110CalcIgammaIfEERSt5tupleIJffEEEEDaOT_OT0_@rel32@lo+4
	s_addc_u32 s1, s1, _ZN3c104guts5applyIRN12_GLOBAL__N_110CalcIgammaIfEERSt5tupleIJffEEEEDaOT_OT0_@rel32@hi+12
	s_delay_alu instid0(SALU_CYCLE_1)
	s_swappc_b64 s[30:31], s[0:1]
	v_mov_b32_e32 v70, v0
.LBB25_3706:
	s_or_b32 exec_lo, exec_lo, s41
	v_add_nc_u32_e32 v0, 0x3600, v133
	s_mov_b32 s41, exec_lo
                                        ; implicit-def: $vgpr69
	s_delay_alu instid0(VALU_DEP_1)
	v_cmpx_lt_i32_e64 v0, v146
	s_cbranch_execz .LBB25_3708
; %bb.3707:
	scratch_load_b64 v[1:2], off, s33 offset:232
	v_mov_b32_e32 v0, v71
	s_getpc_b64 s[0:1]
	s_add_u32 s0, s0, _ZN3c104guts5applyIRN12_GLOBAL__N_110CalcIgammaIfEERSt5tupleIJffEEEEDaOT_OT0_@rel32@lo+4
	s_addc_u32 s1, s1, _ZN3c104guts5applyIRN12_GLOBAL__N_110CalcIgammaIfEERSt5tupleIJffEEEEDaOT_OT0_@rel32@hi+12
	s_delay_alu instid0(SALU_CYCLE_1)
	s_swappc_b64 s[30:31], s[0:1]
	v_mov_b32_e32 v69, v0
.LBB25_3708:
	s_or_b32 exec_lo, exec_lo, s41
	v_or_b32_e32 v0, 0x3800, v133
	s_mov_b32 s41, exec_lo
                                        ; implicit-def: $vgpr68
	s_delay_alu instid0(VALU_DEP_1)
	v_cmpx_lt_i32_e64 v0, v146
	s_cbranch_execz .LBB25_3710
; %bb.3709:
	scratch_load_b64 v[1:2], off, s33 offset:240
	v_mov_b32_e32 v0, v71
	s_getpc_b64 s[0:1]
	s_add_u32 s0, s0, _ZN3c104guts5applyIRN12_GLOBAL__N_110CalcIgammaIfEERSt5tupleIJffEEEEDaOT_OT0_@rel32@lo+4
	s_addc_u32 s1, s1, _ZN3c104guts5applyIRN12_GLOBAL__N_110CalcIgammaIfEERSt5tupleIJffEEEEDaOT_OT0_@rel32@hi+12
	s_delay_alu instid0(SALU_CYCLE_1)
	s_swappc_b64 s[30:31], s[0:1]
	v_mov_b32_e32 v68, v0
.LBB25_3710:
	s_or_b32 exec_lo, exec_lo, s41
	v_add_nc_u32_e32 v0, 0x3a00, v133
	s_mov_b32 s41, exec_lo
                                        ; implicit-def: $vgpr67
	s_delay_alu instid0(VALU_DEP_1)
	v_cmpx_lt_i32_e64 v0, v146
	s_cbranch_execz .LBB25_3712
; %bb.3711:
	scratch_load_b64 v[1:2], off, s33 offset:248
	v_mov_b32_e32 v0, v71
	s_getpc_b64 s[0:1]
	s_add_u32 s0, s0, _ZN3c104guts5applyIRN12_GLOBAL__N_110CalcIgammaIfEERSt5tupleIJffEEEEDaOT_OT0_@rel32@lo+4
	s_addc_u32 s1, s1, _ZN3c104guts5applyIRN12_GLOBAL__N_110CalcIgammaIfEERSt5tupleIJffEEEEDaOT_OT0_@rel32@hi+12
	s_delay_alu instid0(SALU_CYCLE_1)
	s_swappc_b64 s[30:31], s[0:1]
	v_mov_b32_e32 v67, v0
.LBB25_3712:
	s_or_b32 exec_lo, exec_lo, s41
	v_or_b32_e32 v0, 0x3c00, v133
	s_mov_b32 s41, exec_lo
                                        ; implicit-def: $vgpr66
	s_delay_alu instid0(VALU_DEP_1)
	v_cmpx_lt_i32_e64 v0, v146
	s_cbranch_execz .LBB25_3714
; %bb.3713:
	scratch_load_b64 v[1:2], off, s33 offset:256
	v_mov_b32_e32 v0, v71
	s_getpc_b64 s[0:1]
	s_add_u32 s0, s0, _ZN3c104guts5applyIRN12_GLOBAL__N_110CalcIgammaIfEERSt5tupleIJffEEEEDaOT_OT0_@rel32@lo+4
	s_addc_u32 s1, s1, _ZN3c104guts5applyIRN12_GLOBAL__N_110CalcIgammaIfEERSt5tupleIJffEEEEDaOT_OT0_@rel32@hi+12
	s_delay_alu instid0(SALU_CYCLE_1)
	s_swappc_b64 s[30:31], s[0:1]
	v_mov_b32_e32 v66, v0
.LBB25_3714:
	s_or_b32 exec_lo, exec_lo, s41
	v_add_nc_u32_e32 v0, 0x3e00, v133
	s_delay_alu instid0(VALU_DEP_1)
	v_cmp_lt_i32_e32 vcc_lo, v0, v146
                                        ; implicit-def: $vgpr0
	s_and_saveexec_b32 s41, vcc_lo
	s_cbranch_execz .LBB25_3716
; %bb.3715:
	scratch_load_b64 v[1:2], off, s33 offset:264
	v_mov_b32_e32 v0, v71
	s_getpc_b64 s[0:1]
	s_add_u32 s0, s0, _ZN3c104guts5applyIRN12_GLOBAL__N_110CalcIgammaIfEERSt5tupleIJffEEEEDaOT_OT0_@rel32@lo+4
	s_addc_u32 s1, s1, _ZN3c104guts5applyIRN12_GLOBAL__N_110CalcIgammaIfEERSt5tupleIJffEEEEDaOT_OT0_@rel32@hi+12
	s_delay_alu instid0(SALU_CYCLE_1)
	s_swappc_b64 s[30:31], s[0:1]
.LBB25_3716:
	s_or_b32 exec_lo, exec_lo, s41
	s_mov_b32 s5, -1
	s_mov_b32 s3, 0
	s_mov_b32 s1, 0
	s_and_saveexec_b32 s0, s37
	s_delay_alu instid0(SALU_CYCLE_1)
	s_xor_b32 s2, exec_lo, s0
	s_cbranch_execz .LBB25_3842
; %bb.3717:
	v_or_b32_e32 v1, s38, v133
	v_and_b32_e32 v3, 0xff, v134
	s_mov_b32 s0, 0
	s_mov_b32 s4, 0
	s_mov_b32 s1, exec_lo
	v_mul_lo_u32 v1, v1, v135
	s_delay_alu instid0(VALU_DEP_1)
	v_add_co_u32 v1, vcc_lo, v145, v1
	v_add_co_ci_u32_e32 v2, vcc_lo, 0, v144, vcc_lo
	v_cmpx_lt_i16_e32 10, v3
	s_xor_b32 s1, exec_lo, s1
	s_cbranch_execz .LBB25_3799
; %bb.3718:
	s_mov_b32 s5, exec_lo
	v_cmpx_lt_i16_e32 25, v3
	s_xor_b32 s5, exec_lo, s5
	s_cbranch_execz .LBB25_3754
; %bb.3719:
	s_mov_b32 s6, 0
	s_mov_b32 s4, exec_lo
	v_cmpx_lt_i16_e32 28, v3
	s_xor_b32 s4, exec_lo, s4
	s_cbranch_execz .LBB25_3737
; %bb.3720:
	s_mov_b32 s8, 0
	;; [unrolled: 6-line block ×3, first 2 shown]
	s_mov_b32 s0, exec_lo
	v_cmpx_lt_i16_e32 45, v3
	s_xor_b32 s0, exec_lo, s0
	s_cbranch_execz .LBB25_3725
; %bb.3722:
	s_mov_b32 s9, -1
	s_mov_b32 s8, exec_lo
	v_cmpx_eq_u16_e32 46, v3
	s_cbranch_execz .LBB25_3724
; %bb.3723:
	v_bfe_u32 v3, v132, 16, 1
	v_cmp_o_f32_e32 vcc_lo, v132, v132
	s_mov_b32 s7, exec_lo
	s_xor_b32 s9, exec_lo, -1
	s_delay_alu instid0(VALU_DEP_2) | instskip(NEXT) | instid1(VALU_DEP_1)
	v_add3_u32 v3, v132, v3, 0x7fff
	v_lshrrev_b32_e32 v3, 16, v3
	s_delay_alu instid0(VALU_DEP_1)
	v_cndmask_b32_e32 v3, 0x7fc0, v3, vcc_lo
	flat_store_b32 v[1:2], v3
.LBB25_3724:
	s_or_b32 exec_lo, exec_lo, s8
	s_delay_alu instid0(SALU_CYCLE_1)
	s_and_b32 s8, s9, exec_lo
	s_and_b32 s7, s7, exec_lo
                                        ; implicit-def: $vgpr3
                                        ; implicit-def: $vgpr1_vgpr2
                                        ; implicit-def: $vgpr132
.LBB25_3725:
	s_and_not1_saveexec_b32 s9, s0
	s_cbranch_execz .LBB25_3731
; %bb.3726:
	s_mov_b32 s11, -1
	s_mov_b32 s0, s7
	s_mov_b32 s10, exec_lo
	v_cmpx_eq_u16_e32 44, v3
	s_cbranch_execz .LBB25_3730
; %bb.3727:
	v_bfe_u32 v4, v132, 23, 8
	v_mov_b32_e32 v3, 0xff
	s_mov_b32 s11, exec_lo
	s_delay_alu instid0(VALU_DEP_2)
	v_cmpx_ne_u32_e32 0xff, v4
; %bb.3728:
	v_and_b32_e32 v3, 0x400000, v132
	v_and_or_b32 v4, 0x3fffff, v132, v4
	s_delay_alu instid0(VALU_DEP_2) | instskip(NEXT) | instid1(VALU_DEP_2)
	v_cmp_ne_u32_e32 vcc_lo, 0, v3
	v_cmp_ne_u32_e64 s0, 0, v4
	v_lshrrev_b32_e32 v3, 23, v132
	s_delay_alu instid0(VALU_DEP_2) | instskip(NEXT) | instid1(SALU_CYCLE_1)
	s_and_b32 s0, vcc_lo, s0
	v_cndmask_b32_e64 v4, 0, 1, s0
	s_delay_alu instid0(VALU_DEP_1)
	v_add_nc_u32_e32 v3, v3, v4
; %bb.3729:
	s_or_b32 exec_lo, exec_lo, s11
	s_delay_alu instid0(SALU_CYCLE_1)
	s_xor_b32 s11, exec_lo, -1
	s_or_b32 s0, s7, exec_lo
	flat_store_b8 v[1:2], v3
.LBB25_3730:
	s_or_b32 exec_lo, exec_lo, s10
	s_delay_alu instid0(SALU_CYCLE_1)
	s_and_not1_b32 s8, s8, exec_lo
	s_and_b32 s10, s11, exec_lo
	s_and_not1_b32 s7, s7, exec_lo
	s_and_b32 s0, s0, exec_lo
	s_or_b32 s8, s8, s10
	s_or_b32 s7, s7, s0
.LBB25_3731:
	s_or_b32 exec_lo, exec_lo, s9
	s_delay_alu instid0(SALU_CYCLE_1)
	s_and_b32 s8, s8, exec_lo
	s_and_b32 s0, s7, exec_lo
                                        ; implicit-def: $vgpr3
                                        ; implicit-def: $vgpr132
                                        ; implicit-def: $vgpr1_vgpr2
.LBB25_3732:
	s_and_not1_saveexec_b32 s6, s6
	s_cbranch_execz .LBB25_3736
; %bb.3733:
	s_mov_b32 s10, -1
	s_mov_b32 s9, s0
	s_mov_b32 s7, exec_lo
	v_cmpx_eq_u16_e32 29, v3
	s_cbranch_execz .LBB25_3735
; %bb.3734:
	v_trunc_f32_e32 v3, v132
	s_xor_b32 s10, exec_lo, -1
	s_or_b32 s9, s0, exec_lo
	s_delay_alu instid0(VALU_DEP_1) | instskip(NEXT) | instid1(VALU_DEP_1)
	v_mul_f32_e32 v4, 0x2f800000, v3
	v_floor_f32_e32 v4, v4
	s_delay_alu instid0(VALU_DEP_1) | instskip(SKIP_1) | instid1(VALU_DEP_2)
	v_fmamk_f32 v3, v4, 0xcf800000, v3
	v_cvt_u32_f32_e32 v4, v4
	v_cvt_u32_f32_e32 v3, v3
	flat_store_b64 v[1:2], v[3:4]
.LBB25_3735:
	s_or_b32 exec_lo, exec_lo, s7
	s_delay_alu instid0(SALU_CYCLE_1)
	s_and_not1_b32 s7, s8, exec_lo
	s_and_b32 s8, s10, exec_lo
	s_and_not1_b32 s0, s0, exec_lo
	s_and_b32 s9, s9, exec_lo
	s_or_b32 s8, s7, s8
	s_or_b32 s0, s0, s9
.LBB25_3736:
	s_or_b32 exec_lo, exec_lo, s6
	s_delay_alu instid0(SALU_CYCLE_1)
	s_and_b32 s6, s8, exec_lo
	s_and_b32 s0, s0, exec_lo
                                        ; implicit-def: $vgpr1_vgpr2
                                        ; implicit-def: $vgpr3
                                        ; implicit-def: $vgpr132
.LBB25_3737:
	s_and_not1_saveexec_b32 s4, s4
	s_cbranch_execz .LBB25_3753
; %bb.3738:
	s_mov_b32 s7, exec_lo
	v_cmpx_lt_i16_e32 26, v3
	s_xor_b32 s7, exec_lo, s7
	s_cbranch_execz .LBB25_3744
; %bb.3739:
	v_cmp_lt_i16_e32 vcc_lo, 27, v3
	v_cvt_u32_f32_e32 v3, v132
	s_and_saveexec_b32 s8, vcc_lo
	s_delay_alu instid0(SALU_CYCLE_1)
	s_xor_b32 s8, exec_lo, s8
	s_cbranch_execz .LBB25_3741
; %bb.3740:
	flat_store_b32 v[1:2], v3
                                        ; implicit-def: $vgpr1_vgpr2
                                        ; implicit-def: $vgpr3
.LBB25_3741:
	s_and_not1_saveexec_b32 s8, s8
	s_cbranch_execz .LBB25_3743
; %bb.3742:
	flat_store_b16 v[1:2], v3
.LBB25_3743:
	s_or_b32 exec_lo, exec_lo, s8
                                        ; implicit-def: $vgpr1_vgpr2
                                        ; implicit-def: $vgpr132
.LBB25_3744:
	s_and_not1_saveexec_b32 s7, s7
	s_cbranch_execz .LBB25_3752
; %bb.3745:
	v_and_b32_e32 v3, 0x7fffffff, v132
	v_mov_b32_e32 v4, 0x80
	s_mov_b32 s8, exec_lo
	s_delay_alu instid0(VALU_DEP_2)
	v_cmpx_gt_u32_e32 0x43800000, v3
	s_cbranch_execz .LBB25_3751
; %bb.3746:
	v_cmp_lt_u32_e32 vcc_lo, 0x3bffffff, v3
	s_mov_b32 s9, 0
                                        ; implicit-def: $vgpr3
	s_and_saveexec_b32 s10, vcc_lo
	s_delay_alu instid0(SALU_CYCLE_1)
	s_xor_b32 s10, exec_lo, s10
	s_cbranch_execnz .LBB25_4718
; %bb.3747:
	s_or_saveexec_b32 s10, s10
                                        ; implicit-def: $sgpr11
	s_delay_alu instid0(SALU_CYCLE_1)
	s_xor_b32 exec_lo, exec_lo, s10
	s_cbranch_execnz .LBB25_4719
.LBB25_3748:
	s_or_b32 exec_lo, exec_lo, s10
	v_mov_b32_e32 v4, s11
	s_and_saveexec_b32 s10, s9
.LBB25_3749:
	v_lshrrev_b32_e32 v4, 24, v132
	s_delay_alu instid0(VALU_DEP_1)
	v_and_or_b32 v4, 0x80, v4, v3
.LBB25_3750:
	s_or_b32 exec_lo, exec_lo, s10
.LBB25_3751:
	s_delay_alu instid0(SALU_CYCLE_1)
	s_or_b32 exec_lo, exec_lo, s8
	flat_store_b8 v[1:2], v4
.LBB25_3752:
	s_or_b32 exec_lo, exec_lo, s7
	s_delay_alu instid0(SALU_CYCLE_1)
	s_or_b32 s0, s0, exec_lo
.LBB25_3753:
	s_or_b32 exec_lo, exec_lo, s4
	s_delay_alu instid0(SALU_CYCLE_1)
	s_and_b32 s4, s6, exec_lo
	s_and_b32 s0, s0, exec_lo
                                        ; implicit-def: $vgpr3
                                        ; implicit-def: $vgpr132
                                        ; implicit-def: $vgpr1_vgpr2
.LBB25_3754:
	s_and_not1_saveexec_b32 s5, s5
	s_cbranch_execz .LBB25_3798
; %bb.3755:
	s_mov_b32 s7, s0
	s_mov_b32 s6, exec_lo
	v_cmpx_lt_i16_e32 22, v3
	s_xor_b32 s6, exec_lo, s6
	s_cbranch_execz .LBB25_3787
; %bb.3756:
	s_mov_b32 s7, exec_lo
	v_cmpx_lt_i16_e32 23, v3
	s_xor_b32 s7, exec_lo, s7
	s_cbranch_execz .LBB25_3776
; %bb.3757:
	;; [unrolled: 5-line block ×3, first 2 shown]
	v_and_b32_e32 v3, 0x7fffffff, v132
	v_mov_b32_e32 v4, 0x80
	s_mov_b32 s9, exec_lo
	s_delay_alu instid0(VALU_DEP_2)
	v_cmpx_gt_u32_e32 0x47800000, v3
	s_cbranch_execz .LBB25_3764
; %bb.3759:
	v_cmp_lt_u32_e32 vcc_lo, 0x37ffffff, v3
	s_mov_b32 s10, 0
                                        ; implicit-def: $vgpr3
	s_and_saveexec_b32 s11, vcc_lo
	s_delay_alu instid0(SALU_CYCLE_1)
	s_xor_b32 s11, exec_lo, s11
	s_cbranch_execnz .LBB25_4842
; %bb.3760:
	s_or_saveexec_b32 s11, s11
                                        ; implicit-def: $sgpr12
	s_delay_alu instid0(SALU_CYCLE_1)
	s_xor_b32 exec_lo, exec_lo, s11
	s_cbranch_execnz .LBB25_4843
.LBB25_3761:
	s_or_b32 exec_lo, exec_lo, s11
	v_mov_b32_e32 v4, s12
	s_and_saveexec_b32 s11, s10
.LBB25_3762:
	v_lshrrev_b32_e32 v4, 24, v132
	s_delay_alu instid0(VALU_DEP_1)
	v_and_or_b32 v4, 0x80, v4, v3
.LBB25_3763:
	s_or_b32 exec_lo, exec_lo, s11
.LBB25_3764:
	s_delay_alu instid0(SALU_CYCLE_1)
	s_or_b32 exec_lo, exec_lo, s9
	flat_store_b8 v[1:2], v4
                                        ; implicit-def: $vgpr132
                                        ; implicit-def: $vgpr1_vgpr2
.LBB25_3765:
	s_and_not1_saveexec_b32 s8, s8
	s_cbranch_execz .LBB25_3775
; %bb.3766:
	v_and_b32_e32 v4, 0x7fffffff, v132
	s_mov_b32 s9, exec_lo
                                        ; implicit-def: $vgpr3
	s_delay_alu instid0(VALU_DEP_1)
	v_cmpx_gt_u32_e32 0x43f00000, v4
	s_xor_b32 s9, exec_lo, s9
	s_cbranch_execz .LBB25_3772
; %bb.3767:
	s_mov_b32 s10, exec_lo
                                        ; implicit-def: $vgpr3
	v_cmpx_lt_u32_e32 0x3c7fffff, v4
	s_xor_b32 s10, exec_lo, s10
; %bb.3768:
	v_bfe_u32 v3, v132, 20, 1
	s_delay_alu instid0(VALU_DEP_1) | instskip(NEXT) | instid1(VALU_DEP_1)
	v_add3_u32 v3, v132, v3, 0x407ffff
	v_and_b32_e32 v4, 0xff00000, v3
	v_lshrrev_b32_e32 v3, 20, v3
	s_delay_alu instid0(VALU_DEP_2) | instskip(NEXT) | instid1(VALU_DEP_2)
	v_cmp_ne_u32_e32 vcc_lo, 0x7f00000, v4
	v_cndmask_b32_e32 v3, 0x7e, v3, vcc_lo
; %bb.3769:
	s_and_not1_saveexec_b32 s10, s10
; %bb.3770:
	v_add_f32_e64 v3, 0x46800000, |v132|
; %bb.3771:
	s_or_b32 exec_lo, exec_lo, s10
                                        ; implicit-def: $vgpr4
.LBB25_3772:
	s_and_not1_saveexec_b32 s9, s9
; %bb.3773:
	v_mov_b32_e32 v3, 0x7f
	v_cmp_lt_u32_e32 vcc_lo, 0x7f800000, v4
	s_delay_alu instid0(VALU_DEP_2)
	v_cndmask_b32_e32 v3, 0x7e, v3, vcc_lo
; %bb.3774:
	s_or_b32 exec_lo, exec_lo, s9
	v_lshrrev_b32_e32 v4, 24, v132
	s_delay_alu instid0(VALU_DEP_1)
	v_and_or_b32 v3, 0x80, v4, v3
	flat_store_b8 v[1:2], v3
.LBB25_3775:
	s_or_b32 exec_lo, exec_lo, s8
                                        ; implicit-def: $vgpr132
                                        ; implicit-def: $vgpr1_vgpr2
.LBB25_3776:
	s_and_not1_saveexec_b32 s7, s7
	s_cbranch_execz .LBB25_3786
; %bb.3777:
	v_and_b32_e32 v4, 0x7fffffff, v132
	s_mov_b32 s8, exec_lo
                                        ; implicit-def: $vgpr3
	s_delay_alu instid0(VALU_DEP_1)
	v_cmpx_gt_u32_e32 0x47800000, v4
	s_xor_b32 s8, exec_lo, s8
	s_cbranch_execz .LBB25_3783
; %bb.3778:
	s_mov_b32 s9, exec_lo
                                        ; implicit-def: $vgpr3
	v_cmpx_lt_u32_e32 0x387fffff, v4
	s_xor_b32 s9, exec_lo, s9
; %bb.3779:
	v_bfe_u32 v3, v132, 21, 1
	s_delay_alu instid0(VALU_DEP_1) | instskip(NEXT) | instid1(VALU_DEP_1)
	v_add3_u32 v3, v132, v3, 0x80fffff
	v_lshrrev_b32_e32 v3, 21, v3
; %bb.3780:
	s_and_not1_saveexec_b32 s9, s9
; %bb.3781:
	v_add_f32_e64 v3, 0x43000000, |v132|
; %bb.3782:
	s_or_b32 exec_lo, exec_lo, s9
                                        ; implicit-def: $vgpr4
.LBB25_3783:
	s_and_not1_saveexec_b32 s8, s8
; %bb.3784:
	v_mov_b32_e32 v3, 0x7f
	v_cmp_lt_u32_e32 vcc_lo, 0x7f800000, v4
	s_delay_alu instid0(VALU_DEP_2)
	v_cndmask_b32_e32 v3, 0x7c, v3, vcc_lo
; %bb.3785:
	s_or_b32 exec_lo, exec_lo, s8
	v_lshrrev_b32_e32 v4, 24, v132
	s_delay_alu instid0(VALU_DEP_1)
	v_and_or_b32 v3, 0x80, v4, v3
	flat_store_b8 v[1:2], v3
.LBB25_3786:
	s_or_b32 exec_lo, exec_lo, s7
	s_delay_alu instid0(SALU_CYCLE_1)
	s_or_b32 s7, s0, exec_lo
                                        ; implicit-def: $vgpr3
                                        ; implicit-def: $vgpr132
                                        ; implicit-def: $vgpr1_vgpr2
.LBB25_3787:
	s_or_saveexec_b32 s6, s6
	s_mov_b32 s8, s4
	s_xor_b32 exec_lo, exec_lo, s6
	s_cbranch_execz .LBB25_3797
; %bb.3788:
	s_mov_b32 s8, s7
	s_mov_b32 s9, s4
	s_mov_b32 s10, exec_lo
	v_cmpx_lt_i16_e32 14, v3
	s_xor_b32 s10, exec_lo, s10
	s_cbranch_execz .LBB25_3792
; %bb.3789:
	s_mov_b32 s9, -1
	s_mov_b32 s8, s7
	s_mov_b32 s11, exec_lo
	v_cmpx_eq_u16_e32 15, v3
	s_cbranch_execz .LBB25_3791
; %bb.3790:
	v_bfe_u32 v3, v132, 16, 1
	v_cmp_o_f32_e32 vcc_lo, v132, v132
	s_xor_b32 s9, exec_lo, -1
	s_or_b32 s8, s7, exec_lo
	s_delay_alu instid0(VALU_DEP_2) | instskip(NEXT) | instid1(VALU_DEP_1)
	v_add3_u32 v3, v132, v3, 0x7fff
	v_lshrrev_b32_e32 v3, 16, v3
	s_delay_alu instid0(VALU_DEP_1)
	v_cndmask_b32_e32 v3, 0x7fc0, v3, vcc_lo
	flat_store_b16 v[1:2], v3
.LBB25_3791:
	s_or_b32 exec_lo, exec_lo, s11
	s_delay_alu instid0(SALU_CYCLE_1)
	s_and_not1_b32 s11, s4, exec_lo
	s_and_b32 s9, s9, exec_lo
	s_and_not1_b32 s12, s7, exec_lo
	s_and_b32 s8, s8, exec_lo
	s_or_b32 s9, s11, s9
	s_or_b32 s8, s12, s8
                                        ; implicit-def: $vgpr3
                                        ; implicit-def: $vgpr132
                                        ; implicit-def: $vgpr1_vgpr2
.LBB25_3792:
	s_and_not1_saveexec_b32 s10, s10
	s_cbranch_execz .LBB25_3796
; %bb.3793:
	s_mov_b32 s12, -1
	s_mov_b32 s11, s8
	s_mov_b32 s13, exec_lo
	v_cmpx_eq_u16_e32 11, v3
	s_cbranch_execz .LBB25_3795
; %bb.3794:
	v_cmp_neq_f32_e32 vcc_lo, 0, v132
	s_xor_b32 s12, exec_lo, -1
	s_or_b32 s11, s8, exec_lo
	v_cndmask_b32_e64 v3, 0, 1, vcc_lo
	flat_store_b8 v[1:2], v3
.LBB25_3795:
	s_or_b32 exec_lo, exec_lo, s13
	s_delay_alu instid0(SALU_CYCLE_1)
	s_and_not1_b32 s9, s9, exec_lo
	s_and_b32 s12, s12, exec_lo
	s_and_not1_b32 s8, s8, exec_lo
	s_and_b32 s11, s11, exec_lo
	s_or_b32 s9, s9, s12
	s_or_b32 s8, s8, s11
.LBB25_3796:
	s_or_b32 exec_lo, exec_lo, s10
	s_delay_alu instid0(SALU_CYCLE_1)
	s_and_not1_b32 s10, s4, exec_lo
	s_and_b32 s9, s9, exec_lo
	s_and_not1_b32 s7, s7, exec_lo
	s_and_b32 s11, s8, exec_lo
	s_or_b32 s8, s10, s9
	s_or_b32 s7, s7, s11
.LBB25_3797:
	s_or_b32 exec_lo, exec_lo, s6
	s_delay_alu instid0(SALU_CYCLE_1)
	s_and_not1_b32 s4, s4, exec_lo
	s_and_b32 s6, s8, exec_lo
	s_and_not1_b32 s0, s0, exec_lo
	s_and_b32 s7, s7, exec_lo
	s_or_b32 s4, s4, s6
	s_or_b32 s0, s0, s7
.LBB25_3798:
	s_or_b32 exec_lo, exec_lo, s5
	s_delay_alu instid0(SALU_CYCLE_1)
	s_and_b32 s4, s4, exec_lo
	s_and_b32 s0, s0, exec_lo
                                        ; implicit-def: $vgpr3
                                        ; implicit-def: $vgpr132
                                        ; implicit-def: $vgpr1_vgpr2
.LBB25_3799:
	s_and_not1_saveexec_b32 s1, s1
	s_cbranch_execz .LBB25_3841
; %bb.3800:
	s_mov_b32 s5, exec_lo
	v_cmpx_lt_i16_e32 4, v3
	s_xor_b32 s5, exec_lo, s5
	s_cbranch_execz .LBB25_3822
; %bb.3801:
	s_mov_b32 s6, exec_lo
	v_cmpx_lt_i16_e32 7, v3
	s_xor_b32 s6, exec_lo, s6
	;; [unrolled: 5-line block ×4, first 2 shown]
	s_cbranch_execz .LBB25_3805
; %bb.3804:
	v_cvt_f64_f32_e32 v[3:4], v132
	v_mov_b32_e32 v5, 0
                                        ; implicit-def: $vgpr132
	s_delay_alu instid0(VALU_DEP_1)
	v_mov_b32_e32 v6, v5
	flat_store_b128 v[1:2], v[3:6]
                                        ; implicit-def: $vgpr1_vgpr2
.LBB25_3805:
	s_and_not1_saveexec_b32 s8, s8
	s_cbranch_execz .LBB25_3807
; %bb.3806:
	v_mov_b32_e32 v133, 0
	flat_store_b64 v[1:2], v[132:133]
.LBB25_3807:
	s_or_b32 exec_lo, exec_lo, s8
                                        ; implicit-def: $vgpr132
                                        ; implicit-def: $vgpr1_vgpr2
.LBB25_3808:
	s_and_not1_saveexec_b32 s7, s7
	s_cbranch_execz .LBB25_3810
; %bb.3809:
	v_cvt_f16_f32_e64 v3, v132
	s_delay_alu instid0(VALU_DEP_1)
	v_and_b32_e32 v3, 0xffff, v3
	flat_store_b32 v[1:2], v3
.LBB25_3810:
	s_or_b32 exec_lo, exec_lo, s7
                                        ; implicit-def: $vgpr132
                                        ; implicit-def: $vgpr1_vgpr2
                                        ; implicit-def: $vgpr3
.LBB25_3811:
	s_and_not1_saveexec_b32 s6, s6
	s_cbranch_execz .LBB25_3821
; %bb.3812:
	s_mov_b32 s7, exec_lo
	v_cmpx_lt_i16_e32 5, v3
	s_xor_b32 s7, exec_lo, s7
	s_cbranch_execz .LBB25_3818
; %bb.3813:
	s_mov_b32 s8, exec_lo
	v_cmpx_lt_i16_e32 6, v3
	s_xor_b32 s8, exec_lo, s8
	s_cbranch_execz .LBB25_3815
; %bb.3814:
	v_cvt_f64_f32_e32 v[3:4], v132
                                        ; implicit-def: $vgpr132
	flat_store_b64 v[1:2], v[3:4]
                                        ; implicit-def: $vgpr1_vgpr2
.LBB25_3815:
	s_and_not1_saveexec_b32 s8, s8
	s_cbranch_execz .LBB25_3817
; %bb.3816:
	flat_store_b32 v[1:2], v132
.LBB25_3817:
	s_or_b32 exec_lo, exec_lo, s8
                                        ; implicit-def: $vgpr132
                                        ; implicit-def: $vgpr1_vgpr2
.LBB25_3818:
	s_and_not1_saveexec_b32 s7, s7
	s_cbranch_execz .LBB25_3820
; %bb.3819:
	v_cvt_f16_f32_e64 v3, v132
	flat_store_b16 v[1:2], v3
.LBB25_3820:
	s_or_b32 exec_lo, exec_lo, s7
.LBB25_3821:
	s_delay_alu instid0(SALU_CYCLE_1)
	s_or_b32 exec_lo, exec_lo, s6
                                        ; implicit-def: $vgpr3
                                        ; implicit-def: $vgpr132
                                        ; implicit-def: $vgpr1_vgpr2
.LBB25_3822:
	s_and_not1_saveexec_b32 s5, s5
	s_cbranch_execz .LBB25_3840
; %bb.3823:
	s_mov_b32 s6, exec_lo
	v_cmpx_lt_i16_e32 1, v3
	s_xor_b32 s6, exec_lo, s6
	s_cbranch_execz .LBB25_3833
; %bb.3824:
	s_mov_b32 s7, exec_lo
	v_cmpx_lt_i16_e32 2, v3
	s_xor_b32 s7, exec_lo, s7
	;; [unrolled: 5-line block ×3, first 2 shown]
	s_cbranch_execz .LBB25_3827
; %bb.3826:
	v_trunc_f32_e32 v3, v132
                                        ; implicit-def: $vgpr132
	s_delay_alu instid0(VALU_DEP_1) | instskip(SKIP_1) | instid1(VALU_DEP_2)
	v_mul_f32_e64 v4, 0x2f800000, |v3|
	v_ashrrev_i32_e32 v6, 31, v3
	v_floor_f32_e32 v4, v4
	s_delay_alu instid0(VALU_DEP_1) | instskip(SKIP_1) | instid1(VALU_DEP_2)
	v_fma_f32 v5, 0xcf800000, v4, |v3|
	v_cvt_u32_f32_e32 v4, v4
	v_cvt_u32_f32_e32 v3, v5
	s_delay_alu instid0(VALU_DEP_2) | instskip(NEXT) | instid1(VALU_DEP_2)
	v_xor_b32_e32 v4, v4, v6
	v_xor_b32_e32 v3, v3, v6
	s_delay_alu instid0(VALU_DEP_1) | instskip(NEXT) | instid1(VALU_DEP_3)
	v_sub_co_u32 v3, vcc_lo, v3, v6
	v_sub_co_ci_u32_e32 v4, vcc_lo, v4, v6, vcc_lo
	flat_store_b64 v[1:2], v[3:4]
                                        ; implicit-def: $vgpr1_vgpr2
.LBB25_3827:
	s_and_not1_saveexec_b32 s8, s8
	s_cbranch_execz .LBB25_3829
; %bb.3828:
	v_cvt_i32_f32_e32 v3, v132
	flat_store_b32 v[1:2], v3
.LBB25_3829:
	s_or_b32 exec_lo, exec_lo, s8
                                        ; implicit-def: $vgpr132
                                        ; implicit-def: $vgpr1_vgpr2
.LBB25_3830:
	s_and_not1_saveexec_b32 s7, s7
	s_cbranch_execz .LBB25_3832
; %bb.3831:
	v_cvt_i32_f32_e32 v3, v132
	flat_store_b16 v[1:2], v3
.LBB25_3832:
	s_or_b32 exec_lo, exec_lo, s7
                                        ; implicit-def: $vgpr132
                                        ; implicit-def: $vgpr1_vgpr2
                                        ; implicit-def: $vgpr3
.LBB25_3833:
	s_and_not1_saveexec_b32 s6, s6
	s_cbranch_execz .LBB25_3839
; %bb.3834:
	s_mov_b32 s7, exec_lo
	v_cmpx_lt_i16_e32 0, v3
	s_xor_b32 s7, exec_lo, s7
	s_cbranch_execz .LBB25_3836
; %bb.3835:
	v_cvt_i32_f32_e32 v3, v132
                                        ; implicit-def: $vgpr132
	flat_store_b8 v[1:2], v3
                                        ; implicit-def: $vgpr1_vgpr2
.LBB25_3836:
	s_and_not1_saveexec_b32 s7, s7
	s_cbranch_execz .LBB25_3838
; %bb.3837:
	v_trunc_f32_e32 v3, v132
	s_delay_alu instid0(VALU_DEP_1) | instskip(NEXT) | instid1(VALU_DEP_1)
	v_mul_f32_e64 v4, 0x2f800000, |v3|
	v_floor_f32_e32 v4, v4
	s_delay_alu instid0(VALU_DEP_1) | instskip(SKIP_1) | instid1(VALU_DEP_2)
	v_fma_f32 v4, 0xcf800000, v4, |v3|
	v_ashrrev_i32_e32 v3, 31, v3
	v_cvt_u32_f32_e32 v4, v4
	s_delay_alu instid0(VALU_DEP_1) | instskip(NEXT) | instid1(VALU_DEP_1)
	v_xor_b32_e32 v4, v4, v3
	v_sub_nc_u32_e32 v3, v4, v3
	flat_store_b8 v[1:2], v3
.LBB25_3838:
	s_or_b32 exec_lo, exec_lo, s7
.LBB25_3839:
	s_delay_alu instid0(SALU_CYCLE_1)
	s_or_b32 exec_lo, exec_lo, s6
.LBB25_3840:
	s_delay_alu instid0(SALU_CYCLE_1) | instskip(NEXT) | instid1(SALU_CYCLE_1)
	s_or_b32 exec_lo, exec_lo, s5
	s_or_b32 s0, s0, exec_lo
.LBB25_3841:
	s_or_b32 exec_lo, exec_lo, s1
	v_mov_b32_e32 v133, v87
	s_and_b32 s1, s4, exec_lo
	s_or_not1_b32 s5, s0, exec_lo
.LBB25_3842:
	s_or_b32 exec_lo, exec_lo, s2
	s_mov_b32 s4, 0
	s_mov_b32 s0, 0
                                        ; implicit-def: $vgpr4
                                        ; implicit-def: $vgpr2_vgpr3
	s_and_saveexec_b32 s2, s5
	s_cbranch_execz .LBB25_4166
; %bb.3843:
	s_mov_b32 s0, -1
	s_mov_b32 s3, s1
	s_mov_b32 s4, exec_lo
	v_cmpx_lt_i32_e64 v133, v146
	s_cbranch_execz .LBB25_3849
; %bb.3844:
	v_add_nc_u32_e32 v1, s38, v133
	v_and_b32_e32 v3, 0xff, v134
	s_mov_b32 s0, 0
	s_mov_b32 s5, s1
	s_mov_b32 s3, exec_lo
	v_mul_lo_u32 v1, v1, v135
	s_delay_alu instid0(VALU_DEP_1)
	v_add_co_u32 v1, vcc_lo, v145, v1
	v_add_co_ci_u32_e32 v2, vcc_lo, 0, v144, vcc_lo
	v_cmpx_lt_i16_e32 10, v3
	s_xor_b32 s3, exec_lo, s3
	s_cbranch_execnz .LBB25_4220
; %bb.3845:
	s_and_not1_saveexec_b32 s3, s3
	s_cbranch_execnz .LBB25_4301
.LBB25_3846:
	s_or_b32 exec_lo, exec_lo, s3
	s_mov_b32 s6, 0
	s_and_saveexec_b32 s3, s0
.LBB25_3847:
	v_add_nc_u32_e32 v133, 0x200, v133
	s_mov_b32 s6, exec_lo
.LBB25_3848:
	s_or_b32 exec_lo, exec_lo, s3
	s_delay_alu instid0(SALU_CYCLE_1) | instskip(SKIP_1) | instid1(SALU_CYCLE_1)
	s_and_not1_b32 s0, s1, exec_lo
	s_and_b32 s3, s5, exec_lo
	s_or_b32 s3, s0, s3
	s_or_not1_b32 s0, s6, exec_lo
.LBB25_3849:
	s_or_b32 exec_lo, exec_lo, s4
	s_mov_b32 s5, 0
	s_mov_b32 s6, 0
	;; [unrolled: 1-line block ×3, first 2 shown]
                                        ; implicit-def: $vgpr4
                                        ; implicit-def: $vgpr2_vgpr3
	s_and_saveexec_b32 s4, s0
	s_cbranch_execz .LBB25_4165
; %bb.3850:
	s_mov_b32 s7, -1
	s_mov_b32 s5, s3
	s_mov_b32 s6, exec_lo
	v_cmpx_lt_i32_e64 v133, v146
	s_cbranch_execz .LBB25_3856
; %bb.3851:
	v_add_nc_u32_e32 v1, s38, v133
	v_and_b32_e32 v3, 0xff, v134
	s_mov_b32 s0, 0
	s_mov_b32 s7, s3
	s_mov_b32 s5, exec_lo
	v_mul_lo_u32 v1, v1, v135
	s_delay_alu instid0(VALU_DEP_1)
	v_add_co_u32 v1, vcc_lo, v145, v1
	v_add_co_ci_u32_e32 v2, vcc_lo, 0, v144, vcc_lo
	v_cmpx_lt_i16_e32 10, v3
	s_xor_b32 s5, exec_lo, s5
	s_cbranch_execnz .LBB25_4346
; %bb.3852:
	s_and_not1_saveexec_b32 s5, s5
	s_cbranch_execnz .LBB25_4427
.LBB25_3853:
	s_or_b32 exec_lo, exec_lo, s5
	s_mov_b32 s8, 0
	s_and_saveexec_b32 s5, s0
.LBB25_3854:
	v_add_nc_u32_e32 v133, 0x200, v133
	s_mov_b32 s8, exec_lo
.LBB25_3855:
	s_or_b32 exec_lo, exec_lo, s5
	s_delay_alu instid0(SALU_CYCLE_1)
	s_and_not1_b32 s0, s3, exec_lo
	s_and_b32 s5, s7, exec_lo
	s_or_not1_b32 s7, s8, exec_lo
	s_or_b32 s5, s0, s5
.LBB25_3856:
	s_or_b32 exec_lo, exec_lo, s6
	s_mov_b32 s0, 0
	s_mov_b32 s8, 0
	;; [unrolled: 1-line block ×3, first 2 shown]
                                        ; implicit-def: $vgpr4
                                        ; implicit-def: $vgpr2_vgpr3
	s_and_saveexec_b32 s6, s7
	s_cbranch_execz .LBB25_4164
; %bb.3857:
	s_mov_b32 s9, -1
	s_mov_b32 s7, s5
	s_mov_b32 s8, exec_lo
	v_cmpx_lt_i32_e64 v133, v146
	s_cbranch_execz .LBB25_3863
; %bb.3858:
	v_add_nc_u32_e32 v1, s38, v133
	v_and_b32_e32 v3, 0xff, v134
	s_mov_b32 s9, s5
	s_mov_b32 s7, exec_lo
	s_delay_alu instid0(VALU_DEP_2) | instskip(NEXT) | instid1(VALU_DEP_1)
	v_mul_lo_u32 v1, v1, v135
	v_add_co_u32 v1, vcc_lo, v145, v1
	v_add_co_ci_u32_e32 v2, vcc_lo, 0, v144, vcc_lo
	v_cmpx_lt_i16_e32 10, v3
	s_xor_b32 s7, exec_lo, s7
	s_cbranch_execnz .LBB25_4472
; %bb.3859:
	s_and_not1_saveexec_b32 s7, s7
	s_cbranch_execnz .LBB25_4553
.LBB25_3860:
	s_or_b32 exec_lo, exec_lo, s7
	s_mov_b32 s10, 0
	s_and_saveexec_b32 s7, s0
.LBB25_3861:
	v_add_nc_u32_e32 v133, 0x200, v133
	s_mov_b32 s10, exec_lo
.LBB25_3862:
	s_or_b32 exec_lo, exec_lo, s7
	s_delay_alu instid0(SALU_CYCLE_1)
	s_and_not1_b32 s0, s5, exec_lo
	s_and_b32 s7, s9, exec_lo
	s_or_not1_b32 s9, s10, exec_lo
	s_or_b32 s7, s0, s7
.LBB25_3863:
	s_or_b32 exec_lo, exec_lo, s8
	s_mov_b32 s0, 0
	s_mov_b32 s10, 0
	;; [unrolled: 1-line block ×3, first 2 shown]
                                        ; implicit-def: $vgpr4
                                        ; implicit-def: $vgpr2_vgpr3
	s_and_saveexec_b32 s8, s9
	s_cbranch_execz .LBB25_4163
; %bb.3864:
	s_mov_b32 s11, -1
	s_mov_b32 s9, s7
	s_mov_b32 s10, exec_lo
	v_cmpx_lt_i32_e64 v133, v146
	s_cbranch_execz .LBB25_3870
; %bb.3865:
	v_add_nc_u32_e32 v1, s38, v133
	v_and_b32_e32 v3, 0xff, v134
	s_mov_b32 s11, s7
	s_mov_b32 s9, exec_lo
	s_delay_alu instid0(VALU_DEP_2) | instskip(NEXT) | instid1(VALU_DEP_1)
	v_mul_lo_u32 v1, v1, v135
	v_add_co_u32 v1, vcc_lo, v145, v1
	v_add_co_ci_u32_e32 v2, vcc_lo, 0, v144, vcc_lo
	v_cmpx_lt_i16_e32 10, v3
	s_xor_b32 s9, exec_lo, s9
	s_cbranch_execnz .LBB25_4596
; %bb.3866:
	s_and_not1_saveexec_b32 s9, s9
	s_cbranch_execnz .LBB25_4677
.LBB25_3867:
	s_or_b32 exec_lo, exec_lo, s9
	s_mov_b32 s12, 0
	s_and_saveexec_b32 s9, s0
.LBB25_3868:
	v_add_nc_u32_e32 v133, 0x200, v133
	s_mov_b32 s12, exec_lo
.LBB25_3869:
	s_or_b32 exec_lo, exec_lo, s9
	s_delay_alu instid0(SALU_CYCLE_1)
	s_and_not1_b32 s0, s7, exec_lo
	s_and_b32 s9, s11, exec_lo
	s_or_not1_b32 s11, s12, exec_lo
	s_or_b32 s9, s0, s9
.LBB25_3870:
	s_or_b32 exec_lo, exec_lo, s10
	s_mov_b32 s0, 0
	s_mov_b32 s12, 0
	;; [unrolled: 1-line block ×3, first 2 shown]
                                        ; implicit-def: $vgpr4
                                        ; implicit-def: $vgpr2_vgpr3
	s_and_saveexec_b32 s10, s11
	s_cbranch_execz .LBB25_4162
; %bb.3871:
	s_mov_b32 s13, -1
	s_mov_b32 s11, s9
	s_mov_b32 s12, exec_lo
	v_cmpx_lt_i32_e64 v133, v146
	s_cbranch_execz .LBB25_3877
; %bb.3872:
	v_add_nc_u32_e32 v1, s38, v133
	v_and_b32_e32 v3, 0xff, v134
	s_mov_b32 s13, s9
	s_mov_b32 s11, exec_lo
	s_delay_alu instid0(VALU_DEP_2) | instskip(NEXT) | instid1(VALU_DEP_1)
	v_mul_lo_u32 v1, v1, v135
	v_add_co_u32 v1, vcc_lo, v145, v1
	v_add_co_ci_u32_e32 v2, vcc_lo, 0, v144, vcc_lo
	v_cmpx_lt_i16_e32 10, v3
	s_xor_b32 s11, exec_lo, s11
	s_cbranch_execnz .LBB25_4720
; %bb.3873:
	s_and_not1_saveexec_b32 s11, s11
	s_cbranch_execnz .LBB25_4801
.LBB25_3874:
	s_or_b32 exec_lo, exec_lo, s11
	s_mov_b32 s14, 0
	s_and_saveexec_b32 s11, s0
.LBB25_3875:
	v_add_nc_u32_e32 v133, 0x200, v133
	s_mov_b32 s14, exec_lo
.LBB25_3876:
	s_or_b32 exec_lo, exec_lo, s11
	s_delay_alu instid0(SALU_CYCLE_1)
	s_and_not1_b32 s0, s9, exec_lo
	s_and_b32 s11, s13, exec_lo
	s_or_not1_b32 s13, s14, exec_lo
	s_or_b32 s11, s0, s11
.LBB25_3877:
	s_or_b32 exec_lo, exec_lo, s12
	s_mov_b32 s0, 0
	s_mov_b32 s14, 0
	;; [unrolled: 1-line block ×3, first 2 shown]
                                        ; implicit-def: $vgpr4
                                        ; implicit-def: $vgpr2_vgpr3
	s_and_saveexec_b32 s12, s13
	s_cbranch_execz .LBB25_4161
; %bb.3878:
	s_mov_b32 s15, -1
	s_mov_b32 s13, s11
	s_mov_b32 s14, exec_lo
	v_cmpx_lt_i32_e64 v133, v146
	s_cbranch_execz .LBB25_3884
; %bb.3879:
	v_add_nc_u32_e32 v1, s38, v133
	v_and_b32_e32 v3, 0xff, v134
	s_mov_b32 s15, s11
	s_mov_b32 s13, exec_lo
	s_delay_alu instid0(VALU_DEP_2) | instskip(NEXT) | instid1(VALU_DEP_1)
	v_mul_lo_u32 v1, v1, v135
	v_add_co_u32 v1, vcc_lo, v145, v1
	v_add_co_ci_u32_e32 v2, vcc_lo, 0, v144, vcc_lo
	v_cmpx_lt_i16_e32 10, v3
	s_xor_b32 s13, exec_lo, s13
	s_cbranch_execnz .LBB25_4844
; %bb.3880:
	s_and_not1_saveexec_b32 s13, s13
	s_cbranch_execnz .LBB25_4925
.LBB25_3881:
	s_or_b32 exec_lo, exec_lo, s13
	s_mov_b32 s16, 0
	s_and_saveexec_b32 s13, s0
.LBB25_3882:
	v_add_nc_u32_e32 v133, 0x200, v133
	s_mov_b32 s16, exec_lo
.LBB25_3883:
	s_or_b32 exec_lo, exec_lo, s13
	s_delay_alu instid0(SALU_CYCLE_1)
	s_and_not1_b32 s0, s11, exec_lo
	s_and_b32 s13, s15, exec_lo
	s_or_not1_b32 s15, s16, exec_lo
	s_or_b32 s13, s0, s13
.LBB25_3884:
	s_or_b32 exec_lo, exec_lo, s14
	s_mov_b32 s0, 0
	s_mov_b32 s16, 0
	;; [unrolled: 1-line block ×3, first 2 shown]
                                        ; implicit-def: $vgpr4
                                        ; implicit-def: $vgpr2_vgpr3
	s_and_saveexec_b32 s14, s15
	s_cbranch_execz .LBB25_4160
; %bb.3885:
	s_mov_b32 s17, -1
	s_mov_b32 s15, s13
	s_mov_b32 s16, exec_lo
	v_cmpx_lt_i32_e64 v133, v146
	s_cbranch_execz .LBB25_3891
; %bb.3886:
	v_add_nc_u32_e32 v1, s38, v133
	v_and_b32_e32 v3, 0xff, v134
	s_mov_b32 s17, s13
	s_mov_b32 s15, exec_lo
	s_delay_alu instid0(VALU_DEP_2) | instskip(NEXT) | instid1(VALU_DEP_1)
	v_mul_lo_u32 v1, v1, v135
	v_add_co_u32 v1, vcc_lo, v145, v1
	v_add_co_ci_u32_e32 v2, vcc_lo, 0, v144, vcc_lo
	v_cmpx_lt_i16_e32 10, v3
	s_xor_b32 s15, exec_lo, s15
	s_cbranch_execnz .LBB25_4968
; %bb.3887:
	s_and_not1_saveexec_b32 s15, s15
	s_cbranch_execnz .LBB25_5049
.LBB25_3888:
	s_or_b32 exec_lo, exec_lo, s15
	s_mov_b32 s18, 0
	s_and_saveexec_b32 s15, s0
.LBB25_3889:
	v_add_nc_u32_e32 v133, 0x200, v133
	s_mov_b32 s18, exec_lo
.LBB25_3890:
	s_or_b32 exec_lo, exec_lo, s15
	s_delay_alu instid0(SALU_CYCLE_1)
	s_and_not1_b32 s0, s13, exec_lo
	s_and_b32 s15, s17, exec_lo
	s_or_not1_b32 s17, s18, exec_lo
	s_or_b32 s15, s0, s15
.LBB25_3891:
	s_or_b32 exec_lo, exec_lo, s16
	s_mov_b32 s0, 0
	s_mov_b32 s18, 0
	;; [unrolled: 1-line block ×3, first 2 shown]
                                        ; implicit-def: $vgpr4
                                        ; implicit-def: $vgpr2_vgpr3
	s_and_saveexec_b32 s16, s17
	s_cbranch_execz .LBB25_4159
; %bb.3892:
	s_mov_b32 s19, -1
	s_mov_b32 s17, s15
	s_mov_b32 s18, exec_lo
	v_cmpx_lt_i32_e64 v133, v146
	s_cbranch_execz .LBB25_3898
; %bb.3893:
	v_add_nc_u32_e32 v1, s38, v133
	v_and_b32_e32 v3, 0xff, v134
	s_mov_b32 s19, s15
	s_mov_b32 s17, exec_lo
	s_delay_alu instid0(VALU_DEP_2) | instskip(NEXT) | instid1(VALU_DEP_1)
	v_mul_lo_u32 v1, v1, v135
	v_add_co_u32 v1, vcc_lo, v145, v1
	v_add_co_ci_u32_e32 v2, vcc_lo, 0, v144, vcc_lo
	v_cmpx_lt_i16_e32 10, v3
	s_xor_b32 s17, exec_lo, s17
	s_cbranch_execnz .LBB25_5094
; %bb.3894:
	s_and_not1_saveexec_b32 s17, s17
	s_cbranch_execnz .LBB25_5175
.LBB25_3895:
	s_or_b32 exec_lo, exec_lo, s17
	s_mov_b32 s20, 0
	s_and_saveexec_b32 s17, s0
.LBB25_3896:
	v_add_nc_u32_e32 v133, 0x200, v133
	s_mov_b32 s20, exec_lo
.LBB25_3897:
	s_or_b32 exec_lo, exec_lo, s17
	s_delay_alu instid0(SALU_CYCLE_1)
	s_and_not1_b32 s0, s15, exec_lo
	s_and_b32 s17, s19, exec_lo
	s_or_not1_b32 s19, s20, exec_lo
	s_or_b32 s17, s0, s17
.LBB25_3898:
	s_or_b32 exec_lo, exec_lo, s18
	s_mov_b32 s0, 0
	s_mov_b32 s20, 0
	;; [unrolled: 1-line block ×3, first 2 shown]
                                        ; implicit-def: $vgpr4
                                        ; implicit-def: $vgpr2_vgpr3
	s_and_saveexec_b32 s18, s19
	s_cbranch_execz .LBB25_4158
; %bb.3899:
	s_mov_b32 s21, -1
	s_mov_b32 s19, s17
	s_mov_b32 s20, exec_lo
	v_cmpx_lt_i32_e64 v133, v146
	s_cbranch_execz .LBB25_3905
; %bb.3900:
	v_add_nc_u32_e32 v1, s38, v133
	v_and_b32_e32 v3, 0xff, v134
	s_mov_b32 s21, s17
	s_mov_b32 s19, exec_lo
	s_delay_alu instid0(VALU_DEP_2) | instskip(NEXT) | instid1(VALU_DEP_1)
	v_mul_lo_u32 v1, v1, v135
	v_add_co_u32 v1, vcc_lo, v145, v1
	v_add_co_ci_u32_e32 v2, vcc_lo, 0, v144, vcc_lo
	v_cmpx_lt_i16_e32 10, v3
	s_xor_b32 s19, exec_lo, s19
	s_cbranch_execnz .LBB25_5220
; %bb.3901:
	s_and_not1_saveexec_b32 s19, s19
	s_cbranch_execnz .LBB25_5301
.LBB25_3902:
	s_or_b32 exec_lo, exec_lo, s19
	s_mov_b32 s22, 0
	s_and_saveexec_b32 s19, s0
.LBB25_3903:
	v_add_nc_u32_e32 v133, 0x200, v133
	s_mov_b32 s22, exec_lo
.LBB25_3904:
	s_or_b32 exec_lo, exec_lo, s19
	s_delay_alu instid0(SALU_CYCLE_1)
	s_and_not1_b32 s0, s17, exec_lo
	s_and_b32 s19, s21, exec_lo
	s_or_not1_b32 s21, s22, exec_lo
	s_or_b32 s19, s0, s19
.LBB25_3905:
	s_or_b32 exec_lo, exec_lo, s20
	s_mov_b32 s0, 0
	s_mov_b32 s22, 0
	;; [unrolled: 1-line block ×3, first 2 shown]
                                        ; implicit-def: $vgpr4
                                        ; implicit-def: $vgpr2_vgpr3
	s_and_saveexec_b32 s20, s21
	s_cbranch_execz .LBB25_4157
; %bb.3906:
	s_mov_b32 s23, -1
	s_mov_b32 s21, s19
	s_mov_b32 s22, exec_lo
	v_cmpx_lt_i32_e64 v133, v146
	s_cbranch_execz .LBB25_3912
; %bb.3907:
	v_add_nc_u32_e32 v1, s38, v133
	v_and_b32_e32 v3, 0xff, v134
	s_mov_b32 s23, s19
	s_mov_b32 s21, exec_lo
	s_delay_alu instid0(VALU_DEP_2) | instskip(NEXT) | instid1(VALU_DEP_1)
	v_mul_lo_u32 v1, v1, v135
	v_add_co_u32 v1, vcc_lo, v145, v1
	v_add_co_ci_u32_e32 v2, vcc_lo, 0, v144, vcc_lo
	v_cmpx_lt_i16_e32 10, v3
	s_xor_b32 s21, exec_lo, s21
	s_cbranch_execnz .LBB25_5346
; %bb.3908:
	s_and_not1_saveexec_b32 s21, s21
	s_cbranch_execnz .LBB25_5427
.LBB25_3909:
	s_or_b32 exec_lo, exec_lo, s21
	s_mov_b32 s24, 0
	s_and_saveexec_b32 s21, s0
.LBB25_3910:
	v_add_nc_u32_e32 v133, 0x200, v133
	s_mov_b32 s24, exec_lo
.LBB25_3911:
	s_or_b32 exec_lo, exec_lo, s21
	s_delay_alu instid0(SALU_CYCLE_1)
	s_and_not1_b32 s0, s19, exec_lo
	s_and_b32 s21, s23, exec_lo
	s_or_not1_b32 s23, s24, exec_lo
	s_or_b32 s21, s0, s21
.LBB25_3912:
	s_or_b32 exec_lo, exec_lo, s22
	s_mov_b32 s0, 0
	s_mov_b32 s24, 0
	;; [unrolled: 1-line block ×3, first 2 shown]
                                        ; implicit-def: $vgpr4
                                        ; implicit-def: $vgpr2_vgpr3
	s_and_saveexec_b32 s22, s23
	s_cbranch_execz .LBB25_4156
; %bb.3913:
	s_mov_b32 s25, -1
	s_mov_b32 s23, s21
	s_mov_b32 s24, exec_lo
	v_cmpx_lt_i32_e64 v133, v146
	s_cbranch_execz .LBB25_3919
; %bb.3914:
	v_add_nc_u32_e32 v1, s38, v133
	v_and_b32_e32 v3, 0xff, v134
	s_mov_b32 s25, s21
	s_mov_b32 s23, exec_lo
	s_delay_alu instid0(VALU_DEP_2) | instskip(NEXT) | instid1(VALU_DEP_1)
	v_mul_lo_u32 v1, v1, v135
	v_add_co_u32 v1, vcc_lo, v145, v1
	v_add_co_ci_u32_e32 v2, vcc_lo, 0, v144, vcc_lo
	v_cmpx_lt_i16_e32 10, v3
	s_xor_b32 s23, exec_lo, s23
	s_cbranch_execnz .LBB25_5472
; %bb.3915:
	s_and_not1_saveexec_b32 s23, s23
	s_cbranch_execnz .LBB25_5553
.LBB25_3916:
	s_or_b32 exec_lo, exec_lo, s23
	s_mov_b32 s26, 0
	s_and_saveexec_b32 s23, s0
.LBB25_3917:
	v_add_nc_u32_e32 v133, 0x200, v133
	s_mov_b32 s26, exec_lo
.LBB25_3918:
	s_or_b32 exec_lo, exec_lo, s23
	s_delay_alu instid0(SALU_CYCLE_1)
	s_and_not1_b32 s0, s21, exec_lo
	s_and_b32 s23, s25, exec_lo
	s_or_not1_b32 s25, s26, exec_lo
	s_or_b32 s23, s0, s23
.LBB25_3919:
	s_or_b32 exec_lo, exec_lo, s24
	s_mov_b32 s0, 0
	s_mov_b32 s26, 0
	;; [unrolled: 1-line block ×3, first 2 shown]
                                        ; implicit-def: $vgpr4
                                        ; implicit-def: $vgpr2_vgpr3
	s_and_saveexec_b32 s24, s25
	s_cbranch_execz .LBB25_4155
; %bb.3920:
	s_mov_b32 s27, -1
	s_mov_b32 s25, s23
	s_mov_b32 s26, exec_lo
	v_cmpx_lt_i32_e64 v133, v146
	s_cbranch_execz .LBB25_3926
; %bb.3921:
	v_add_nc_u32_e32 v1, s38, v133
	v_and_b32_e32 v3, 0xff, v134
	s_mov_b32 s27, s23
	s_mov_b32 s25, exec_lo
	s_delay_alu instid0(VALU_DEP_2) | instskip(NEXT) | instid1(VALU_DEP_1)
	v_mul_lo_u32 v1, v1, v135
	v_add_co_u32 v1, vcc_lo, v145, v1
	v_add_co_ci_u32_e32 v2, vcc_lo, 0, v144, vcc_lo
	v_cmpx_lt_i16_e32 10, v3
	s_xor_b32 s25, exec_lo, s25
	s_cbranch_execnz .LBB25_5598
; %bb.3922:
	s_and_not1_saveexec_b32 s25, s25
	s_cbranch_execnz .LBB25_5679
.LBB25_3923:
	s_or_b32 exec_lo, exec_lo, s25
	s_mov_b32 s28, 0
	s_and_saveexec_b32 s25, s0
.LBB25_3924:
	v_add_nc_u32_e32 v133, 0x200, v133
	s_mov_b32 s28, exec_lo
.LBB25_3925:
	s_or_b32 exec_lo, exec_lo, s25
	s_delay_alu instid0(SALU_CYCLE_1)
	s_and_not1_b32 s0, s23, exec_lo
	s_and_b32 s25, s27, exec_lo
	s_or_not1_b32 s27, s28, exec_lo
	s_or_b32 s25, s0, s25
.LBB25_3926:
	s_or_b32 exec_lo, exec_lo, s26
	s_mov_b32 s0, 0
	s_mov_b32 s28, 0
	;; [unrolled: 1-line block ×3, first 2 shown]
                                        ; implicit-def: $vgpr4
                                        ; implicit-def: $vgpr2_vgpr3
	s_and_saveexec_b32 s26, s27
	s_cbranch_execz .LBB25_4154
; %bb.3927:
	s_mov_b32 s29, -1
	s_mov_b32 s27, s25
	s_mov_b32 s28, exec_lo
	v_cmpx_lt_i32_e64 v133, v146
	s_cbranch_execz .LBB25_3933
; %bb.3928:
	v_add_nc_u32_e32 v1, s38, v133
	v_and_b32_e32 v3, 0xff, v134
	s_mov_b32 s29, s25
	s_mov_b32 s27, exec_lo
	s_delay_alu instid0(VALU_DEP_2) | instskip(NEXT) | instid1(VALU_DEP_1)
	v_mul_lo_u32 v1, v1, v135
	v_add_co_u32 v1, vcc_lo, v145, v1
	v_add_co_ci_u32_e32 v2, vcc_lo, 0, v144, vcc_lo
	v_cmpx_lt_i16_e32 10, v3
	s_xor_b32 s27, exec_lo, s27
	s_cbranch_execnz .LBB25_5724
; %bb.3929:
	s_and_not1_saveexec_b32 s27, s27
	s_cbranch_execnz .LBB25_5805
.LBB25_3930:
	s_or_b32 exec_lo, exec_lo, s27
	s_mov_b32 vcc_lo, 0
	s_and_saveexec_b32 s27, s0
.LBB25_3931:
	v_add_nc_u32_e32 v133, 0x200, v133
	s_mov_b32 vcc_lo, exec_lo
.LBB25_3932:
	s_or_b32 exec_lo, exec_lo, s27
	s_delay_alu instid0(SALU_CYCLE_1)
	s_and_not1_b32 s0, s25, exec_lo
	s_and_b32 s27, s29, exec_lo
	s_or_not1_b32 s29, vcc_lo, exec_lo
	s_or_b32 s27, s0, s27
.LBB25_3933:
	s_or_b32 exec_lo, exec_lo, s28
	s_mov_b32 s0, 0
	s_mov_b32 vcc_lo, 0
	s_mov_b32 vcc_hi, 0
                                        ; implicit-def: $vgpr4
                                        ; implicit-def: $vgpr2_vgpr3
	s_and_saveexec_b32 s28, s29
	s_cbranch_execz .LBB25_4153
; %bb.3934:
	s_mov_b32 s30, -1
	s_mov_b32 s29, s27
	s_mov_b32 vcc_hi, exec_lo
	v_cmpx_lt_i32_e64 v133, v146
	s_cbranch_execz .LBB25_3940
; %bb.3935:
	v_add_nc_u32_e32 v1, s38, v133
	v_and_b32_e32 v3, 0xff, v134
	s_mov_b32 s30, s27
	s_mov_b32 s29, exec_lo
	s_delay_alu instid0(VALU_DEP_2) | instskip(NEXT) | instid1(VALU_DEP_1)
	v_mul_lo_u32 v1, v1, v135
	v_add_co_u32 v1, vcc_lo, v145, v1
	v_add_co_ci_u32_e32 v2, vcc_lo, 0, v144, vcc_lo
	v_cmpx_lt_i16_e32 10, v3
	s_xor_b32 s29, exec_lo, s29
	s_cbranch_execnz .LBB25_5850
; %bb.3936:
	s_and_not1_saveexec_b32 s29, s29
	s_cbranch_execnz .LBB25_5931
.LBB25_3937:
	s_or_b32 exec_lo, exec_lo, s29
	s_mov_b32 vcc_lo, 0
	s_and_saveexec_b32 s29, s0
.LBB25_3938:
	v_add_nc_u32_e32 v133, 0x200, v133
	s_mov_b32 vcc_lo, exec_lo
.LBB25_3939:
	s_or_b32 exec_lo, exec_lo, s29
	s_delay_alu instid0(SALU_CYCLE_1)
	s_and_not1_b32 s0, s27, exec_lo
	s_and_b32 s29, s30, exec_lo
	s_or_not1_b32 s30, vcc_lo, exec_lo
	s_or_b32 s29, s0, s29
.LBB25_3940:
	s_or_b32 exec_lo, exec_lo, vcc_hi
	s_mov_b32 s0, 0
	s_mov_b32 vcc_lo, 0
	s_mov_b32 s31, 0
                                        ; implicit-def: $vgpr4
                                        ; implicit-def: $vgpr2_vgpr3
	s_and_saveexec_b32 vcc_hi, s30
	s_cbranch_execz .LBB25_4152
; %bb.3941:
	s_mov_b32 s34, -1
	s_mov_b32 s30, s29
	s_mov_b32 s31, exec_lo
	v_cmpx_lt_i32_e64 v133, v146
	s_cbranch_execz .LBB25_3947
; %bb.3942:
	v_add_nc_u32_e32 v1, s38, v133
	v_and_b32_e32 v3, 0xff, v134
	s_mov_b32 s34, s29
	s_mov_b32 s30, exec_lo
	s_delay_alu instid0(VALU_DEP_2) | instskip(NEXT) | instid1(VALU_DEP_1)
	v_mul_lo_u32 v1, v1, v135
	v_add_co_u32 v1, vcc_lo, v145, v1
	v_add_co_ci_u32_e32 v2, vcc_lo, 0, v144, vcc_lo
	v_cmpx_lt_i16_e32 10, v3
	s_xor_b32 s30, exec_lo, s30
	s_cbranch_execnz .LBB25_5976
; %bb.3943:
	s_and_not1_saveexec_b32 s30, s30
	s_cbranch_execnz .LBB25_6057
.LBB25_3944:
	s_or_b32 exec_lo, exec_lo, s30
	s_mov_b32 vcc_lo, 0
	s_and_saveexec_b32 s30, s0
.LBB25_3945:
	v_add_nc_u32_e32 v133, 0x200, v133
	s_mov_b32 vcc_lo, exec_lo
.LBB25_3946:
	s_or_b32 exec_lo, exec_lo, s30
	s_delay_alu instid0(SALU_CYCLE_1)
	s_and_not1_b32 s0, s29, exec_lo
	s_and_b32 s30, s34, exec_lo
	s_or_not1_b32 s34, vcc_lo, exec_lo
	s_or_b32 s30, s0, s30
.LBB25_3947:
	s_or_b32 exec_lo, exec_lo, s31
	s_mov_b32 s0, 0
	s_mov_b32 vcc_lo, 0
	s_mov_b32 s35, 0
                                        ; implicit-def: $vgpr4
                                        ; implicit-def: $vgpr2_vgpr3
	s_and_saveexec_b32 s31, s34
	s_cbranch_execz .LBB25_4151
; %bb.3948:
	s_mov_b32 s36, -1
	s_mov_b32 s34, s30
	s_mov_b32 s35, exec_lo
	v_cmpx_lt_i32_e64 v133, v146
	s_cbranch_execz .LBB25_3954
; %bb.3949:
	v_add_nc_u32_e32 v1, s38, v133
	v_and_b32_e32 v3, 0xff, v134
	s_mov_b32 s36, s30
	s_mov_b32 s34, exec_lo
	s_delay_alu instid0(VALU_DEP_2) | instskip(NEXT) | instid1(VALU_DEP_1)
	v_mul_lo_u32 v1, v1, v135
	v_add_co_u32 v1, vcc_lo, v145, v1
	v_add_co_ci_u32_e32 v2, vcc_lo, 0, v144, vcc_lo
	v_cmpx_lt_i16_e32 10, v3
	s_xor_b32 s34, exec_lo, s34
	s_cbranch_execnz .LBB25_6102
; %bb.3950:
	s_and_not1_saveexec_b32 s34, s34
	s_cbranch_execnz .LBB25_6183
.LBB25_3951:
	s_or_b32 exec_lo, exec_lo, s34
	s_mov_b32 vcc_lo, 0
	s_and_saveexec_b32 s34, s0
.LBB25_3952:
	v_add_nc_u32_e32 v133, 0x200, v133
	s_mov_b32 vcc_lo, exec_lo
.LBB25_3953:
	s_or_b32 exec_lo, exec_lo, s34
	s_delay_alu instid0(SALU_CYCLE_1)
	s_and_not1_b32 s0, s30, exec_lo
	s_and_b32 s34, s36, exec_lo
	s_or_not1_b32 s36, vcc_lo, exec_lo
	s_or_b32 s34, s0, s34
.LBB25_3954:
	s_or_b32 exec_lo, exec_lo, s35
	s_mov_b32 s0, 0
	s_mov_b32 vcc_lo, 0
	s_mov_b32 s37, 0
                                        ; implicit-def: $vgpr4
                                        ; implicit-def: $vgpr2_vgpr3
	s_and_saveexec_b32 s35, s36
	s_cbranch_execz .LBB25_4150
; %bb.3955:
	s_mov_b32 s41, -1
	s_mov_b32 s36, s34
	s_mov_b32 s37, exec_lo
	v_cmpx_lt_i32_e64 v133, v146
	s_cbranch_execz .LBB25_3961
; %bb.3956:
	v_add_nc_u32_e32 v1, s38, v133
	v_and_b32_e32 v3, 0xff, v134
	s_mov_b32 s41, s34
	s_mov_b32 s36, exec_lo
	s_delay_alu instid0(VALU_DEP_2) | instskip(NEXT) | instid1(VALU_DEP_1)
	v_mul_lo_u32 v1, v1, v135
	v_add_co_u32 v1, vcc_lo, v145, v1
	v_add_co_ci_u32_e32 v2, vcc_lo, 0, v144, vcc_lo
	v_cmpx_lt_i16_e32 10, v3
	s_xor_b32 s36, exec_lo, s36
	s_cbranch_execnz .LBB25_6228
; %bb.3957:
	s_and_not1_saveexec_b32 s36, s36
	s_cbranch_execnz .LBB25_6309
.LBB25_3958:
	s_or_b32 exec_lo, exec_lo, s36
	s_mov_b32 vcc_lo, 0
	s_and_saveexec_b32 s36, s0
.LBB25_3959:
	v_add_nc_u32_e32 v133, 0x200, v133
	s_mov_b32 vcc_lo, exec_lo
.LBB25_3960:
	s_or_b32 exec_lo, exec_lo, s36
	s_delay_alu instid0(SALU_CYCLE_1)
	s_and_not1_b32 s0, s34, exec_lo
	s_and_b32 s36, s41, exec_lo
	s_or_not1_b32 s41, vcc_lo, exec_lo
	s_or_b32 s36, s0, s36
.LBB25_3961:
	s_or_b32 exec_lo, exec_lo, s37
	s_mov_b32 s0, 0
	s_mov_b32 vcc_lo, 0
	s_mov_b32 s42, 0
                                        ; implicit-def: $vgpr4
                                        ; implicit-def: $vgpr2_vgpr3
	s_and_saveexec_b32 s37, s41
	s_cbranch_execz .LBB25_4149
; %bb.3962:
	s_mov_b32 s43, -1
	s_mov_b32 s41, s36
	s_mov_b32 s42, exec_lo
	v_cmpx_lt_i32_e64 v133, v146
	s_cbranch_execz .LBB25_3968
; %bb.3963:
	v_add_nc_u32_e32 v1, s38, v133
	v_and_b32_e32 v3, 0xff, v134
	s_mov_b32 s43, s36
	s_mov_b32 s41, exec_lo
	s_delay_alu instid0(VALU_DEP_2) | instskip(NEXT) | instid1(VALU_DEP_1)
	v_mul_lo_u32 v1, v1, v135
	v_add_co_u32 v1, vcc_lo, v145, v1
	v_add_co_ci_u32_e32 v2, vcc_lo, 0, v144, vcc_lo
	v_cmpx_lt_i16_e32 10, v3
	s_xor_b32 s41, exec_lo, s41
	s_cbranch_execnz .LBB25_6354
; %bb.3964:
	s_and_not1_saveexec_b32 s41, s41
	s_cbranch_execnz .LBB25_6435
.LBB25_3965:
	s_or_b32 exec_lo, exec_lo, s41
	s_mov_b32 vcc_lo, 0
	s_and_saveexec_b32 s41, s0
.LBB25_3966:
	v_add_nc_u32_e32 v133, 0x200, v133
	s_mov_b32 vcc_lo, exec_lo
.LBB25_3967:
	s_or_b32 exec_lo, exec_lo, s41
	s_delay_alu instid0(SALU_CYCLE_1)
	s_and_not1_b32 s0, s36, exec_lo
	s_and_b32 s41, s43, exec_lo
	s_or_not1_b32 s43, vcc_lo, exec_lo
	s_or_b32 s41, s0, s41
.LBB25_3968:
	s_or_b32 exec_lo, exec_lo, s42
	s_mov_b32 s0, 0
	s_mov_b32 vcc_lo, 0
	s_mov_b32 s44, 0
                                        ; implicit-def: $vgpr4
                                        ; implicit-def: $vgpr2_vgpr3
	s_and_saveexec_b32 s42, s43
	s_cbranch_execz .LBB25_4148
; %bb.3969:
	s_mov_b32 s45, -1
	s_mov_b32 s43, s41
	s_mov_b32 s44, exec_lo
	v_cmpx_lt_i32_e64 v133, v146
	s_cbranch_execz .LBB25_3975
; %bb.3970:
	v_add_nc_u32_e32 v1, s38, v133
	v_and_b32_e32 v3, 0xff, v134
	s_mov_b32 s45, s41
	s_mov_b32 s43, exec_lo
	s_delay_alu instid0(VALU_DEP_2) | instskip(NEXT) | instid1(VALU_DEP_1)
	v_mul_lo_u32 v1, v1, v135
	v_add_co_u32 v1, vcc_lo, v145, v1
	v_add_co_ci_u32_e32 v2, vcc_lo, 0, v144, vcc_lo
	v_cmpx_lt_i16_e32 10, v3
	s_xor_b32 s43, exec_lo, s43
	s_cbranch_execnz .LBB25_6480
; %bb.3971:
	s_and_not1_saveexec_b32 s43, s43
	s_cbranch_execnz .LBB25_6561
.LBB25_3972:
	s_or_b32 exec_lo, exec_lo, s43
	s_mov_b32 vcc_lo, 0
	s_and_saveexec_b32 s43, s0
.LBB25_3973:
	v_add_nc_u32_e32 v133, 0x200, v133
	s_mov_b32 vcc_lo, exec_lo
.LBB25_3974:
	s_or_b32 exec_lo, exec_lo, s43
	s_delay_alu instid0(SALU_CYCLE_1)
	s_and_not1_b32 s0, s41, exec_lo
	s_and_b32 s43, s45, exec_lo
	s_or_not1_b32 s45, vcc_lo, exec_lo
	s_or_b32 s43, s0, s43
.LBB25_3975:
	s_or_b32 exec_lo, exec_lo, s44
	s_mov_b32 s0, 0
	s_mov_b32 vcc_lo, 0
	s_mov_b32 s46, 0
                                        ; implicit-def: $vgpr4
                                        ; implicit-def: $vgpr2_vgpr3
	s_and_saveexec_b32 s44, s45
	s_cbranch_execz .LBB25_4147
; %bb.3976:
	s_mov_b32 s47, -1
	s_mov_b32 s45, s43
	s_mov_b32 s46, exec_lo
	v_cmpx_lt_i32_e64 v133, v146
	s_cbranch_execz .LBB25_3982
; %bb.3977:
	v_add_nc_u32_e32 v1, s38, v133
	v_and_b32_e32 v3, 0xff, v134
	s_mov_b32 s47, s43
	s_mov_b32 s45, exec_lo
	s_delay_alu instid0(VALU_DEP_2) | instskip(NEXT) | instid1(VALU_DEP_1)
	v_mul_lo_u32 v1, v1, v135
	v_add_co_u32 v1, vcc_lo, v145, v1
	v_add_co_ci_u32_e32 v2, vcc_lo, 0, v144, vcc_lo
	v_cmpx_lt_i16_e32 10, v3
	s_xor_b32 s45, exec_lo, s45
	s_cbranch_execnz .LBB25_6606
; %bb.3978:
	s_and_not1_saveexec_b32 s45, s45
	s_cbranch_execnz .LBB25_6687
.LBB25_3979:
	s_or_b32 exec_lo, exec_lo, s45
	s_mov_b32 vcc_lo, 0
	s_and_saveexec_b32 s45, s0
.LBB25_3980:
	v_add_nc_u32_e32 v133, 0x200, v133
	s_mov_b32 vcc_lo, exec_lo
.LBB25_3981:
	s_or_b32 exec_lo, exec_lo, s45
	s_delay_alu instid0(SALU_CYCLE_1)
	s_and_not1_b32 s0, s43, exec_lo
	s_and_b32 s45, s47, exec_lo
	s_or_not1_b32 s47, vcc_lo, exec_lo
	s_or_b32 s45, s0, s45
.LBB25_3982:
	s_or_b32 exec_lo, exec_lo, s46
	s_mov_b32 s0, 0
	s_mov_b32 vcc_lo, 0
	s_mov_b32 s48, 0
                                        ; implicit-def: $vgpr4
                                        ; implicit-def: $vgpr2_vgpr3
	s_and_saveexec_b32 s46, s47
	s_cbranch_execz .LBB25_4146
; %bb.3983:
	s_mov_b32 s49, -1
	s_mov_b32 s47, s45
	s_mov_b32 s48, exec_lo
	v_cmpx_lt_i32_e64 v133, v146
	s_cbranch_execz .LBB25_3989
; %bb.3984:
	v_add_nc_u32_e32 v1, s38, v133
	v_and_b32_e32 v3, 0xff, v134
	s_mov_b32 s49, s45
	s_mov_b32 s47, exec_lo
	s_delay_alu instid0(VALU_DEP_2) | instskip(NEXT) | instid1(VALU_DEP_1)
	v_mul_lo_u32 v1, v1, v135
	v_add_co_u32 v1, vcc_lo, v145, v1
	v_add_co_ci_u32_e32 v2, vcc_lo, 0, v144, vcc_lo
	v_cmpx_lt_i16_e32 10, v3
	s_xor_b32 s47, exec_lo, s47
	s_cbranch_execnz .LBB25_6732
; %bb.3985:
	s_and_not1_saveexec_b32 s47, s47
	s_cbranch_execnz .LBB25_6813
.LBB25_3986:
	s_or_b32 exec_lo, exec_lo, s47
	s_mov_b32 vcc_lo, 0
	s_and_saveexec_b32 s47, s0
.LBB25_3987:
	v_add_nc_u32_e32 v133, 0x200, v133
	s_mov_b32 vcc_lo, exec_lo
.LBB25_3988:
	s_or_b32 exec_lo, exec_lo, s47
	s_delay_alu instid0(SALU_CYCLE_1)
	s_and_not1_b32 s0, s45, exec_lo
	s_and_b32 s47, s49, exec_lo
	s_or_not1_b32 s49, vcc_lo, exec_lo
	s_or_b32 s47, s0, s47
.LBB25_3989:
	s_or_b32 exec_lo, exec_lo, s48
	s_mov_b32 s0, 0
	s_mov_b32 vcc_lo, 0
	s_mov_b32 s50, 0
                                        ; implicit-def: $vgpr4
                                        ; implicit-def: $vgpr2_vgpr3
	s_and_saveexec_b32 s48, s49
	s_cbranch_execz .LBB25_4145
; %bb.3990:
	s_mov_b32 s51, -1
	s_mov_b32 s49, s47
	s_mov_b32 s50, exec_lo
	v_cmpx_lt_i32_e64 v133, v146
	s_cbranch_execz .LBB25_3996
; %bb.3991:
	v_add_nc_u32_e32 v1, s38, v133
	v_and_b32_e32 v3, 0xff, v134
	s_mov_b32 s51, s47
	s_mov_b32 s49, exec_lo
	s_delay_alu instid0(VALU_DEP_2) | instskip(NEXT) | instid1(VALU_DEP_1)
	v_mul_lo_u32 v1, v1, v135
	v_add_co_u32 v1, vcc_lo, v145, v1
	v_add_co_ci_u32_e32 v2, vcc_lo, 0, v144, vcc_lo
	v_cmpx_lt_i16_e32 10, v3
	s_xor_b32 s49, exec_lo, s49
	s_cbranch_execnz .LBB25_6858
; %bb.3992:
	s_and_not1_saveexec_b32 s49, s49
	s_cbranch_execnz .LBB25_6939
.LBB25_3993:
	s_or_b32 exec_lo, exec_lo, s49
	s_mov_b32 vcc_lo, 0
	s_and_saveexec_b32 s49, s0
.LBB25_3994:
	v_add_nc_u32_e32 v133, 0x200, v133
	s_mov_b32 vcc_lo, exec_lo
.LBB25_3995:
	s_or_b32 exec_lo, exec_lo, s49
	s_delay_alu instid0(SALU_CYCLE_1)
	s_and_not1_b32 s0, s47, exec_lo
	s_and_b32 s49, s51, exec_lo
	s_or_not1_b32 s51, vcc_lo, exec_lo
	s_or_b32 s49, s0, s49
.LBB25_3996:
	s_or_b32 exec_lo, exec_lo, s50
	s_mov_b32 s0, 0
	s_mov_b32 vcc_lo, 0
	s_mov_b32 s52, 0
                                        ; implicit-def: $vgpr4
                                        ; implicit-def: $vgpr2_vgpr3
	s_and_saveexec_b32 s50, s51
	s_cbranch_execz .LBB25_4144
; %bb.3997:
	s_mov_b32 s53, -1
	s_mov_b32 s51, s49
	s_mov_b32 s52, exec_lo
	v_cmpx_lt_i32_e64 v133, v146
	s_cbranch_execz .LBB25_4003
; %bb.3998:
	v_add_nc_u32_e32 v1, s38, v133
	v_and_b32_e32 v3, 0xff, v134
	s_mov_b32 s53, s49
	s_mov_b32 s51, exec_lo
	s_delay_alu instid0(VALU_DEP_2) | instskip(NEXT) | instid1(VALU_DEP_1)
	v_mul_lo_u32 v1, v1, v135
	v_add_co_u32 v1, vcc_lo, v145, v1
	v_add_co_ci_u32_e32 v2, vcc_lo, 0, v144, vcc_lo
	v_cmpx_lt_i16_e32 10, v3
	s_xor_b32 s51, exec_lo, s51
	s_cbranch_execnz .LBB25_6984
; %bb.3999:
	s_and_not1_saveexec_b32 s51, s51
	s_cbranch_execnz .LBB25_7065
.LBB25_4000:
	s_or_b32 exec_lo, exec_lo, s51
	s_mov_b32 vcc_lo, 0
	s_and_saveexec_b32 s51, s0
.LBB25_4001:
	v_add_nc_u32_e32 v133, 0x200, v133
	s_mov_b32 vcc_lo, exec_lo
.LBB25_4002:
	s_or_b32 exec_lo, exec_lo, s51
	s_delay_alu instid0(SALU_CYCLE_1)
	s_and_not1_b32 s0, s49, exec_lo
	s_and_b32 s51, s53, exec_lo
	s_or_not1_b32 s53, vcc_lo, exec_lo
	s_or_b32 s51, s0, s51
.LBB25_4003:
	s_or_b32 exec_lo, exec_lo, s52
	s_mov_b32 s0, 0
	s_mov_b32 vcc_lo, 0
	s_mov_b32 s54, 0
                                        ; implicit-def: $vgpr4
                                        ; implicit-def: $vgpr2_vgpr3
	s_and_saveexec_b32 s52, s53
	s_cbranch_execz .LBB25_4143
; %bb.4004:
	s_mov_b32 s55, -1
	s_mov_b32 s53, s51
	s_mov_b32 s54, exec_lo
	v_cmpx_lt_i32_e64 v133, v146
	s_cbranch_execz .LBB25_4010
; %bb.4005:
	v_add_nc_u32_e32 v1, s38, v133
	v_and_b32_e32 v3, 0xff, v134
	s_mov_b32 s55, s51
	s_mov_b32 s53, exec_lo
	s_delay_alu instid0(VALU_DEP_2) | instskip(NEXT) | instid1(VALU_DEP_1)
	v_mul_lo_u32 v1, v1, v135
	v_add_co_u32 v1, vcc_lo, v145, v1
	v_add_co_ci_u32_e32 v2, vcc_lo, 0, v144, vcc_lo
	v_cmpx_lt_i16_e32 10, v3
	s_xor_b32 s53, exec_lo, s53
	s_cbranch_execnz .LBB25_7110
; %bb.4006:
	s_and_not1_saveexec_b32 s53, s53
	s_cbranch_execnz .LBB25_7191
.LBB25_4007:
	s_or_b32 exec_lo, exec_lo, s53
	s_mov_b32 vcc_lo, 0
	s_and_saveexec_b32 s53, s0
.LBB25_4008:
	v_add_nc_u32_e32 v133, 0x200, v133
	s_mov_b32 vcc_lo, exec_lo
.LBB25_4009:
	s_or_b32 exec_lo, exec_lo, s53
	s_delay_alu instid0(SALU_CYCLE_1)
	s_and_not1_b32 s0, s51, exec_lo
	s_and_b32 s53, s55, exec_lo
	s_or_not1_b32 s55, vcc_lo, exec_lo
	s_or_b32 s53, s0, s53
.LBB25_4010:
	s_or_b32 exec_lo, exec_lo, s54
	s_mov_b32 s0, 0
	s_mov_b32 vcc_lo, 0
	s_mov_b32 s56, 0
                                        ; implicit-def: $vgpr4
                                        ; implicit-def: $vgpr2_vgpr3
	s_and_saveexec_b32 s54, s55
	s_cbranch_execz .LBB25_4142
; %bb.4011:
	s_mov_b32 s57, -1
	s_mov_b32 s55, s53
	s_mov_b32 s56, exec_lo
	v_cmpx_lt_i32_e64 v133, v146
	s_cbranch_execz .LBB25_4017
; %bb.4012:
	v_add_nc_u32_e32 v1, s38, v133
	v_and_b32_e32 v3, 0xff, v134
	s_mov_b32 s57, s53
	s_mov_b32 s55, exec_lo
	s_delay_alu instid0(VALU_DEP_2) | instskip(NEXT) | instid1(VALU_DEP_1)
	v_mul_lo_u32 v1, v1, v135
	v_add_co_u32 v1, vcc_lo, v145, v1
	v_add_co_ci_u32_e32 v2, vcc_lo, 0, v144, vcc_lo
	v_cmpx_lt_i16_e32 10, v3
	s_xor_b32 s55, exec_lo, s55
	s_cbranch_execnz .LBB25_7236
; %bb.4013:
	s_and_not1_saveexec_b32 s55, s55
	s_cbranch_execnz .LBB25_7317
.LBB25_4014:
	s_or_b32 exec_lo, exec_lo, s55
	s_mov_b32 vcc_lo, 0
	s_and_saveexec_b32 s55, s0
.LBB25_4015:
	v_add_nc_u32_e32 v133, 0x200, v133
	s_mov_b32 vcc_lo, exec_lo
.LBB25_4016:
	s_or_b32 exec_lo, exec_lo, s55
	s_delay_alu instid0(SALU_CYCLE_1)
	s_and_not1_b32 s0, s53, exec_lo
	s_and_b32 s55, s57, exec_lo
	s_or_not1_b32 s57, vcc_lo, exec_lo
	s_or_b32 s55, s0, s55
.LBB25_4017:
	s_or_b32 exec_lo, exec_lo, s56
	s_mov_b32 s0, 0
	s_mov_b32 vcc_lo, 0
	s_mov_b32 s58, 0
                                        ; implicit-def: $vgpr4
                                        ; implicit-def: $vgpr2_vgpr3
	s_and_saveexec_b32 s56, s57
	s_cbranch_execz .LBB25_4141
; %bb.4018:
	s_mov_b32 s59, -1
	s_mov_b32 s57, s55
	s_mov_b32 s58, exec_lo
	v_cmpx_lt_i32_e64 v133, v146
	s_cbranch_execz .LBB25_4024
; %bb.4019:
	v_add_nc_u32_e32 v1, s38, v133
	v_and_b32_e32 v3, 0xff, v134
	s_mov_b32 s59, s55
	s_mov_b32 s57, exec_lo
	s_delay_alu instid0(VALU_DEP_2) | instskip(NEXT) | instid1(VALU_DEP_1)
	v_mul_lo_u32 v1, v1, v135
	v_add_co_u32 v1, vcc_lo, v145, v1
	v_add_co_ci_u32_e32 v2, vcc_lo, 0, v144, vcc_lo
	v_cmpx_lt_i16_e32 10, v3
	s_xor_b32 s57, exec_lo, s57
	s_cbranch_execnz .LBB25_7362
; %bb.4020:
	s_and_not1_saveexec_b32 s57, s57
	s_cbranch_execnz .LBB25_7443
.LBB25_4021:
	s_or_b32 exec_lo, exec_lo, s57
	s_mov_b32 vcc_lo, 0
	s_and_saveexec_b32 s57, s0
.LBB25_4022:
	v_add_nc_u32_e32 v133, 0x200, v133
	s_mov_b32 vcc_lo, exec_lo
.LBB25_4023:
	s_or_b32 exec_lo, exec_lo, s57
	s_delay_alu instid0(SALU_CYCLE_1)
	s_and_not1_b32 s0, s55, exec_lo
	s_and_b32 s57, s59, exec_lo
	s_or_not1_b32 s59, vcc_lo, exec_lo
	s_or_b32 s57, s0, s57
.LBB25_4024:
	s_or_b32 exec_lo, exec_lo, s58
	s_mov_b32 s0, 0
	s_mov_b32 vcc_lo, 0
	s_mov_b32 s60, 0
                                        ; implicit-def: $vgpr4
                                        ; implicit-def: $vgpr2_vgpr3
	s_and_saveexec_b32 s58, s59
	s_cbranch_execz .LBB25_4140
; %bb.4025:
	s_mov_b32 s61, -1
	s_mov_b32 s59, s57
	s_mov_b32 s60, exec_lo
	v_cmpx_lt_i32_e64 v133, v146
	s_cbranch_execz .LBB25_4031
; %bb.4026:
	v_add_nc_u32_e32 v1, s38, v133
	v_and_b32_e32 v3, 0xff, v134
	s_mov_b32 s61, s57
	s_mov_b32 s59, exec_lo
	s_delay_alu instid0(VALU_DEP_2) | instskip(NEXT) | instid1(VALU_DEP_1)
	v_mul_lo_u32 v1, v1, v135
	v_add_co_u32 v1, vcc_lo, v145, v1
	v_add_co_ci_u32_e32 v2, vcc_lo, 0, v144, vcc_lo
	v_cmpx_lt_i16_e32 10, v3
	s_xor_b32 s59, exec_lo, s59
	s_cbranch_execnz .LBB25_7488
; %bb.4027:
	s_and_not1_saveexec_b32 s59, s59
	s_cbranch_execnz .LBB25_7569
.LBB25_4028:
	s_or_b32 exec_lo, exec_lo, s59
	s_mov_b32 vcc_lo, 0
	s_and_saveexec_b32 s59, s0
.LBB25_4029:
	v_add_nc_u32_e32 v133, 0x200, v133
	s_mov_b32 vcc_lo, exec_lo
.LBB25_4030:
	s_or_b32 exec_lo, exec_lo, s59
	s_delay_alu instid0(SALU_CYCLE_1)
	s_and_not1_b32 s0, s57, exec_lo
	s_and_b32 s59, s61, exec_lo
	s_or_not1_b32 s61, vcc_lo, exec_lo
	s_or_b32 s59, s0, s59
.LBB25_4031:
	s_or_b32 exec_lo, exec_lo, s60
	s_mov_b32 s0, 0
	s_mov_b32 vcc_lo, 0
	s_mov_b32 s62, 0
                                        ; implicit-def: $vgpr4
                                        ; implicit-def: $vgpr2_vgpr3
	s_and_saveexec_b32 s60, s61
	s_cbranch_execz .LBB25_4139
; %bb.4032:
	s_mov_b32 s63, -1
	s_mov_b32 s61, s59
	s_mov_b32 s62, exec_lo
	v_cmpx_lt_i32_e64 v133, v146
	s_cbranch_execz .LBB25_4038
; %bb.4033:
	v_add_nc_u32_e32 v1, s38, v133
	v_and_b32_e32 v3, 0xff, v134
	s_mov_b32 s63, s59
	s_mov_b32 s61, exec_lo
	s_delay_alu instid0(VALU_DEP_2) | instskip(NEXT) | instid1(VALU_DEP_1)
	v_mul_lo_u32 v1, v1, v135
	v_add_co_u32 v1, vcc_lo, v145, v1
	v_add_co_ci_u32_e32 v2, vcc_lo, 0, v144, vcc_lo
	v_cmpx_lt_i16_e32 10, v3
	s_xor_b32 s61, exec_lo, s61
	s_cbranch_execnz .LBB25_7614
; %bb.4034:
	s_and_not1_saveexec_b32 s61, s61
	s_cbranch_execnz .LBB25_7695
.LBB25_4035:
	s_or_b32 exec_lo, exec_lo, s61
	s_mov_b32 vcc_lo, 0
	s_and_saveexec_b32 s61, s0
.LBB25_4036:
	v_add_nc_u32_e32 v133, 0x200, v133
	s_mov_b32 vcc_lo, exec_lo
.LBB25_4037:
	s_or_b32 exec_lo, exec_lo, s61
	s_delay_alu instid0(SALU_CYCLE_1)
	s_and_not1_b32 s0, s59, exec_lo
	s_and_b32 s61, s63, exec_lo
	s_or_not1_b32 s63, vcc_lo, exec_lo
	s_or_b32 s61, s0, s61
.LBB25_4038:
	s_or_b32 exec_lo, exec_lo, s62
	s_mov_b32 s0, 0
	s_mov_b32 vcc_lo, 0
	s_mov_b32 s64, 0
                                        ; implicit-def: $vgpr4
                                        ; implicit-def: $vgpr2_vgpr3
	s_and_saveexec_b32 s62, s63
	s_cbranch_execz .LBB25_4138
; %bb.4039:
	s_mov_b32 s66, -1
	s_mov_b32 s63, s61
	s_mov_b32 s64, exec_lo
	v_cmpx_lt_i32_e64 v133, v146
	s_cbranch_execz .LBB25_4045
; %bb.4040:
	v_add_nc_u32_e32 v1, s38, v133
	v_and_b32_e32 v3, 0xff, v134
	s_mov_b32 s65, s61
	s_mov_b32 s63, exec_lo
	s_delay_alu instid0(VALU_DEP_2) | instskip(NEXT) | instid1(VALU_DEP_1)
	v_mul_lo_u32 v1, v1, v135
	v_add_co_u32 v1, vcc_lo, v145, v1
	v_add_co_ci_u32_e32 v2, vcc_lo, 0, v144, vcc_lo
	v_cmpx_lt_i16_e32 10, v3
	s_xor_b32 s63, exec_lo, s63
	s_cbranch_execnz .LBB25_7740
; %bb.4041:
	s_and_not1_saveexec_b32 s63, s63
	s_cbranch_execnz .LBB25_7821
.LBB25_4042:
	s_or_b32 exec_lo, exec_lo, s63
	s_mov_b32 vcc_lo, 0
	s_and_saveexec_b32 s63, s0
.LBB25_4043:
	v_add_nc_u32_e32 v133, 0x200, v133
	s_mov_b32 vcc_lo, exec_lo
.LBB25_4044:
	s_or_b32 exec_lo, exec_lo, s63
	s_delay_alu instid0(SALU_CYCLE_1)
	s_and_not1_b32 s0, s61, exec_lo
	s_and_b32 s63, s65, exec_lo
	s_or_not1_b32 s66, vcc_lo, exec_lo
	s_or_b32 s63, s0, s63
.LBB25_4045:
	s_or_b32 exec_lo, exec_lo, s64
	s_mov_b32 s0, 0
	s_mov_b32 vcc_lo, 0
	s_mov_b32 s65, 0
                                        ; implicit-def: $vgpr4
                                        ; implicit-def: $vgpr2_vgpr3
	s_and_saveexec_b32 s64, s66
	s_cbranch_execz .LBB25_4137
; %bb.4046:
	s_mov_b32 s68, -1
	s_mov_b32 s66, s63
	s_mov_b32 s65, exec_lo
	v_cmpx_lt_i32_e64 v133, v146
	s_cbranch_execz .LBB25_4052
; %bb.4047:
	v_add_nc_u32_e32 v1, s38, v133
	v_and_b32_e32 v3, 0xff, v134
	s_mov_b32 s67, s63
	s_mov_b32 s66, exec_lo
	s_delay_alu instid0(VALU_DEP_2) | instskip(NEXT) | instid1(VALU_DEP_1)
	v_mul_lo_u32 v1, v1, v135
	v_add_co_u32 v1, vcc_lo, v145, v1
	v_add_co_ci_u32_e32 v2, vcc_lo, 0, v144, vcc_lo
	v_cmpx_lt_i16_e32 10, v3
	s_xor_b32 s66, exec_lo, s66
	s_cbranch_execnz .LBB25_7866
; %bb.4048:
	s_and_not1_saveexec_b32 s66, s66
	s_cbranch_execnz .LBB25_7947
.LBB25_4049:
	s_or_b32 exec_lo, exec_lo, s66
	s_mov_b32 vcc_lo, 0
	s_and_saveexec_b32 s66, s0
.LBB25_4050:
	v_add_nc_u32_e32 v133, 0x200, v133
	s_mov_b32 vcc_lo, exec_lo
.LBB25_4051:
	s_or_b32 exec_lo, exec_lo, s66
	s_delay_alu instid0(SALU_CYCLE_1)
	s_and_not1_b32 s0, s63, exec_lo
	s_and_b32 s66, s67, exec_lo
	s_or_not1_b32 s68, vcc_lo, exec_lo
	s_or_b32 s66, s0, s66
.LBB25_4052:
	s_or_b32 exec_lo, exec_lo, s65
	s_mov_b32 s0, 0
	s_mov_b32 vcc_lo, 0
	s_mov_b32 s67, 0
                                        ; implicit-def: $vgpr4
                                        ; implicit-def: $vgpr2_vgpr3
	s_and_saveexec_b32 s65, s68
	s_cbranch_execz .LBB25_4136
; %bb.4053:
	s_mov_b32 s68, -1
	s_mov_b32 s69, s66
	s_mov_b32 s70, 0
	s_mov_b32 s67, exec_lo
                                        ; implicit-def: $vgpr4
                                        ; implicit-def: $vgpr2_vgpr3
	v_cmpx_lt_i32_e64 v133, v146
	s_cbranch_execz .LBB25_4135
; %bb.4054:
	v_add_nc_u32_e32 v1, s38, v133
	v_and_b32_e32 v4, 0xff, v134
	s_mov_b32 s70, -1
	s_mov_b32 s69, s66
	s_mov_b32 s68, 0
	v_mul_lo_u32 v1, v1, v135
	s_mov_b32 s38, exec_lo
	s_delay_alu instid0(VALU_DEP_1)
	v_add_co_u32 v2, vcc_lo, v145, v1
	v_add_co_ci_u32_e32 v3, vcc_lo, 0, v144, vcc_lo
	v_cmpx_lt_i16_e32 10, v4
	s_cbranch_execz .LBB25_4134
; %bb.4055:
	s_mov_b32 s69, 0
	s_mov_b32 s0, s66
	s_mov_b32 s70, exec_lo
	v_cmpx_lt_i16_e32 25, v4
	s_xor_b32 s70, exec_lo, s70
	s_cbranch_execz .LBB25_4091
; %bb.4056:
	s_mov_b32 s0, 0
	s_mov_b32 s71, s66
	s_mov_b32 s68, exec_lo
	v_cmpx_lt_i16_e32 28, v4
	s_xor_b32 s68, exec_lo, s68
	s_cbranch_execz .LBB25_4074
; %bb.4057:
	s_mov_b32 s72, s66
	s_mov_b32 s71, exec_lo
	v_cmpx_lt_i16_e32 43, v4
	s_xor_b32 s71, exec_lo, s71
	s_cbranch_execz .LBB25_4069
; %bb.4058:
	s_mov_b32 s72, 0
	s_mov_b32 s73, s66
	s_mov_b32 s0, exec_lo
	v_cmpx_lt_i16_e32 45, v4
	s_xor_b32 s0, exec_lo, s0
	s_cbranch_execz .LBB25_4062
; %bb.4059:
	s_mov_b32 s73, -1
	s_mov_b32 s74, exec_lo
	v_cmpx_eq_u16_e32 46, v4
	s_cbranch_execz .LBB25_4061
; %bb.4060:
	v_bfe_u32 v1, v0, 16, 1
	v_cmp_o_f32_e32 vcc_lo, v0, v0
	s_mov_b32 s72, exec_lo
	s_xor_b32 s73, exec_lo, -1
	s_delay_alu instid0(VALU_DEP_2) | instskip(NEXT) | instid1(VALU_DEP_1)
	v_add3_u32 v1, v0, v1, 0x7fff
	v_lshrrev_b32_e32 v1, 16, v1
	s_delay_alu instid0(VALU_DEP_1)
	v_cndmask_b32_e32 v1, 0x7fc0, v1, vcc_lo
	flat_store_b32 v[2:3], v1
.LBB25_4061:
	s_or_b32 exec_lo, exec_lo, s74
	s_delay_alu instid0(SALU_CYCLE_1)
	s_and_not1_b32 vcc_lo, s66, exec_lo
	s_and_b32 s73, s73, exec_lo
	s_and_b32 s72, s72, exec_lo
	s_or_b32 s73, vcc_lo, s73
.LBB25_4062:
	s_and_not1_saveexec_b32 s74, s0
	s_cbranch_execz .LBB25_4068
; %bb.4063:
	s_mov_b32 s0, -1
	s_mov_b32 s76, s72
	s_mov_b32 s75, exec_lo
	v_cmpx_eq_u16_e32 44, v4
	s_cbranch_execz .LBB25_4067
; %bb.4064:
	v_bfe_u32 v5, v0, 23, 8
	v_mov_b32_e32 v1, 0xff
	s_mov_b32 s76, exec_lo
	s_delay_alu instid0(VALU_DEP_2)
	v_cmpx_ne_u32_e32 0xff, v5
; %bb.4065:
	v_and_b32_e32 v1, 0x400000, v0
	v_and_or_b32 v5, 0x3fffff, v0, v5
	s_delay_alu instid0(VALU_DEP_2) | instskip(NEXT) | instid1(VALU_DEP_2)
	v_cmp_ne_u32_e32 vcc_lo, 0, v1
	v_cmp_ne_u32_e64 s0, 0, v5
	v_lshrrev_b32_e32 v1, 23, v0
	s_delay_alu instid0(VALU_DEP_2) | instskip(NEXT) | instid1(SALU_CYCLE_1)
	s_and_b32 s0, vcc_lo, s0
	v_cndmask_b32_e64 v5, 0, 1, s0
	s_delay_alu instid0(VALU_DEP_1)
	v_add_nc_u32_e32 v1, v1, v5
; %bb.4066:
	s_or_b32 exec_lo, exec_lo, s76
	s_delay_alu instid0(SALU_CYCLE_1)
	s_or_b32 s76, s72, exec_lo
	s_xor_b32 s0, exec_lo, -1
	flat_store_b8 v[2:3], v1
.LBB25_4067:
	s_or_b32 exec_lo, exec_lo, s75
	s_delay_alu instid0(SALU_CYCLE_1)
	s_and_not1_b32 vcc_lo, s72, exec_lo
	s_and_b32 s72, s76, exec_lo
	s_and_not1_b32 s73, s73, exec_lo
	s_and_b32 s0, s0, exec_lo
	s_or_b32 s72, vcc_lo, s72
	s_or_b32 s73, s73, s0
.LBB25_4068:
	s_or_b32 exec_lo, exec_lo, s74
	s_delay_alu instid0(SALU_CYCLE_1)
	s_and_not1_b32 vcc_lo, s66, exec_lo
	s_and_b32 s73, s73, exec_lo
	s_and_b32 s0, s72, exec_lo
	s_or_b32 s72, vcc_lo, s73
.LBB25_4069:
	s_and_not1_saveexec_b32 s71, s71
	s_cbranch_execz .LBB25_4073
; %bb.4070:
	s_mov_b32 s74, -1
	s_mov_b32 s75, s0
	s_mov_b32 s73, exec_lo
	v_cmpx_eq_u16_e32 29, v4
	s_cbranch_execz .LBB25_4072
; %bb.4071:
	v_trunc_f32_e32 v1, v0
	s_or_b32 s75, s0, exec_lo
	s_xor_b32 s74, exec_lo, -1
	s_delay_alu instid0(VALU_DEP_1) | instskip(NEXT) | instid1(VALU_DEP_1)
	v_mul_f32_e32 v5, 0x2f800000, v1
	v_floor_f32_e32 v5, v5
	s_delay_alu instid0(VALU_DEP_1) | instskip(SKIP_1) | instid1(VALU_DEP_2)
	v_fmamk_f32 v1, v5, 0xcf800000, v1
	v_cvt_u32_f32_e32 v6, v5
	v_cvt_u32_f32_e32 v5, v1
	flat_store_b64 v[2:3], v[5:6]
.LBB25_4072:
	s_or_b32 exec_lo, exec_lo, s73
	s_delay_alu instid0(SALU_CYCLE_1)
	s_and_not1_b32 s0, s0, exec_lo
	s_and_b32 vcc_lo, s75, exec_lo
	s_and_not1_b32 s72, s72, exec_lo
	s_and_b32 s73, s74, exec_lo
	s_or_b32 s0, s0, vcc_lo
	s_or_b32 s72, s72, s73
.LBB25_4073:
	s_or_b32 exec_lo, exec_lo, s71
	s_delay_alu instid0(SALU_CYCLE_1)
	s_and_not1_b32 vcc_lo, s66, exec_lo
	s_and_b32 s71, s72, exec_lo
	s_and_b32 s0, s0, exec_lo
	s_or_b32 s71, vcc_lo, s71
.LBB25_4074:
	s_and_not1_saveexec_b32 s68, s68
	s_cbranch_execz .LBB25_4090
; %bb.4075:
	s_mov_b32 s72, exec_lo
	v_cmpx_lt_i16_e32 26, v4
	s_xor_b32 s72, exec_lo, s72
	s_cbranch_execz .LBB25_4081
; %bb.4076:
	v_cmp_lt_i16_e32 vcc_lo, 27, v4
	v_cvt_u32_f32_e32 v1, v0
	s_and_saveexec_b32 s73, vcc_lo
	s_delay_alu instid0(SALU_CYCLE_1)
	s_xor_b32 vcc_lo, exec_lo, s73
	s_cbranch_execz .LBB25_4078
; %bb.4077:
	flat_store_b32 v[2:3], v1
                                        ; implicit-def: $vgpr1
.LBB25_4078:
	s_and_not1_saveexec_b32 vcc_lo, vcc_lo
	s_cbranch_execz .LBB25_4080
; %bb.4079:
	flat_store_b16 v[2:3], v1
.LBB25_4080:
	s_or_b32 exec_lo, exec_lo, vcc_lo
.LBB25_4081:
	s_and_not1_saveexec_b32 s72, s72
	s_cbranch_execz .LBB25_4089
; %bb.4082:
	v_and_b32_e32 v1, 0x7fffffff, v0
	v_mov_b32_e32 v5, 0x80
	s_mov_b32 s73, exec_lo
	s_delay_alu instid0(VALU_DEP_2)
	v_cmpx_gt_u32_e32 0x43800000, v1
	s_cbranch_execz .LBB25_4088
; %bb.4083:
	v_cmp_lt_u32_e32 vcc_lo, 0x3bffffff, v1
	s_mov_b32 s74, 0
                                        ; implicit-def: $vgpr1
	s_and_saveexec_b32 s75, vcc_lo
	s_delay_alu instid0(SALU_CYCLE_1)
	s_xor_b32 vcc_lo, exec_lo, s75
	s_cbranch_execnz .LBB25_8012
; %bb.4084:
	s_or_saveexec_b32 s75, vcc_lo
                                        ; implicit-def: $vcc_lo
	s_delay_alu instid0(SALU_CYCLE_1)
	s_xor_b32 exec_lo, exec_lo, s75
	s_cbranch_execnz .LBB25_8013
.LBB25_4085:
	s_or_b32 exec_lo, exec_lo, s75
	v_mov_b32_e32 v5, vcc_lo
	s_and_saveexec_b32 vcc_lo, s74
.LBB25_4086:
	v_lshrrev_b32_e32 v5, 24, v0
	s_delay_alu instid0(VALU_DEP_1)
	v_and_or_b32 v5, 0x80, v5, v1
.LBB25_4087:
	s_or_b32 exec_lo, exec_lo, vcc_lo
.LBB25_4088:
	s_delay_alu instid0(SALU_CYCLE_1)
	s_or_b32 exec_lo, exec_lo, s73
	flat_store_b8 v[2:3], v5
.LBB25_4089:
	s_or_b32 exec_lo, exec_lo, s72
	s_delay_alu instid0(SALU_CYCLE_1)
	s_or_b32 s0, s0, exec_lo
.LBB25_4090:
	s_or_b32 exec_lo, exec_lo, s68
	s_delay_alu instid0(SALU_CYCLE_1)
	s_and_not1_b32 vcc_lo, s66, exec_lo
	s_and_b32 s71, s71, exec_lo
	s_and_b32 s68, s0, exec_lo
	s_or_b32 s0, vcc_lo, s71
.LBB25_4091:
	s_and_not1_saveexec_b32 s70, s70
	s_cbranch_execz .LBB25_4133
; %bb.4092:
	s_mov_b32 s71, s68
	s_mov_b32 s69, exec_lo
	v_cmpx_lt_i16_e32 22, v4
	s_xor_b32 s69, exec_lo, s69
	s_cbranch_execz .LBB25_4124
; %bb.4093:
	s_mov_b32 s71, exec_lo
	v_cmpx_lt_i16_e32 23, v4
	s_xor_b32 s71, exec_lo, s71
	s_cbranch_execz .LBB25_4113
; %bb.4094:
	s_mov_b32 s72, exec_lo
	v_cmpx_lt_i16_e32 24, v4
	s_xor_b32 s72, exec_lo, s72
	s_cbranch_execz .LBB25_4102
; %bb.4095:
	v_and_b32_e32 v1, 0x7fffffff, v0
	v_mov_b32_e32 v5, 0x80
	s_mov_b32 s73, exec_lo
	s_delay_alu instid0(VALU_DEP_2)
	v_cmpx_gt_u32_e32 0x47800000, v1
	s_cbranch_execz .LBB25_4101
; %bb.4096:
	v_cmp_lt_u32_e32 vcc_lo, 0x37ffffff, v1
	s_mov_b32 s74, 0
                                        ; implicit-def: $vgpr1
	s_and_saveexec_b32 s75, vcc_lo
	s_delay_alu instid0(SALU_CYCLE_1)
	s_xor_b32 vcc_lo, exec_lo, s75
	s_cbranch_execnz .LBB25_8016
; %bb.4097:
	s_or_saveexec_b32 s75, vcc_lo
                                        ; implicit-def: $vcc_lo
	s_delay_alu instid0(SALU_CYCLE_1)
	s_xor_b32 exec_lo, exec_lo, s75
	s_cbranch_execnz .LBB25_8017
.LBB25_4098:
	s_or_b32 exec_lo, exec_lo, s75
	v_mov_b32_e32 v5, vcc_lo
	s_and_saveexec_b32 vcc_lo, s74
.LBB25_4099:
	v_lshrrev_b32_e32 v5, 24, v0
	s_delay_alu instid0(VALU_DEP_1)
	v_and_or_b32 v5, 0x80, v5, v1
.LBB25_4100:
	s_or_b32 exec_lo, exec_lo, vcc_lo
.LBB25_4101:
	s_delay_alu instid0(SALU_CYCLE_1)
	s_or_b32 exec_lo, exec_lo, s73
	flat_store_b8 v[2:3], v5
.LBB25_4102:
	s_and_not1_saveexec_b32 s72, s72
	s_cbranch_execz .LBB25_4112
; %bb.4103:
	v_and_b32_e32 v5, 0x7fffffff, v0
	s_mov_b32 s73, exec_lo
                                        ; implicit-def: $vgpr1
	s_delay_alu instid0(VALU_DEP_1)
	v_cmpx_gt_u32_e32 0x43f00000, v5
	s_xor_b32 s73, exec_lo, s73
	s_cbranch_execz .LBB25_4109
; %bb.4104:
	s_mov_b32 s74, exec_lo
                                        ; implicit-def: $vgpr1
	v_cmpx_lt_u32_e32 0x3c7fffff, v5
	s_xor_b32 s74, exec_lo, s74
; %bb.4105:
	v_bfe_u32 v1, v0, 20, 1
	s_delay_alu instid0(VALU_DEP_1) | instskip(NEXT) | instid1(VALU_DEP_1)
	v_add3_u32 v1, v0, v1, 0x407ffff
	v_and_b32_e32 v5, 0xff00000, v1
	v_lshrrev_b32_e32 v1, 20, v1
	s_delay_alu instid0(VALU_DEP_2) | instskip(NEXT) | instid1(VALU_DEP_2)
	v_cmp_ne_u32_e32 vcc_lo, 0x7f00000, v5
	v_cndmask_b32_e32 v1, 0x7e, v1, vcc_lo
; %bb.4106:
	s_and_not1_saveexec_b32 vcc_lo, s74
; %bb.4107:
	v_add_f32_e64 v1, 0x46800000, |v0|
; %bb.4108:
	s_or_b32 exec_lo, exec_lo, vcc_lo
                                        ; implicit-def: $vgpr5
.LBB25_4109:
	s_and_not1_saveexec_b32 s73, s73
; %bb.4110:
	v_mov_b32_e32 v1, 0x7f
	v_cmp_lt_u32_e32 vcc_lo, 0x7f800000, v5
	s_delay_alu instid0(VALU_DEP_2)
	v_cndmask_b32_e32 v1, 0x7e, v1, vcc_lo
; %bb.4111:
	s_or_b32 exec_lo, exec_lo, s73
	v_lshrrev_b32_e32 v5, 24, v0
	s_delay_alu instid0(VALU_DEP_1)
	v_and_or_b32 v1, 0x80, v5, v1
	flat_store_b8 v[2:3], v1
.LBB25_4112:
	s_or_b32 exec_lo, exec_lo, s72
.LBB25_4113:
	s_and_not1_saveexec_b32 s71, s71
	s_cbranch_execz .LBB25_4123
; %bb.4114:
	v_and_b32_e32 v5, 0x7fffffff, v0
	s_mov_b32 s72, exec_lo
                                        ; implicit-def: $vgpr1
	s_delay_alu instid0(VALU_DEP_1)
	v_cmpx_gt_u32_e32 0x47800000, v5
	s_xor_b32 s72, exec_lo, s72
	s_cbranch_execz .LBB25_4120
; %bb.4115:
	v_cmp_lt_u32_e32 vcc_lo, 0x387fffff, v5
                                        ; implicit-def: $vgpr1
	s_and_saveexec_b32 s73, vcc_lo
	s_delay_alu instid0(SALU_CYCLE_1)
	s_xor_b32 vcc_lo, exec_lo, s73
; %bb.4116:
	v_bfe_u32 v1, v0, 21, 1
	s_delay_alu instid0(VALU_DEP_1) | instskip(NEXT) | instid1(VALU_DEP_1)
	v_add3_u32 v1, v0, v1, 0x80fffff
	v_lshrrev_b32_e32 v1, 21, v1
; %bb.4117:
	s_and_not1_saveexec_b32 vcc_lo, vcc_lo
; %bb.4118:
	v_add_f32_e64 v1, 0x43000000, |v0|
; %bb.4119:
	s_or_b32 exec_lo, exec_lo, vcc_lo
                                        ; implicit-def: $vgpr5
.LBB25_4120:
	s_and_not1_saveexec_b32 s72, s72
; %bb.4121:
	v_mov_b32_e32 v1, 0x7f
	v_cmp_lt_u32_e32 vcc_lo, 0x7f800000, v5
	s_delay_alu instid0(VALU_DEP_2)
	v_cndmask_b32_e32 v1, 0x7c, v1, vcc_lo
; %bb.4122:
	s_or_b32 exec_lo, exec_lo, s72
	v_lshrrev_b32_e32 v5, 24, v0
	s_delay_alu instid0(VALU_DEP_1)
	v_and_or_b32 v1, 0x80, v5, v1
	flat_store_b8 v[2:3], v1
.LBB25_4123:
	s_or_b32 exec_lo, exec_lo, s71
	s_delay_alu instid0(SALU_CYCLE_1)
	s_or_b32 s71, s68, exec_lo
.LBB25_4124:
	s_or_saveexec_b32 s69, s69
	s_mov_b32 vcc_lo, 0
	s_mov_b32 s72, s0
	s_xor_b32 exec_lo, exec_lo, s69
	s_cbranch_execz .LBB25_4132
; %bb.4125:
	s_mov_b32 s73, s0
	s_mov_b32 s74, s71
	s_mov_b32 s72, exec_lo
	v_cmpx_lt_i16_e32 14, v4
	s_xor_b32 s72, exec_lo, s72
	s_cbranch_execz .LBB25_4129
; %bb.4126:
	s_mov_b32 s73, -1
	s_mov_b32 s75, s71
	s_mov_b32 s74, exec_lo
	v_cmpx_eq_u16_e32 15, v4
	s_cbranch_execz .LBB25_4128
; %bb.4127:
	v_bfe_u32 v1, v0, 16, 1
	v_cmp_o_f32_e32 vcc_lo, v0, v0
	s_or_b32 s75, s71, exec_lo
	s_xor_b32 s73, exec_lo, -1
	s_delay_alu instid0(VALU_DEP_2) | instskip(NEXT) | instid1(VALU_DEP_1)
	v_add3_u32 v1, v0, v1, 0x7fff
	v_lshrrev_b32_e32 v1, 16, v1
	s_delay_alu instid0(VALU_DEP_1)
	v_cndmask_b32_e32 v1, 0x7fc0, v1, vcc_lo
	flat_store_b16 v[2:3], v1
.LBB25_4128:
	s_or_b32 exec_lo, exec_lo, s74
	s_delay_alu instid0(SALU_CYCLE_1)
	s_and_not1_b32 vcc_lo, s71, exec_lo
	s_and_b32 s74, s75, exec_lo
	s_and_not1_b32 s75, s0, exec_lo
	s_and_b32 s73, s73, exec_lo
	s_or_b32 s74, vcc_lo, s74
	s_or_b32 s73, s75, s73
.LBB25_4129:
	s_or_saveexec_b32 s75, s72
	s_mov_b32 s72, 0
	s_xor_b32 exec_lo, exec_lo, s75
; %bb.4130:
	v_cmp_ne_u16_e32 vcc_lo, 11, v4
	s_and_not1_b32 s73, s73, exec_lo
	s_mov_b32 s72, exec_lo
	s_and_b32 vcc_lo, vcc_lo, exec_lo
	s_delay_alu instid0(SALU_CYCLE_1)
	s_or_b32 s73, s73, vcc_lo
; %bb.4131:
	s_or_b32 exec_lo, exec_lo, s75
	s_delay_alu instid0(SALU_CYCLE_1)
	s_and_not1_b32 vcc_lo, s71, exec_lo
	s_and_b32 s71, s74, exec_lo
	s_and_not1_b32 s74, s0, exec_lo
	s_and_b32 s73, s73, exec_lo
	s_or_b32 s71, vcc_lo, s71
	s_and_b32 vcc_lo, s72, exec_lo
	s_or_b32 s72, s74, s73
.LBB25_4132:
	s_or_b32 exec_lo, exec_lo, s69
	s_delay_alu instid0(SALU_CYCLE_1)
	s_and_not1_b32 s68, s68, exec_lo
	s_and_b32 s69, s71, exec_lo
	s_and_not1_b32 s0, s0, exec_lo
	s_and_b32 s71, s72, exec_lo
	s_or_b32 s68, s68, s69
	s_and_b32 s69, vcc_lo, exec_lo
	s_or_b32 s0, s0, s71
.LBB25_4133:
	s_or_b32 exec_lo, exec_lo, s70
	s_delay_alu instid0(SALU_CYCLE_1)
	s_and_not1_b32 vcc_lo, s66, exec_lo
	s_and_b32 s71, s0, exec_lo
	s_and_b32 s68, s68, exec_lo
	s_xor_b32 s70, exec_lo, -1
	s_and_b32 s0, s69, exec_lo
	s_or_b32 s69, vcc_lo, s71
.LBB25_4134:
	s_or_b32 exec_lo, exec_lo, s38
	s_delay_alu instid0(SALU_CYCLE_1)
	s_and_not1_b32 vcc_lo, s66, exec_lo
	s_and_b32 s38, s69, exec_lo
	s_or_not1_b32 s68, s68, exec_lo
	s_and_b32 s70, s70, exec_lo
	s_and_b32 s0, s0, exec_lo
	s_or_b32 s69, vcc_lo, s38
.LBB25_4135:
	s_or_b32 exec_lo, exec_lo, s67
	s_delay_alu instid0(SALU_CYCLE_1)
	s_and_not1_b32 s38, s66, exec_lo
	s_and_b32 s66, s69, exec_lo
	s_and_b32 s67, s68, exec_lo
	s_and_b32 vcc_lo, s70, exec_lo
	s_and_b32 s0, s0, exec_lo
	s_or_b32 s66, s38, s66
.LBB25_4136:
	s_or_b32 exec_lo, exec_lo, s65
	s_delay_alu instid0(SALU_CYCLE_1)
	s_and_not1_b32 s38, s63, exec_lo
	s_and_b32 s63, s66, exec_lo
	s_and_b32 s65, s67, exec_lo
	s_and_b32 vcc_lo, vcc_lo, exec_lo
	s_and_b32 s0, s0, exec_lo
	s_or_b32 s63, s38, s63
.LBB25_4137:
	s_or_b32 exec_lo, exec_lo, s64
	s_delay_alu instid0(SALU_CYCLE_1)
	s_and_not1_b32 s38, s61, exec_lo
	s_and_b32 s61, s63, exec_lo
	s_and_b32 s64, s65, exec_lo
	s_and_b32 vcc_lo, vcc_lo, exec_lo
	s_and_b32 s0, s0, exec_lo
	s_or_b32 s61, s38, s61
.LBB25_4138:
	s_or_b32 exec_lo, exec_lo, s62
	s_delay_alu instid0(SALU_CYCLE_1)
	s_and_not1_b32 s38, s59, exec_lo
	s_and_b32 s59, s61, exec_lo
	s_and_b32 s62, s64, exec_lo
	s_and_b32 vcc_lo, vcc_lo, exec_lo
	s_and_b32 s0, s0, exec_lo
	s_or_b32 s59, s38, s59
.LBB25_4139:
	s_or_b32 exec_lo, exec_lo, s60
	s_delay_alu instid0(SALU_CYCLE_1)
	s_and_not1_b32 s38, s57, exec_lo
	s_and_b32 s57, s59, exec_lo
	s_and_b32 s60, s62, exec_lo
	s_and_b32 vcc_lo, vcc_lo, exec_lo
	s_and_b32 s0, s0, exec_lo
	s_or_b32 s57, s38, s57
.LBB25_4140:
	s_or_b32 exec_lo, exec_lo, s58
	s_delay_alu instid0(SALU_CYCLE_1)
	s_and_not1_b32 s38, s55, exec_lo
	s_and_b32 s55, s57, exec_lo
	s_and_b32 s58, s60, exec_lo
	s_and_b32 vcc_lo, vcc_lo, exec_lo
	s_and_b32 s0, s0, exec_lo
	s_or_b32 s55, s38, s55
.LBB25_4141:
	s_or_b32 exec_lo, exec_lo, s56
	s_delay_alu instid0(SALU_CYCLE_1)
	s_and_not1_b32 s38, s53, exec_lo
	s_and_b32 s53, s55, exec_lo
	s_and_b32 s56, s58, exec_lo
	s_and_b32 vcc_lo, vcc_lo, exec_lo
	s_and_b32 s0, s0, exec_lo
	s_or_b32 s53, s38, s53
.LBB25_4142:
	s_or_b32 exec_lo, exec_lo, s54
	s_delay_alu instid0(SALU_CYCLE_1)
	s_and_not1_b32 s38, s51, exec_lo
	s_and_b32 s51, s53, exec_lo
	s_and_b32 s54, s56, exec_lo
	s_and_b32 vcc_lo, vcc_lo, exec_lo
	s_and_b32 s0, s0, exec_lo
	s_or_b32 s51, s38, s51
.LBB25_4143:
	s_or_b32 exec_lo, exec_lo, s52
	s_delay_alu instid0(SALU_CYCLE_1)
	s_and_not1_b32 s38, s49, exec_lo
	s_and_b32 s49, s51, exec_lo
	s_and_b32 s52, s54, exec_lo
	s_and_b32 vcc_lo, vcc_lo, exec_lo
	s_and_b32 s0, s0, exec_lo
	s_or_b32 s49, s38, s49
.LBB25_4144:
	s_or_b32 exec_lo, exec_lo, s50
	s_delay_alu instid0(SALU_CYCLE_1)
	s_and_not1_b32 s38, s47, exec_lo
	s_and_b32 s47, s49, exec_lo
	s_and_b32 s50, s52, exec_lo
	s_and_b32 vcc_lo, vcc_lo, exec_lo
	s_and_b32 s0, s0, exec_lo
	s_or_b32 s47, s38, s47
.LBB25_4145:
	s_or_b32 exec_lo, exec_lo, s48
	s_delay_alu instid0(SALU_CYCLE_1)
	s_and_not1_b32 s38, s45, exec_lo
	s_and_b32 s45, s47, exec_lo
	s_and_b32 s48, s50, exec_lo
	s_and_b32 vcc_lo, vcc_lo, exec_lo
	s_and_b32 s0, s0, exec_lo
	s_or_b32 s45, s38, s45
.LBB25_4146:
	s_or_b32 exec_lo, exec_lo, s46
	s_delay_alu instid0(SALU_CYCLE_1)
	s_and_not1_b32 s38, s43, exec_lo
	s_and_b32 s43, s45, exec_lo
	s_and_b32 s46, s48, exec_lo
	s_and_b32 vcc_lo, vcc_lo, exec_lo
	s_and_b32 s0, s0, exec_lo
	s_or_b32 s43, s38, s43
.LBB25_4147:
	s_or_b32 exec_lo, exec_lo, s44
	s_delay_alu instid0(SALU_CYCLE_1)
	s_and_not1_b32 s38, s41, exec_lo
	s_and_b32 s41, s43, exec_lo
	s_and_b32 s44, s46, exec_lo
	s_and_b32 vcc_lo, vcc_lo, exec_lo
	s_and_b32 s0, s0, exec_lo
	s_or_b32 s41, s38, s41
.LBB25_4148:
	s_or_b32 exec_lo, exec_lo, s42
	s_delay_alu instid0(SALU_CYCLE_1)
	s_and_not1_b32 s36, s36, exec_lo
	s_and_b32 s38, s41, exec_lo
	s_and_b32 s42, s44, exec_lo
	s_and_b32 vcc_lo, vcc_lo, exec_lo
	s_and_b32 s0, s0, exec_lo
	s_or_b32 s36, s36, s38
.LBB25_4149:
	s_or_b32 exec_lo, exec_lo, s37
	s_delay_alu instid0(SALU_CYCLE_1)
	s_and_not1_b32 s34, s34, exec_lo
	s_and_b32 s36, s36, exec_lo
	s_and_b32 s37, s42, exec_lo
	s_and_b32 vcc_lo, vcc_lo, exec_lo
	s_and_b32 s0, s0, exec_lo
	s_or_b32 s34, s34, s36
.LBB25_4150:
	s_or_b32 exec_lo, exec_lo, s35
	s_delay_alu instid0(SALU_CYCLE_1)
	s_and_not1_b32 s30, s30, exec_lo
	s_and_b32 s34, s34, exec_lo
	s_and_b32 s35, s37, exec_lo
	s_and_b32 vcc_lo, vcc_lo, exec_lo
	s_and_b32 s0, s0, exec_lo
	s_or_b32 s30, s30, s34
.LBB25_4151:
	s_or_b32 exec_lo, exec_lo, s31
	s_delay_alu instid0(SALU_CYCLE_1)
	s_and_not1_b32 s29, s29, exec_lo
	s_and_b32 s30, s30, exec_lo
	s_and_b32 s31, s35, exec_lo
	s_and_b32 vcc_lo, vcc_lo, exec_lo
	s_and_b32 s0, s0, exec_lo
	s_or_b32 s29, s29, s30
.LBB25_4152:
	s_or_b32 exec_lo, exec_lo, vcc_hi
	s_delay_alu instid0(SALU_CYCLE_1)
	s_and_not1_b32 s27, s27, exec_lo
	s_and_b32 s29, s29, exec_lo
	s_and_b32 vcc_hi, s31, exec_lo
	s_and_b32 vcc_lo, vcc_lo, exec_lo
	s_and_b32 s0, s0, exec_lo
	s_or_b32 s27, s27, s29
.LBB25_4153:
	s_or_b32 exec_lo, exec_lo, s28
	s_delay_alu instid0(SALU_CYCLE_1)
	s_and_not1_b32 s25, s25, exec_lo
	s_and_b32 s27, s27, exec_lo
	s_and_b32 s29, vcc_hi, exec_lo
	s_and_b32 s28, vcc_lo, exec_lo
	s_and_b32 s0, s0, exec_lo
	s_or_b32 s25, s25, s27
.LBB25_4154:
	s_or_b32 exec_lo, exec_lo, s26
	s_delay_alu instid0(SALU_CYCLE_1)
	s_and_not1_b32 s23, s23, exec_lo
	s_and_b32 s25, s25, exec_lo
	s_and_b32 s27, s29, exec_lo
	;; [unrolled: 1-line block ×4, first 2 shown]
	s_or_b32 s23, s23, s25
.LBB25_4155:
	s_or_b32 exec_lo, exec_lo, s24
	s_delay_alu instid0(SALU_CYCLE_1)
	s_and_not1_b32 s21, s21, exec_lo
	s_and_b32 s23, s23, exec_lo
	s_and_b32 s25, s27, exec_lo
	;; [unrolled: 1-line block ×4, first 2 shown]
	s_or_b32 s21, s21, s23
.LBB25_4156:
	s_or_b32 exec_lo, exec_lo, s22
	s_delay_alu instid0(SALU_CYCLE_1)
	s_and_not1_b32 s19, s19, exec_lo
	s_and_b32 s21, s21, exec_lo
	s_and_b32 s23, s25, exec_lo
	;; [unrolled: 1-line block ×4, first 2 shown]
	s_or_b32 s19, s19, s21
.LBB25_4157:
	s_or_b32 exec_lo, exec_lo, s20
	s_delay_alu instid0(SALU_CYCLE_1)
	s_and_not1_b32 s17, s17, exec_lo
	s_and_b32 s19, s19, exec_lo
	s_and_b32 s21, s23, exec_lo
	;; [unrolled: 1-line block ×4, first 2 shown]
	s_or_b32 s17, s17, s19
.LBB25_4158:
	s_or_b32 exec_lo, exec_lo, s18
	s_delay_alu instid0(SALU_CYCLE_1)
	s_and_not1_b32 s15, s15, exec_lo
	s_and_b32 s17, s17, exec_lo
	s_and_b32 s19, s21, exec_lo
	;; [unrolled: 1-line block ×4, first 2 shown]
	s_or_b32 s15, s15, s17
.LBB25_4159:
	s_or_b32 exec_lo, exec_lo, s16
	s_delay_alu instid0(SALU_CYCLE_1)
	s_and_not1_b32 s13, s13, exec_lo
	s_and_b32 s15, s15, exec_lo
	s_and_b32 s17, s19, exec_lo
	;; [unrolled: 1-line block ×4, first 2 shown]
	s_or_b32 s13, s13, s15
.LBB25_4160:
	s_or_b32 exec_lo, exec_lo, s14
	s_delay_alu instid0(SALU_CYCLE_1)
	s_and_not1_b32 s11, s11, exec_lo
	s_and_b32 s13, s13, exec_lo
	s_and_b32 s15, s17, exec_lo
	;; [unrolled: 1-line block ×4, first 2 shown]
	s_or_b32 s11, s11, s13
.LBB25_4161:
	s_or_b32 exec_lo, exec_lo, s12
	s_delay_alu instid0(SALU_CYCLE_1)
	s_and_not1_b32 s9, s9, exec_lo
	s_and_b32 s11, s11, exec_lo
	s_and_b32 s13, s15, exec_lo
	;; [unrolled: 1-line block ×4, first 2 shown]
	s_or_b32 s9, s9, s11
.LBB25_4162:
	s_or_b32 exec_lo, exec_lo, s10
	s_delay_alu instid0(SALU_CYCLE_1)
	s_and_not1_b32 s7, s7, exec_lo
	s_and_b32 s9, s9, exec_lo
	s_and_b32 s11, s13, exec_lo
	;; [unrolled: 1-line block ×4, first 2 shown]
	s_or_b32 s7, s7, s9
.LBB25_4163:
	s_or_b32 exec_lo, exec_lo, s8
	s_delay_alu instid0(SALU_CYCLE_1)
	s_and_not1_b32 s5, s5, exec_lo
	s_and_b32 s7, s7, exec_lo
	s_and_b32 s9, s11, exec_lo
	;; [unrolled: 1-line block ×4, first 2 shown]
	s_or_b32 s5, s5, s7
.LBB25_4164:
	s_or_b32 exec_lo, exec_lo, s6
	s_delay_alu instid0(SALU_CYCLE_1)
	s_and_b32 s6, s8, exec_lo
	s_and_not1_b32 s3, s3, exec_lo
	s_and_b32 s8, s5, exec_lo
	s_and_b32 s7, s9, exec_lo
	;; [unrolled: 1-line block ×3, first 2 shown]
	s_or_b32 s3, s3, s8
.LBB25_4165:
	s_or_b32 exec_lo, exec_lo, s4
	s_delay_alu instid0(SALU_CYCLE_1)
	s_and_b32 s4, s6, exec_lo
	s_and_not1_b32 s1, s1, exec_lo
	s_and_b32 s6, s3, exec_lo
	s_and_b32 s0, s7, exec_lo
	;; [unrolled: 1-line block ×3, first 2 shown]
	s_or_b32 s1, s1, s6
.LBB25_4166:
	s_or_b32 exec_lo, exec_lo, s2
	s_mov_b32 s2, 0
	s_and_saveexec_b32 s5, s1
	s_cbranch_execnz .LBB25_4468
; %bb.4167:
	s_or_b32 exec_lo, exec_lo, s5
	s_and_saveexec_b32 s1, s3
	s_delay_alu instid0(SALU_CYCLE_1)
	s_xor_b32 s1, exec_lo, s1
	s_cbranch_execz .LBB25_4169
.LBB25_4168:
	v_cmp_neq_f32_e32 vcc_lo, 0, v0
	s_or_b32 s0, s0, exec_lo
	v_cndmask_b32_e64 v1, 0, 1, vcc_lo
	flat_store_b8 v[2:3], v1
.LBB25_4169:
	s_or_b32 exec_lo, exec_lo, s1
	s_and_saveexec_b32 s1, s4
	s_cbranch_execz .LBB25_4211
; %bb.4170:
	s_mov_b32 s3, exec_lo
	v_cmpx_lt_i16_e32 4, v4
	s_xor_b32 s3, exec_lo, s3
	s_cbranch_execz .LBB25_4192
; %bb.4171:
	s_mov_b32 s4, exec_lo
	v_cmpx_lt_i16_e32 7, v4
	s_xor_b32 s4, exec_lo, s4
	;; [unrolled: 5-line block ×4, first 2 shown]
	s_cbranch_execz .LBB25_4175
; %bb.4174:
	v_cvt_f64_f32_e32 v[5:6], v0
	v_mov_b32_e32 v7, 0
                                        ; implicit-def: $vgpr0
	s_delay_alu instid0(VALU_DEP_1)
	v_mov_b32_e32 v8, v7
	flat_store_b128 v[2:3], v[5:8]
.LBB25_4175:
	s_and_not1_saveexec_b32 s6, s6
	s_cbranch_execz .LBB25_4177
; %bb.4176:
	v_mov_b32_e32 v1, 0
	flat_store_b64 v[2:3], v[0:1]
.LBB25_4177:
	s_or_b32 exec_lo, exec_lo, s6
                                        ; implicit-def: $vgpr0
.LBB25_4178:
	s_and_not1_saveexec_b32 s5, s5
	s_cbranch_execz .LBB25_4180
; %bb.4179:
	v_cvt_f16_f32_e32 v0, v0
	s_delay_alu instid0(VALU_DEP_1)
	v_and_b32_e32 v0, 0xffff, v0
	flat_store_b32 v[2:3], v0
.LBB25_4180:
	s_or_b32 exec_lo, exec_lo, s5
                                        ; implicit-def: $vgpr0
.LBB25_4181:
	s_and_not1_saveexec_b32 s4, s4
	s_cbranch_execz .LBB25_4191
; %bb.4182:
	s_mov_b32 s5, exec_lo
	v_cmpx_lt_i16_e32 5, v4
	s_xor_b32 s5, exec_lo, s5
	s_cbranch_execz .LBB25_4188
; %bb.4183:
	s_mov_b32 s6, exec_lo
	v_cmpx_lt_i16_e32 6, v4
	s_xor_b32 s6, exec_lo, s6
	s_cbranch_execz .LBB25_4185
; %bb.4184:
	v_cvt_f64_f32_e32 v[0:1], v0
	flat_store_b64 v[2:3], v[0:1]
                                        ; implicit-def: $vgpr0
.LBB25_4185:
	s_and_not1_saveexec_b32 s6, s6
	s_cbranch_execz .LBB25_4187
; %bb.4186:
	flat_store_b32 v[2:3], v0
.LBB25_4187:
	s_or_b32 exec_lo, exec_lo, s6
                                        ; implicit-def: $vgpr0
.LBB25_4188:
	s_and_not1_saveexec_b32 s5, s5
	s_cbranch_execz .LBB25_4190
; %bb.4189:
	v_cvt_f16_f32_e32 v0, v0
	flat_store_b16 v[2:3], v0
.LBB25_4190:
	s_or_b32 exec_lo, exec_lo, s5
.LBB25_4191:
	s_delay_alu instid0(SALU_CYCLE_1)
	s_or_b32 exec_lo, exec_lo, s4
                                        ; implicit-def: $vgpr0
.LBB25_4192:
	s_and_not1_saveexec_b32 s3, s3
	s_cbranch_execz .LBB25_4210
; %bb.4193:
	s_mov_b32 s4, exec_lo
	v_cmpx_lt_i16_e32 1, v4
	s_xor_b32 s4, exec_lo, s4
	s_cbranch_execz .LBB25_4203
; %bb.4194:
	s_mov_b32 s5, exec_lo
	v_cmpx_lt_i16_e32 2, v4
	s_xor_b32 s5, exec_lo, s5
	;; [unrolled: 5-line block ×3, first 2 shown]
	s_cbranch_execz .LBB25_4197
; %bb.4196:
	v_trunc_f32_e32 v0, v0
	s_delay_alu instid0(VALU_DEP_1) | instskip(SKIP_1) | instid1(VALU_DEP_2)
	v_mul_f32_e64 v1, 0x2f800000, |v0|
	v_ashrrev_i32_e32 v6, 31, v0
	v_floor_f32_e32 v1, v1
	s_delay_alu instid0(VALU_DEP_1) | instskip(SKIP_1) | instid1(VALU_DEP_2)
	v_fma_f32 v5, 0xcf800000, v1, |v0|
	v_cvt_u32_f32_e32 v1, v1
	v_cvt_u32_f32_e32 v0, v5
	s_delay_alu instid0(VALU_DEP_2) | instskip(NEXT) | instid1(VALU_DEP_2)
	v_xor_b32_e32 v1, v1, v6
	v_xor_b32_e32 v0, v0, v6
	s_delay_alu instid0(VALU_DEP_1) | instskip(NEXT) | instid1(VALU_DEP_3)
	v_sub_co_u32 v0, vcc_lo, v0, v6
	v_sub_co_ci_u32_e32 v1, vcc_lo, v1, v6, vcc_lo
	flat_store_b64 v[2:3], v[0:1]
                                        ; implicit-def: $vgpr0
                                        ; implicit-def: $vgpr2_vgpr3
.LBB25_4197:
	s_and_not1_saveexec_b32 s6, s6
	s_cbranch_execz .LBB25_4199
; %bb.4198:
	v_cvt_i32_f32_e32 v0, v0
	flat_store_b32 v[2:3], v0
.LBB25_4199:
	s_or_b32 exec_lo, exec_lo, s6
                                        ; implicit-def: $vgpr0
                                        ; implicit-def: $vgpr2_vgpr3
.LBB25_4200:
	s_and_not1_saveexec_b32 s5, s5
	s_cbranch_execz .LBB25_4202
; %bb.4201:
	v_cvt_i32_f32_e32 v0, v0
	flat_store_b16 v[2:3], v0
.LBB25_4202:
	s_or_b32 exec_lo, exec_lo, s5
                                        ; implicit-def: $vgpr0
                                        ; implicit-def: $vgpr2_vgpr3
.LBB25_4203:
	s_and_not1_saveexec_b32 s4, s4
	s_cbranch_execz .LBB25_4209
; %bb.4204:
	s_mov_b32 s5, exec_lo
	v_cmpx_lt_i16_e32 0, v4
	s_xor_b32 s5, exec_lo, s5
	s_cbranch_execz .LBB25_4206
; %bb.4205:
	v_cvt_i32_f32_e32 v0, v0
	flat_store_b8 v[2:3], v0
                                        ; implicit-def: $vgpr0
                                        ; implicit-def: $vgpr2_vgpr3
.LBB25_4206:
	s_and_not1_saveexec_b32 s5, s5
	s_cbranch_execz .LBB25_4208
; %bb.4207:
	v_trunc_f32_e32 v0, v0
	s_delay_alu instid0(VALU_DEP_1) | instskip(NEXT) | instid1(VALU_DEP_1)
	v_mul_f32_e64 v1, 0x2f800000, |v0|
	v_floor_f32_e32 v1, v1
	s_delay_alu instid0(VALU_DEP_1) | instskip(SKIP_1) | instid1(VALU_DEP_2)
	v_fma_f32 v1, 0xcf800000, v1, |v0|
	v_ashrrev_i32_e32 v0, 31, v0
	v_cvt_u32_f32_e32 v1, v1
	s_delay_alu instid0(VALU_DEP_1) | instskip(NEXT) | instid1(VALU_DEP_1)
	v_xor_b32_e32 v1, v1, v0
	v_sub_nc_u32_e32 v0, v1, v0
	flat_store_b8 v[2:3], v0
.LBB25_4208:
	s_or_b32 exec_lo, exec_lo, s5
.LBB25_4209:
	s_delay_alu instid0(SALU_CYCLE_1)
	s_or_b32 exec_lo, exec_lo, s4
.LBB25_4210:
	s_delay_alu instid0(SALU_CYCLE_1) | instskip(NEXT) | instid1(SALU_CYCLE_1)
	s_or_b32 exec_lo, exec_lo, s3
	s_or_b32 s0, s0, exec_lo
.LBB25_4211:
	s_or_b32 exec_lo, exec_lo, s1
	s_and_saveexec_b32 s1, s0
	s_delay_alu instid0(SALU_CYCLE_1) | instskip(NEXT) | instid1(SALU_CYCLE_1)
	s_xor_b32 s0, exec_lo, s1
	s_or_b32 exec_lo, exec_lo, s0
	s_delay_alu instid0(SALU_CYCLE_1)
	s_and_b32 s0, s2, exec_lo
.LBB25_4212:
	s_and_not1_saveexec_b32 s1, s40
	s_cbranch_execnz .LBB25_4342
.LBB25_4213:
	s_or_b32 exec_lo, exec_lo, s1
	s_delay_alu instid0(SALU_CYCLE_1)
	s_and_b32 s0, s0, exec_lo
.LBB25_4214:
	s_and_not1_saveexec_b32 s1, s39
	s_cbranch_execnz .LBB25_4218
; %bb.4215:
	s_or_b32 exec_lo, exec_lo, s1
	s_and_saveexec_b32 s1, s0
.LBB25_4216:
	; divergent unreachable
.LBB25_4217:
	s_delay_alu instid0(SALU_CYCLE_1)
	s_or_b32 exec_lo, exec_lo, s1
	scratch_load_b32 v42, off, s33          ; 4-byte Folded Reload
	v_readlane_b32 s30, v41, 11
	v_readlane_b32 s31, v41, 12
	;; [unrolled: 1-line block ×46, first 2 shown]
	s_or_saveexec_b32 s1, -1
	s_clause 0x1
	scratch_load_b32 v40, off, s33 offset:272
	scratch_load_b32 v41, off, s33 offset:276
	s_mov_b32 exec_lo, s1
	s_addk_i32 s32, 0xfee0
	s_mov_b32 s33, s0
	s_waitcnt vmcnt(0) lgkmcnt(0)
	s_setpc_b64 s[30:31]
.LBB25_4218:
	s_cbranch_execnz .LBB25_4344
; %bb.4219:
	s_or_b32 s0, s0, exec_lo
	s_or_b32 exec_lo, exec_lo, s1
	s_and_saveexec_b32 s1, s0
	s_cbranch_execnz .LBB25_4216
	s_branch .LBB25_4217
.LBB25_4220:
	s_mov_b32 s5, s1
	s_mov_b32 s6, exec_lo
	v_cmpx_lt_i16_e32 25, v3
	s_xor_b32 s6, exec_lo, s6
	s_cbranch_execz .LBB25_4256
; %bb.4221:
	s_mov_b32 s7, s1
	s_mov_b32 s5, exec_lo
	v_cmpx_lt_i16_e32 28, v3
	s_xor_b32 s5, exec_lo, s5
	s_cbranch_execz .LBB25_4239
; %bb.4222:
	s_mov_b32 s9, s1
	s_mov_b32 s7, exec_lo
	v_cmpx_lt_i16_e32 43, v3
	s_xor_b32 s7, exec_lo, s7
	s_cbranch_execz .LBB25_4234
; %bb.4223:
	s_mov_b32 s8, 0
	s_mov_b32 s9, s1
	s_mov_b32 s0, exec_lo
	v_cmpx_lt_i16_e32 45, v3
	s_xor_b32 s0, exec_lo, s0
	s_cbranch_execz .LBB25_4227
; %bb.4224:
	s_mov_b32 s10, -1
	s_mov_b32 s9, exec_lo
	v_cmpx_eq_u16_e32 46, v3
	s_cbranch_execz .LBB25_4226
; %bb.4225:
	v_bfe_u32 v3, v131, 16, 1
	v_cmp_o_f32_e32 vcc_lo, v131, v131
	s_mov_b32 s8, exec_lo
	s_xor_b32 s10, exec_lo, -1
	s_delay_alu instid0(VALU_DEP_2) | instskip(NEXT) | instid1(VALU_DEP_1)
	v_add3_u32 v3, v131, v3, 0x7fff
	v_lshrrev_b32_e32 v3, 16, v3
	s_delay_alu instid0(VALU_DEP_1)
	v_cndmask_b32_e32 v3, 0x7fc0, v3, vcc_lo
	flat_store_b32 v[1:2], v3
.LBB25_4226:
	s_or_b32 exec_lo, exec_lo, s9
	s_delay_alu instid0(SALU_CYCLE_1)
	s_and_not1_b32 s9, s1, exec_lo
	s_and_b32 s10, s10, exec_lo
	s_and_b32 s8, s8, exec_lo
	s_or_b32 s9, s9, s10
                                        ; implicit-def: $vgpr3
                                        ; implicit-def: $vgpr1_vgpr2
                                        ; implicit-def: $vgpr131
.LBB25_4227:
	s_and_not1_saveexec_b32 s10, s0
	s_cbranch_execz .LBB25_4233
; %bb.4228:
	s_mov_b32 s12, -1
	s_mov_b32 s0, s8
	s_mov_b32 s11, exec_lo
	v_cmpx_eq_u16_e32 44, v3
	s_cbranch_execz .LBB25_4232
; %bb.4229:
	v_bfe_u32 v4, v131, 23, 8
	v_mov_b32_e32 v3, 0xff
	s_mov_b32 s12, exec_lo
	s_delay_alu instid0(VALU_DEP_2)
	v_cmpx_ne_u32_e32 0xff, v4
; %bb.4230:
	v_and_b32_e32 v3, 0x400000, v131
	v_and_or_b32 v4, 0x3fffff, v131, v4
	s_delay_alu instid0(VALU_DEP_2) | instskip(NEXT) | instid1(VALU_DEP_2)
	v_cmp_ne_u32_e32 vcc_lo, 0, v3
	v_cmp_ne_u32_e64 s0, 0, v4
	v_lshrrev_b32_e32 v3, 23, v131
	s_delay_alu instid0(VALU_DEP_2) | instskip(NEXT) | instid1(SALU_CYCLE_1)
	s_and_b32 s0, vcc_lo, s0
	v_cndmask_b32_e64 v4, 0, 1, s0
	s_delay_alu instid0(VALU_DEP_1)
	v_add_nc_u32_e32 v3, v3, v4
; %bb.4231:
	s_or_b32 exec_lo, exec_lo, s12
	s_delay_alu instid0(SALU_CYCLE_1)
	s_xor_b32 s12, exec_lo, -1
	s_or_b32 s0, s8, exec_lo
	flat_store_b8 v[1:2], v3
.LBB25_4232:
	s_or_b32 exec_lo, exec_lo, s11
	s_delay_alu instid0(SALU_CYCLE_1)
	s_and_not1_b32 s9, s9, exec_lo
	s_and_b32 s11, s12, exec_lo
	s_and_not1_b32 s8, s8, exec_lo
	s_and_b32 s0, s0, exec_lo
	s_or_b32 s9, s9, s11
	s_or_b32 s8, s8, s0
.LBB25_4233:
	s_or_b32 exec_lo, exec_lo, s10
	s_delay_alu instid0(SALU_CYCLE_1) | instskip(SKIP_1) | instid1(SALU_CYCLE_1)
	s_and_not1_b32 s0, s1, exec_lo
	s_and_b32 s9, s9, exec_lo
                                        ; implicit-def: $vgpr3
                                        ; implicit-def: $vgpr131
                                        ; implicit-def: $vgpr1_vgpr2
	s_or_b32 s9, s0, s9
	s_and_b32 s0, s8, exec_lo
.LBB25_4234:
	s_and_not1_saveexec_b32 s7, s7
	s_cbranch_execz .LBB25_4238
; %bb.4235:
	s_mov_b32 s11, -1
	s_mov_b32 s10, s0
	s_mov_b32 s8, exec_lo
	v_cmpx_eq_u16_e32 29, v3
	s_cbranch_execz .LBB25_4237
; %bb.4236:
	v_trunc_f32_e32 v3, v131
	s_xor_b32 s11, exec_lo, -1
	s_or_b32 s10, s0, exec_lo
	s_delay_alu instid0(VALU_DEP_1) | instskip(NEXT) | instid1(VALU_DEP_1)
	v_mul_f32_e32 v4, 0x2f800000, v3
	v_floor_f32_e32 v4, v4
	s_delay_alu instid0(VALU_DEP_1) | instskip(SKIP_1) | instid1(VALU_DEP_2)
	v_fmamk_f32 v3, v4, 0xcf800000, v3
	v_cvt_u32_f32_e32 v4, v4
	v_cvt_u32_f32_e32 v3, v3
	flat_store_b64 v[1:2], v[3:4]
.LBB25_4237:
	s_or_b32 exec_lo, exec_lo, s8
	s_delay_alu instid0(SALU_CYCLE_1)
	s_and_not1_b32 s8, s9, exec_lo
	s_and_b32 s9, s11, exec_lo
	s_and_not1_b32 s0, s0, exec_lo
	s_and_b32 s10, s10, exec_lo
	s_or_b32 s9, s8, s9
	s_or_b32 s0, s0, s10
.LBB25_4238:
	s_or_b32 exec_lo, exec_lo, s7
	s_delay_alu instid0(SALU_CYCLE_1)
	s_and_not1_b32 s7, s1, exec_lo
	s_and_b32 s8, s9, exec_lo
	s_and_b32 s0, s0, exec_lo
	s_or_b32 s7, s7, s8
                                        ; implicit-def: $vgpr1_vgpr2
                                        ; implicit-def: $vgpr3
                                        ; implicit-def: $vgpr131
.LBB25_4239:
	s_and_not1_saveexec_b32 s5, s5
	s_cbranch_execz .LBB25_4255
; %bb.4240:
	s_mov_b32 s8, exec_lo
	v_cmpx_lt_i16_e32 26, v3
	s_xor_b32 s8, exec_lo, s8
	s_cbranch_execz .LBB25_4246
; %bb.4241:
	v_cmp_lt_i16_e32 vcc_lo, 27, v3
	v_cvt_u32_f32_e32 v3, v131
	s_and_saveexec_b32 s9, vcc_lo
	s_delay_alu instid0(SALU_CYCLE_1)
	s_xor_b32 s9, exec_lo, s9
	s_cbranch_execz .LBB25_4243
; %bb.4242:
	flat_store_b32 v[1:2], v3
                                        ; implicit-def: $vgpr1_vgpr2
                                        ; implicit-def: $vgpr3
.LBB25_4243:
	s_and_not1_saveexec_b32 s9, s9
	s_cbranch_execz .LBB25_4245
; %bb.4244:
	flat_store_b16 v[1:2], v3
.LBB25_4245:
	s_or_b32 exec_lo, exec_lo, s9
                                        ; implicit-def: $vgpr1_vgpr2
                                        ; implicit-def: $vgpr131
.LBB25_4246:
	s_and_not1_saveexec_b32 s8, s8
	s_cbranch_execz .LBB25_4254
; %bb.4247:
	v_and_b32_e32 v3, 0x7fffffff, v131
	v_mov_b32_e32 v4, 0x80
	s_mov_b32 s9, exec_lo
	s_delay_alu instid0(VALU_DEP_2)
	v_cmpx_gt_u32_e32 0x43800000, v3
	s_cbranch_execz .LBB25_4253
; %bb.4248:
	v_cmp_lt_u32_e32 vcc_lo, 0x3bffffff, v3
	s_mov_b32 s10, 0
                                        ; implicit-def: $vgpr3
	s_and_saveexec_b32 s11, vcc_lo
	s_delay_alu instid0(SALU_CYCLE_1)
	s_xor_b32 s11, exec_lo, s11
	s_cbranch_execnz .LBB25_4966
; %bb.4249:
	s_or_saveexec_b32 s11, s11
                                        ; implicit-def: $sgpr12
	s_delay_alu instid0(SALU_CYCLE_1)
	s_xor_b32 exec_lo, exec_lo, s11
	s_cbranch_execnz .LBB25_4967
.LBB25_4250:
	s_or_b32 exec_lo, exec_lo, s11
	v_mov_b32_e32 v4, s12
	s_and_saveexec_b32 s11, s10
.LBB25_4251:
	v_lshrrev_b32_e32 v4, 24, v131
	s_delay_alu instid0(VALU_DEP_1)
	v_and_or_b32 v4, 0x80, v4, v3
.LBB25_4252:
	s_or_b32 exec_lo, exec_lo, s11
.LBB25_4253:
	s_delay_alu instid0(SALU_CYCLE_1)
	s_or_b32 exec_lo, exec_lo, s9
	flat_store_b8 v[1:2], v4
.LBB25_4254:
	s_or_b32 exec_lo, exec_lo, s8
	s_delay_alu instid0(SALU_CYCLE_1)
	s_or_b32 s0, s0, exec_lo
.LBB25_4255:
	s_or_b32 exec_lo, exec_lo, s5
	s_delay_alu instid0(SALU_CYCLE_1)
	s_and_not1_b32 s5, s1, exec_lo
	s_and_b32 s7, s7, exec_lo
	s_and_b32 s0, s0, exec_lo
	s_or_b32 s5, s5, s7
                                        ; implicit-def: $vgpr3
                                        ; implicit-def: $vgpr131
                                        ; implicit-def: $vgpr1_vgpr2
.LBB25_4256:
	s_and_not1_saveexec_b32 s6, s6
	s_cbranch_execz .LBB25_4300
; %bb.4257:
	s_mov_b32 s8, s0
	s_mov_b32 s7, exec_lo
	v_cmpx_lt_i16_e32 22, v3
	s_xor_b32 s7, exec_lo, s7
	s_cbranch_execz .LBB25_4289
; %bb.4258:
	s_mov_b32 s8, exec_lo
	v_cmpx_lt_i16_e32 23, v3
	s_xor_b32 s8, exec_lo, s8
	s_cbranch_execz .LBB25_4278
; %bb.4259:
	;; [unrolled: 5-line block ×3, first 2 shown]
	v_and_b32_e32 v3, 0x7fffffff, v131
	v_mov_b32_e32 v4, 0x80
	s_mov_b32 s10, exec_lo
	s_delay_alu instid0(VALU_DEP_2)
	v_cmpx_gt_u32_e32 0x47800000, v3
	s_cbranch_execz .LBB25_4266
; %bb.4261:
	v_cmp_lt_u32_e32 vcc_lo, 0x37ffffff, v3
	s_mov_b32 s11, 0
                                        ; implicit-def: $vgpr3
	s_and_saveexec_b32 s12, vcc_lo
	s_delay_alu instid0(SALU_CYCLE_1)
	s_xor_b32 s12, exec_lo, s12
	s_cbranch_execnz .LBB25_5090
; %bb.4262:
	s_or_saveexec_b32 s12, s12
                                        ; implicit-def: $sgpr13
	s_delay_alu instid0(SALU_CYCLE_1)
	s_xor_b32 exec_lo, exec_lo, s12
	s_cbranch_execnz .LBB25_5091
.LBB25_4263:
	s_or_b32 exec_lo, exec_lo, s12
	v_mov_b32_e32 v4, s13
	s_and_saveexec_b32 s12, s11
.LBB25_4264:
	v_lshrrev_b32_e32 v4, 24, v131
	s_delay_alu instid0(VALU_DEP_1)
	v_and_or_b32 v4, 0x80, v4, v3
.LBB25_4265:
	s_or_b32 exec_lo, exec_lo, s12
.LBB25_4266:
	s_delay_alu instid0(SALU_CYCLE_1)
	s_or_b32 exec_lo, exec_lo, s10
	flat_store_b8 v[1:2], v4
                                        ; implicit-def: $vgpr131
                                        ; implicit-def: $vgpr1_vgpr2
.LBB25_4267:
	s_and_not1_saveexec_b32 s9, s9
	s_cbranch_execz .LBB25_4277
; %bb.4268:
	v_and_b32_e32 v4, 0x7fffffff, v131
	s_mov_b32 s10, exec_lo
                                        ; implicit-def: $vgpr3
	s_delay_alu instid0(VALU_DEP_1)
	v_cmpx_gt_u32_e32 0x43f00000, v4
	s_xor_b32 s10, exec_lo, s10
	s_cbranch_execz .LBB25_4274
; %bb.4269:
	s_mov_b32 s11, exec_lo
                                        ; implicit-def: $vgpr3
	v_cmpx_lt_u32_e32 0x3c7fffff, v4
	s_xor_b32 s11, exec_lo, s11
; %bb.4270:
	v_bfe_u32 v3, v131, 20, 1
	s_delay_alu instid0(VALU_DEP_1) | instskip(NEXT) | instid1(VALU_DEP_1)
	v_add3_u32 v3, v131, v3, 0x407ffff
	v_and_b32_e32 v4, 0xff00000, v3
	v_lshrrev_b32_e32 v3, 20, v3
	s_delay_alu instid0(VALU_DEP_2) | instskip(NEXT) | instid1(VALU_DEP_2)
	v_cmp_ne_u32_e32 vcc_lo, 0x7f00000, v4
	v_cndmask_b32_e32 v3, 0x7e, v3, vcc_lo
; %bb.4271:
	s_and_not1_saveexec_b32 s11, s11
; %bb.4272:
	v_add_f32_e64 v3, 0x46800000, |v131|
; %bb.4273:
	s_or_b32 exec_lo, exec_lo, s11
                                        ; implicit-def: $vgpr4
.LBB25_4274:
	s_and_not1_saveexec_b32 s10, s10
; %bb.4275:
	v_mov_b32_e32 v3, 0x7f
	v_cmp_lt_u32_e32 vcc_lo, 0x7f800000, v4
	s_delay_alu instid0(VALU_DEP_2)
	v_cndmask_b32_e32 v3, 0x7e, v3, vcc_lo
; %bb.4276:
	s_or_b32 exec_lo, exec_lo, s10
	v_lshrrev_b32_e32 v4, 24, v131
	s_delay_alu instid0(VALU_DEP_1)
	v_and_or_b32 v3, 0x80, v4, v3
	flat_store_b8 v[1:2], v3
.LBB25_4277:
	s_or_b32 exec_lo, exec_lo, s9
                                        ; implicit-def: $vgpr131
                                        ; implicit-def: $vgpr1_vgpr2
.LBB25_4278:
	s_and_not1_saveexec_b32 s8, s8
	s_cbranch_execz .LBB25_4288
; %bb.4279:
	v_and_b32_e32 v4, 0x7fffffff, v131
	s_mov_b32 s9, exec_lo
                                        ; implicit-def: $vgpr3
	s_delay_alu instid0(VALU_DEP_1)
	v_cmpx_gt_u32_e32 0x47800000, v4
	s_xor_b32 s9, exec_lo, s9
	s_cbranch_execz .LBB25_4285
; %bb.4280:
	s_mov_b32 s10, exec_lo
                                        ; implicit-def: $vgpr3
	v_cmpx_lt_u32_e32 0x387fffff, v4
	s_xor_b32 s10, exec_lo, s10
; %bb.4281:
	v_bfe_u32 v3, v131, 21, 1
	s_delay_alu instid0(VALU_DEP_1) | instskip(NEXT) | instid1(VALU_DEP_1)
	v_add3_u32 v3, v131, v3, 0x80fffff
	v_lshrrev_b32_e32 v3, 21, v3
; %bb.4282:
	s_and_not1_saveexec_b32 s10, s10
; %bb.4283:
	v_add_f32_e64 v3, 0x43000000, |v131|
; %bb.4284:
	s_or_b32 exec_lo, exec_lo, s10
                                        ; implicit-def: $vgpr4
.LBB25_4285:
	s_and_not1_saveexec_b32 s9, s9
; %bb.4286:
	v_mov_b32_e32 v3, 0x7f
	v_cmp_lt_u32_e32 vcc_lo, 0x7f800000, v4
	s_delay_alu instid0(VALU_DEP_2)
	v_cndmask_b32_e32 v3, 0x7c, v3, vcc_lo
; %bb.4287:
	s_or_b32 exec_lo, exec_lo, s9
	v_lshrrev_b32_e32 v4, 24, v131
	s_delay_alu instid0(VALU_DEP_1)
	v_and_or_b32 v3, 0x80, v4, v3
	flat_store_b8 v[1:2], v3
.LBB25_4288:
	s_or_b32 exec_lo, exec_lo, s8
	s_delay_alu instid0(SALU_CYCLE_1)
	s_or_b32 s8, s0, exec_lo
                                        ; implicit-def: $vgpr3
                                        ; implicit-def: $vgpr131
                                        ; implicit-def: $vgpr1_vgpr2
.LBB25_4289:
	s_or_saveexec_b32 s7, s7
	s_mov_b32 s9, s5
	s_xor_b32 exec_lo, exec_lo, s7
	s_cbranch_execz .LBB25_4299
; %bb.4290:
	s_mov_b32 s9, s8
	s_mov_b32 s10, s5
	s_mov_b32 s11, exec_lo
	v_cmpx_lt_i16_e32 14, v3
	s_xor_b32 s11, exec_lo, s11
	s_cbranch_execz .LBB25_4294
; %bb.4291:
	s_mov_b32 s12, -1
	s_mov_b32 s9, s8
	s_mov_b32 s10, exec_lo
	v_cmpx_eq_u16_e32 15, v3
	s_cbranch_execz .LBB25_4293
; %bb.4292:
	v_bfe_u32 v3, v131, 16, 1
	v_cmp_o_f32_e32 vcc_lo, v131, v131
	s_xor_b32 s12, exec_lo, -1
	s_or_b32 s9, s8, exec_lo
	s_delay_alu instid0(VALU_DEP_2) | instskip(NEXT) | instid1(VALU_DEP_1)
	v_add3_u32 v3, v131, v3, 0x7fff
	v_lshrrev_b32_e32 v3, 16, v3
	s_delay_alu instid0(VALU_DEP_1)
	v_cndmask_b32_e32 v3, 0x7fc0, v3, vcc_lo
	flat_store_b16 v[1:2], v3
.LBB25_4293:
	s_or_b32 exec_lo, exec_lo, s10
	s_delay_alu instid0(SALU_CYCLE_1)
	s_and_not1_b32 s10, s5, exec_lo
	s_and_b32 s12, s12, exec_lo
	s_and_not1_b32 s13, s8, exec_lo
	s_and_b32 s9, s9, exec_lo
	s_or_b32 s10, s10, s12
	s_or_b32 s9, s13, s9
                                        ; implicit-def: $vgpr3
                                        ; implicit-def: $vgpr131
                                        ; implicit-def: $vgpr1_vgpr2
.LBB25_4294:
	s_and_not1_saveexec_b32 s11, s11
	s_cbranch_execz .LBB25_4298
; %bb.4295:
	s_mov_b32 s13, -1
	s_mov_b32 s12, s9
	s_mov_b32 s14, exec_lo
	v_cmpx_eq_u16_e32 11, v3
	s_cbranch_execz .LBB25_4297
; %bb.4296:
	v_cmp_neq_f32_e32 vcc_lo, 0, v131
	s_xor_b32 s13, exec_lo, -1
	s_or_b32 s12, s9, exec_lo
	v_cndmask_b32_e64 v3, 0, 1, vcc_lo
	flat_store_b8 v[1:2], v3
.LBB25_4297:
	s_or_b32 exec_lo, exec_lo, s14
	s_delay_alu instid0(SALU_CYCLE_1)
	s_and_not1_b32 s10, s10, exec_lo
	s_and_b32 s13, s13, exec_lo
	s_and_not1_b32 s9, s9, exec_lo
	s_and_b32 s12, s12, exec_lo
	s_or_b32 s10, s10, s13
	s_or_b32 s9, s9, s12
.LBB25_4298:
	s_or_b32 exec_lo, exec_lo, s11
	s_delay_alu instid0(SALU_CYCLE_1)
	s_and_not1_b32 s11, s5, exec_lo
	s_and_b32 s10, s10, exec_lo
	s_and_not1_b32 s8, s8, exec_lo
	s_and_b32 s12, s9, exec_lo
	s_or_b32 s9, s11, s10
	s_or_b32 s8, s8, s12
.LBB25_4299:
	s_or_b32 exec_lo, exec_lo, s7
	s_delay_alu instid0(SALU_CYCLE_1)
	s_and_not1_b32 s5, s5, exec_lo
	s_and_b32 s7, s9, exec_lo
	s_and_not1_b32 s0, s0, exec_lo
	s_and_b32 s8, s8, exec_lo
	s_or_b32 s5, s5, s7
	s_or_b32 s0, s0, s8
.LBB25_4300:
	s_or_b32 exec_lo, exec_lo, s6
	s_delay_alu instid0(SALU_CYCLE_1)
	s_and_not1_b32 s6, s1, exec_lo
	s_and_b32 s5, s5, exec_lo
	s_and_b32 s0, s0, exec_lo
	s_or_b32 s5, s6, s5
                                        ; implicit-def: $vgpr3
                                        ; implicit-def: $vgpr131
                                        ; implicit-def: $vgpr1_vgpr2
	s_and_not1_saveexec_b32 s3, s3
	s_cbranch_execz .LBB25_3846
.LBB25_4301:
	s_mov_b32 s6, exec_lo
	v_cmpx_lt_i16_e32 4, v3
	s_xor_b32 s6, exec_lo, s6
	s_cbranch_execz .LBB25_4323
; %bb.4302:
	s_mov_b32 s7, exec_lo
	v_cmpx_lt_i16_e32 7, v3
	s_xor_b32 s7, exec_lo, s7
	s_cbranch_execz .LBB25_4312
; %bb.4303:
	;; [unrolled: 5-line block ×4, first 2 shown]
	v_cvt_f64_f32_e32 v[3:4], v131
	v_mov_b32_e32 v5, 0
                                        ; implicit-def: $vgpr131
	s_delay_alu instid0(VALU_DEP_1)
	v_mov_b32_e32 v6, v5
	flat_store_b128 v[1:2], v[3:6]
                                        ; implicit-def: $vgpr1_vgpr2
.LBB25_4306:
	s_and_not1_saveexec_b32 s9, s9
	s_cbranch_execz .LBB25_4308
; %bb.4307:
	v_mov_b32_e32 v132, 0
	flat_store_b64 v[1:2], v[131:132]
.LBB25_4308:
	s_or_b32 exec_lo, exec_lo, s9
                                        ; implicit-def: $vgpr131
                                        ; implicit-def: $vgpr1_vgpr2
.LBB25_4309:
	s_and_not1_saveexec_b32 s8, s8
	s_cbranch_execz .LBB25_4311
; %bb.4310:
	v_cvt_f16_f32_e64 v3, v131
	s_delay_alu instid0(VALU_DEP_1)
	v_and_b32_e32 v3, 0xffff, v3
	flat_store_b32 v[1:2], v3
.LBB25_4311:
	s_or_b32 exec_lo, exec_lo, s8
                                        ; implicit-def: $vgpr131
                                        ; implicit-def: $vgpr1_vgpr2
                                        ; implicit-def: $vgpr3
.LBB25_4312:
	s_and_not1_saveexec_b32 s7, s7
	s_cbranch_execz .LBB25_4322
; %bb.4313:
	s_mov_b32 s8, exec_lo
	v_cmpx_lt_i16_e32 5, v3
	s_xor_b32 s8, exec_lo, s8
	s_cbranch_execz .LBB25_4319
; %bb.4314:
	s_mov_b32 s9, exec_lo
	v_cmpx_lt_i16_e32 6, v3
	s_xor_b32 s9, exec_lo, s9
	s_cbranch_execz .LBB25_4316
; %bb.4315:
	v_cvt_f64_f32_e32 v[3:4], v131
                                        ; implicit-def: $vgpr131
	flat_store_b64 v[1:2], v[3:4]
                                        ; implicit-def: $vgpr1_vgpr2
.LBB25_4316:
	s_and_not1_saveexec_b32 s9, s9
	s_cbranch_execz .LBB25_4318
; %bb.4317:
	flat_store_b32 v[1:2], v131
.LBB25_4318:
	s_or_b32 exec_lo, exec_lo, s9
                                        ; implicit-def: $vgpr131
                                        ; implicit-def: $vgpr1_vgpr2
.LBB25_4319:
	s_and_not1_saveexec_b32 s8, s8
	s_cbranch_execz .LBB25_4321
; %bb.4320:
	v_cvt_f16_f32_e64 v3, v131
	flat_store_b16 v[1:2], v3
.LBB25_4321:
	s_or_b32 exec_lo, exec_lo, s8
.LBB25_4322:
	s_delay_alu instid0(SALU_CYCLE_1)
	s_or_b32 exec_lo, exec_lo, s7
                                        ; implicit-def: $vgpr3
                                        ; implicit-def: $vgpr131
                                        ; implicit-def: $vgpr1_vgpr2
.LBB25_4323:
	s_and_not1_saveexec_b32 s6, s6
	s_cbranch_execz .LBB25_4341
; %bb.4324:
	s_mov_b32 s7, exec_lo
	v_cmpx_lt_i16_e32 1, v3
	s_xor_b32 s7, exec_lo, s7
	s_cbranch_execz .LBB25_4334
; %bb.4325:
	s_mov_b32 s8, exec_lo
	v_cmpx_lt_i16_e32 2, v3
	s_xor_b32 s8, exec_lo, s8
	;; [unrolled: 5-line block ×3, first 2 shown]
	s_cbranch_execz .LBB25_4328
; %bb.4327:
	v_trunc_f32_e32 v3, v131
                                        ; implicit-def: $vgpr131
	s_delay_alu instid0(VALU_DEP_1) | instskip(SKIP_1) | instid1(VALU_DEP_2)
	v_mul_f32_e64 v4, 0x2f800000, |v3|
	v_ashrrev_i32_e32 v6, 31, v3
	v_floor_f32_e32 v4, v4
	s_delay_alu instid0(VALU_DEP_1) | instskip(SKIP_1) | instid1(VALU_DEP_2)
	v_fma_f32 v5, 0xcf800000, v4, |v3|
	v_cvt_u32_f32_e32 v4, v4
	v_cvt_u32_f32_e32 v3, v5
	s_delay_alu instid0(VALU_DEP_2) | instskip(NEXT) | instid1(VALU_DEP_2)
	v_xor_b32_e32 v4, v4, v6
	v_xor_b32_e32 v3, v3, v6
	s_delay_alu instid0(VALU_DEP_1) | instskip(NEXT) | instid1(VALU_DEP_3)
	v_sub_co_u32 v3, vcc_lo, v3, v6
	v_sub_co_ci_u32_e32 v4, vcc_lo, v4, v6, vcc_lo
	flat_store_b64 v[1:2], v[3:4]
                                        ; implicit-def: $vgpr1_vgpr2
.LBB25_4328:
	s_and_not1_saveexec_b32 s9, s9
	s_cbranch_execz .LBB25_4330
; %bb.4329:
	v_cvt_i32_f32_e32 v3, v131
	flat_store_b32 v[1:2], v3
.LBB25_4330:
	s_or_b32 exec_lo, exec_lo, s9
                                        ; implicit-def: $vgpr131
                                        ; implicit-def: $vgpr1_vgpr2
.LBB25_4331:
	s_and_not1_saveexec_b32 s8, s8
	s_cbranch_execz .LBB25_4333
; %bb.4332:
	v_cvt_i32_f32_e32 v3, v131
	flat_store_b16 v[1:2], v3
.LBB25_4333:
	s_or_b32 exec_lo, exec_lo, s8
                                        ; implicit-def: $vgpr131
                                        ; implicit-def: $vgpr1_vgpr2
                                        ; implicit-def: $vgpr3
.LBB25_4334:
	s_and_not1_saveexec_b32 s7, s7
	s_cbranch_execz .LBB25_4340
; %bb.4335:
	s_mov_b32 s8, exec_lo
	v_cmpx_lt_i16_e32 0, v3
	s_xor_b32 s8, exec_lo, s8
	s_cbranch_execz .LBB25_4337
; %bb.4336:
	v_cvt_i32_f32_e32 v3, v131
                                        ; implicit-def: $vgpr131
	flat_store_b8 v[1:2], v3
                                        ; implicit-def: $vgpr1_vgpr2
.LBB25_4337:
	s_and_not1_saveexec_b32 s8, s8
	s_cbranch_execz .LBB25_4339
; %bb.4338:
	v_trunc_f32_e32 v3, v131
	s_delay_alu instid0(VALU_DEP_1) | instskip(NEXT) | instid1(VALU_DEP_1)
	v_mul_f32_e64 v4, 0x2f800000, |v3|
	v_floor_f32_e32 v4, v4
	s_delay_alu instid0(VALU_DEP_1) | instskip(SKIP_1) | instid1(VALU_DEP_2)
	v_fma_f32 v4, 0xcf800000, v4, |v3|
	v_ashrrev_i32_e32 v3, 31, v3
	v_cvt_u32_f32_e32 v4, v4
	s_delay_alu instid0(VALU_DEP_1) | instskip(NEXT) | instid1(VALU_DEP_1)
	v_xor_b32_e32 v4, v4, v3
	v_sub_nc_u32_e32 v3, v4, v3
	flat_store_b8 v[1:2], v3
.LBB25_4339:
	s_or_b32 exec_lo, exec_lo, s8
.LBB25_4340:
	s_delay_alu instid0(SALU_CYCLE_1)
	s_or_b32 exec_lo, exec_lo, s7
.LBB25_4341:
	s_delay_alu instid0(SALU_CYCLE_1) | instskip(NEXT) | instid1(SALU_CYCLE_1)
	s_or_b32 exec_lo, exec_lo, s6
	s_or_b32 s0, s0, exec_lo
	s_or_b32 exec_lo, exec_lo, s3
	s_mov_b32 s6, 0
	s_and_saveexec_b32 s3, s0
	s_cbranch_execnz .LBB25_3847
	s_branch .LBB25_3848
.LBB25_4342:
	s_cbranch_execnz .LBB25_4470
; %bb.4343:
	s_or_b32 s0, s0, exec_lo
	s_branch .LBB25_4213
.LBB25_4344:
	s_trap 2
	s_sendmsg_rtn_b32 s0, sendmsg(MSG_RTN_GET_DOORBELL)
	s_mov_b32 ttmp2, m0
	s_waitcnt lgkmcnt(0)
	s_and_b32 s0, s0, 0x3ff
	s_delay_alu instid0(SALU_CYCLE_1) | instskip(NEXT) | instid1(SALU_CYCLE_1)
	s_bitset1_b32 s0, 10
	s_mov_b32 m0, s0
	s_sendmsg sendmsg(MSG_INTERRUPT)
	s_mov_b32 m0, ttmp2
.LBB25_4345:                            ; =>This Inner Loop Header: Depth=1
	s_sethalt 5
	s_branch .LBB25_4345
.LBB25_4346:
	s_mov_b32 s7, s3
	s_mov_b32 s8, exec_lo
	v_cmpx_lt_i16_e32 25, v3
	s_xor_b32 s8, exec_lo, s8
	s_cbranch_execz .LBB25_4382
; %bb.4347:
	s_mov_b32 s9, s3
	s_mov_b32 s7, exec_lo
	v_cmpx_lt_i16_e32 28, v3
	s_xor_b32 s7, exec_lo, s7
	s_cbranch_execz .LBB25_4365
; %bb.4348:
	s_mov_b32 s11, s3
	s_mov_b32 s9, exec_lo
	v_cmpx_lt_i16_e32 43, v3
	s_xor_b32 s9, exec_lo, s9
	s_cbranch_execz .LBB25_4360
; %bb.4349:
	s_mov_b32 s10, 0
	s_mov_b32 s11, s3
	s_mov_b32 s0, exec_lo
	v_cmpx_lt_i16_e32 45, v3
	s_xor_b32 s0, exec_lo, s0
	s_cbranch_execz .LBB25_4353
; %bb.4350:
	s_mov_b32 s12, -1
	s_mov_b32 s11, exec_lo
	v_cmpx_eq_u16_e32 46, v3
	s_cbranch_execz .LBB25_4352
; %bb.4351:
	v_bfe_u32 v3, v130, 16, 1
	v_cmp_o_f32_e32 vcc_lo, v130, v130
	s_mov_b32 s10, exec_lo
	s_xor_b32 s12, exec_lo, -1
	s_delay_alu instid0(VALU_DEP_2) | instskip(NEXT) | instid1(VALU_DEP_1)
	v_add3_u32 v3, v130, v3, 0x7fff
	v_lshrrev_b32_e32 v3, 16, v3
	s_delay_alu instid0(VALU_DEP_1)
	v_cndmask_b32_e32 v3, 0x7fc0, v3, vcc_lo
	flat_store_b32 v[1:2], v3
.LBB25_4352:
	s_or_b32 exec_lo, exec_lo, s11
	s_delay_alu instid0(SALU_CYCLE_1)
	s_and_not1_b32 s11, s3, exec_lo
	s_and_b32 s12, s12, exec_lo
	s_and_b32 s10, s10, exec_lo
	s_or_b32 s11, s11, s12
                                        ; implicit-def: $vgpr3
                                        ; implicit-def: $vgpr1_vgpr2
                                        ; implicit-def: $vgpr130
.LBB25_4353:
	s_and_not1_saveexec_b32 s12, s0
	s_cbranch_execz .LBB25_4359
; %bb.4354:
	s_mov_b32 s14, -1
	s_mov_b32 s0, s10
	s_mov_b32 s13, exec_lo
	v_cmpx_eq_u16_e32 44, v3
	s_cbranch_execz .LBB25_4358
; %bb.4355:
	v_bfe_u32 v4, v130, 23, 8
	v_mov_b32_e32 v3, 0xff
	s_mov_b32 s14, exec_lo
	s_delay_alu instid0(VALU_DEP_2)
	v_cmpx_ne_u32_e32 0xff, v4
; %bb.4356:
	v_and_b32_e32 v3, 0x400000, v130
	v_and_or_b32 v4, 0x3fffff, v130, v4
	s_delay_alu instid0(VALU_DEP_2) | instskip(NEXT) | instid1(VALU_DEP_2)
	v_cmp_ne_u32_e32 vcc_lo, 0, v3
	v_cmp_ne_u32_e64 s0, 0, v4
	v_lshrrev_b32_e32 v3, 23, v130
	s_delay_alu instid0(VALU_DEP_2) | instskip(NEXT) | instid1(SALU_CYCLE_1)
	s_and_b32 s0, vcc_lo, s0
	v_cndmask_b32_e64 v4, 0, 1, s0
	s_delay_alu instid0(VALU_DEP_1)
	v_add_nc_u32_e32 v3, v3, v4
; %bb.4357:
	s_or_b32 exec_lo, exec_lo, s14
	s_delay_alu instid0(SALU_CYCLE_1)
	s_xor_b32 s14, exec_lo, -1
	s_or_b32 s0, s10, exec_lo
	flat_store_b8 v[1:2], v3
.LBB25_4358:
	s_or_b32 exec_lo, exec_lo, s13
	s_delay_alu instid0(SALU_CYCLE_1)
	s_and_not1_b32 s11, s11, exec_lo
	s_and_b32 s13, s14, exec_lo
	s_and_not1_b32 s10, s10, exec_lo
	s_and_b32 s0, s0, exec_lo
	s_or_b32 s11, s11, s13
	s_or_b32 s10, s10, s0
.LBB25_4359:
	s_or_b32 exec_lo, exec_lo, s12
	s_delay_alu instid0(SALU_CYCLE_1) | instskip(SKIP_1) | instid1(SALU_CYCLE_1)
	s_and_not1_b32 s0, s3, exec_lo
	s_and_b32 s11, s11, exec_lo
                                        ; implicit-def: $vgpr3
                                        ; implicit-def: $vgpr130
                                        ; implicit-def: $vgpr1_vgpr2
	s_or_b32 s11, s0, s11
	s_and_b32 s0, s10, exec_lo
.LBB25_4360:
	s_and_not1_saveexec_b32 s9, s9
	s_cbranch_execz .LBB25_4364
; %bb.4361:
	s_mov_b32 s13, -1
	s_mov_b32 s12, s0
	s_mov_b32 s10, exec_lo
	v_cmpx_eq_u16_e32 29, v3
	s_cbranch_execz .LBB25_4363
; %bb.4362:
	v_trunc_f32_e32 v3, v130
	s_xor_b32 s13, exec_lo, -1
	s_or_b32 s12, s0, exec_lo
	s_delay_alu instid0(VALU_DEP_1) | instskip(NEXT) | instid1(VALU_DEP_1)
	v_mul_f32_e32 v4, 0x2f800000, v3
	v_floor_f32_e32 v4, v4
	s_delay_alu instid0(VALU_DEP_1) | instskip(SKIP_1) | instid1(VALU_DEP_2)
	v_fmamk_f32 v3, v4, 0xcf800000, v3
	v_cvt_u32_f32_e32 v4, v4
	v_cvt_u32_f32_e32 v3, v3
	flat_store_b64 v[1:2], v[3:4]
.LBB25_4363:
	s_or_b32 exec_lo, exec_lo, s10
	s_delay_alu instid0(SALU_CYCLE_1)
	s_and_not1_b32 s10, s11, exec_lo
	s_and_b32 s11, s13, exec_lo
	s_and_not1_b32 s0, s0, exec_lo
	s_and_b32 s12, s12, exec_lo
	s_or_b32 s11, s10, s11
	s_or_b32 s0, s0, s12
.LBB25_4364:
	s_or_b32 exec_lo, exec_lo, s9
	s_delay_alu instid0(SALU_CYCLE_1)
	s_and_not1_b32 s9, s3, exec_lo
	s_and_b32 s10, s11, exec_lo
	s_and_b32 s0, s0, exec_lo
	s_or_b32 s9, s9, s10
                                        ; implicit-def: $vgpr1_vgpr2
                                        ; implicit-def: $vgpr3
                                        ; implicit-def: $vgpr130
.LBB25_4365:
	s_and_not1_saveexec_b32 s7, s7
	s_cbranch_execz .LBB25_4381
; %bb.4366:
	s_mov_b32 s10, exec_lo
	v_cmpx_lt_i16_e32 26, v3
	s_xor_b32 s10, exec_lo, s10
	s_cbranch_execz .LBB25_4372
; %bb.4367:
	v_cmp_lt_i16_e32 vcc_lo, 27, v3
	v_cvt_u32_f32_e32 v3, v130
	s_and_saveexec_b32 s11, vcc_lo
	s_delay_alu instid0(SALU_CYCLE_1)
	s_xor_b32 s11, exec_lo, s11
	s_cbranch_execz .LBB25_4369
; %bb.4368:
	flat_store_b32 v[1:2], v3
                                        ; implicit-def: $vgpr1_vgpr2
                                        ; implicit-def: $vgpr3
.LBB25_4369:
	s_and_not1_saveexec_b32 s11, s11
	s_cbranch_execz .LBB25_4371
; %bb.4370:
	flat_store_b16 v[1:2], v3
.LBB25_4371:
	s_or_b32 exec_lo, exec_lo, s11
                                        ; implicit-def: $vgpr1_vgpr2
                                        ; implicit-def: $vgpr130
.LBB25_4372:
	s_and_not1_saveexec_b32 s10, s10
	s_cbranch_execz .LBB25_4380
; %bb.4373:
	v_and_b32_e32 v3, 0x7fffffff, v130
	v_mov_b32_e32 v4, 0x80
	s_mov_b32 s11, exec_lo
	s_delay_alu instid0(VALU_DEP_2)
	v_cmpx_gt_u32_e32 0x43800000, v3
	s_cbranch_execz .LBB25_4379
; %bb.4374:
	v_cmp_lt_u32_e32 vcc_lo, 0x3bffffff, v3
	s_mov_b32 s12, 0
                                        ; implicit-def: $vgpr3
	s_and_saveexec_b32 s13, vcc_lo
	s_delay_alu instid0(SALU_CYCLE_1)
	s_xor_b32 s13, exec_lo, s13
	s_cbranch_execnz .LBB25_5092
; %bb.4375:
	s_or_saveexec_b32 s13, s13
                                        ; implicit-def: $sgpr14
	s_delay_alu instid0(SALU_CYCLE_1)
	s_xor_b32 exec_lo, exec_lo, s13
	s_cbranch_execnz .LBB25_5093
.LBB25_4376:
	s_or_b32 exec_lo, exec_lo, s13
	v_mov_b32_e32 v4, s14
	s_and_saveexec_b32 s13, s12
.LBB25_4377:
	v_lshrrev_b32_e32 v4, 24, v130
	s_delay_alu instid0(VALU_DEP_1)
	v_and_or_b32 v4, 0x80, v4, v3
.LBB25_4378:
	s_or_b32 exec_lo, exec_lo, s13
.LBB25_4379:
	s_delay_alu instid0(SALU_CYCLE_1)
	s_or_b32 exec_lo, exec_lo, s11
	flat_store_b8 v[1:2], v4
.LBB25_4380:
	s_or_b32 exec_lo, exec_lo, s10
	s_delay_alu instid0(SALU_CYCLE_1)
	s_or_b32 s0, s0, exec_lo
.LBB25_4381:
	s_or_b32 exec_lo, exec_lo, s7
	s_delay_alu instid0(SALU_CYCLE_1)
	s_and_not1_b32 s7, s3, exec_lo
	s_and_b32 s9, s9, exec_lo
	s_and_b32 s0, s0, exec_lo
	s_or_b32 s7, s7, s9
                                        ; implicit-def: $vgpr3
                                        ; implicit-def: $vgpr130
                                        ; implicit-def: $vgpr1_vgpr2
.LBB25_4382:
	s_and_not1_saveexec_b32 s8, s8
	s_cbranch_execz .LBB25_4426
; %bb.4383:
	s_mov_b32 s10, s0
	s_mov_b32 s9, exec_lo
	v_cmpx_lt_i16_e32 22, v3
	s_xor_b32 s9, exec_lo, s9
	s_cbranch_execz .LBB25_4415
; %bb.4384:
	s_mov_b32 s10, exec_lo
	v_cmpx_lt_i16_e32 23, v3
	s_xor_b32 s10, exec_lo, s10
	s_cbranch_execz .LBB25_4404
; %bb.4385:
	s_mov_b32 s11, exec_lo
	v_cmpx_lt_i16_e32 24, v3
	s_xor_b32 s11, exec_lo, s11
	s_cbranch_execz .LBB25_4393
; %bb.4386:
	v_and_b32_e32 v3, 0x7fffffff, v130
	v_mov_b32_e32 v4, 0x80
	s_mov_b32 s12, exec_lo
	s_delay_alu instid0(VALU_DEP_2)
	v_cmpx_gt_u32_e32 0x47800000, v3
	s_cbranch_execz .LBB25_4392
; %bb.4387:
	v_cmp_lt_u32_e32 vcc_lo, 0x37ffffff, v3
	s_mov_b32 s13, 0
                                        ; implicit-def: $vgpr3
	s_and_saveexec_b32 s14, vcc_lo
	s_delay_alu instid0(SALU_CYCLE_1)
	s_xor_b32 s14, exec_lo, s14
	s_cbranch_execnz .LBB25_5216
; %bb.4388:
	s_or_saveexec_b32 s14, s14
                                        ; implicit-def: $sgpr15
	s_delay_alu instid0(SALU_CYCLE_1)
	s_xor_b32 exec_lo, exec_lo, s14
	s_cbranch_execnz .LBB25_5217
.LBB25_4389:
	s_or_b32 exec_lo, exec_lo, s14
	v_mov_b32_e32 v4, s15
	s_and_saveexec_b32 s14, s13
.LBB25_4390:
	v_lshrrev_b32_e32 v4, 24, v130
	s_delay_alu instid0(VALU_DEP_1)
	v_and_or_b32 v4, 0x80, v4, v3
.LBB25_4391:
	s_or_b32 exec_lo, exec_lo, s14
.LBB25_4392:
	s_delay_alu instid0(SALU_CYCLE_1)
	s_or_b32 exec_lo, exec_lo, s12
	flat_store_b8 v[1:2], v4
                                        ; implicit-def: $vgpr130
                                        ; implicit-def: $vgpr1_vgpr2
.LBB25_4393:
	s_and_not1_saveexec_b32 s11, s11
	s_cbranch_execz .LBB25_4403
; %bb.4394:
	v_and_b32_e32 v4, 0x7fffffff, v130
	s_mov_b32 s12, exec_lo
                                        ; implicit-def: $vgpr3
	s_delay_alu instid0(VALU_DEP_1)
	v_cmpx_gt_u32_e32 0x43f00000, v4
	s_xor_b32 s12, exec_lo, s12
	s_cbranch_execz .LBB25_4400
; %bb.4395:
	s_mov_b32 s13, exec_lo
                                        ; implicit-def: $vgpr3
	v_cmpx_lt_u32_e32 0x3c7fffff, v4
	s_xor_b32 s13, exec_lo, s13
; %bb.4396:
	v_bfe_u32 v3, v130, 20, 1
	s_delay_alu instid0(VALU_DEP_1) | instskip(NEXT) | instid1(VALU_DEP_1)
	v_add3_u32 v3, v130, v3, 0x407ffff
	v_and_b32_e32 v4, 0xff00000, v3
	v_lshrrev_b32_e32 v3, 20, v3
	s_delay_alu instid0(VALU_DEP_2) | instskip(NEXT) | instid1(VALU_DEP_2)
	v_cmp_ne_u32_e32 vcc_lo, 0x7f00000, v4
	v_cndmask_b32_e32 v3, 0x7e, v3, vcc_lo
; %bb.4397:
	s_and_not1_saveexec_b32 s13, s13
; %bb.4398:
	v_add_f32_e64 v3, 0x46800000, |v130|
; %bb.4399:
	s_or_b32 exec_lo, exec_lo, s13
                                        ; implicit-def: $vgpr4
.LBB25_4400:
	s_and_not1_saveexec_b32 s12, s12
; %bb.4401:
	v_mov_b32_e32 v3, 0x7f
	v_cmp_lt_u32_e32 vcc_lo, 0x7f800000, v4
	s_delay_alu instid0(VALU_DEP_2)
	v_cndmask_b32_e32 v3, 0x7e, v3, vcc_lo
; %bb.4402:
	s_or_b32 exec_lo, exec_lo, s12
	v_lshrrev_b32_e32 v4, 24, v130
	s_delay_alu instid0(VALU_DEP_1)
	v_and_or_b32 v3, 0x80, v4, v3
	flat_store_b8 v[1:2], v3
.LBB25_4403:
	s_or_b32 exec_lo, exec_lo, s11
                                        ; implicit-def: $vgpr130
                                        ; implicit-def: $vgpr1_vgpr2
.LBB25_4404:
	s_and_not1_saveexec_b32 s10, s10
	s_cbranch_execz .LBB25_4414
; %bb.4405:
	v_and_b32_e32 v4, 0x7fffffff, v130
	s_mov_b32 s11, exec_lo
                                        ; implicit-def: $vgpr3
	s_delay_alu instid0(VALU_DEP_1)
	v_cmpx_gt_u32_e32 0x47800000, v4
	s_xor_b32 s11, exec_lo, s11
	s_cbranch_execz .LBB25_4411
; %bb.4406:
	s_mov_b32 s12, exec_lo
                                        ; implicit-def: $vgpr3
	v_cmpx_lt_u32_e32 0x387fffff, v4
	s_xor_b32 s12, exec_lo, s12
; %bb.4407:
	v_bfe_u32 v3, v130, 21, 1
	s_delay_alu instid0(VALU_DEP_1) | instskip(NEXT) | instid1(VALU_DEP_1)
	v_add3_u32 v3, v130, v3, 0x80fffff
	v_lshrrev_b32_e32 v3, 21, v3
; %bb.4408:
	s_and_not1_saveexec_b32 s12, s12
; %bb.4409:
	v_add_f32_e64 v3, 0x43000000, |v130|
; %bb.4410:
	s_or_b32 exec_lo, exec_lo, s12
                                        ; implicit-def: $vgpr4
.LBB25_4411:
	s_and_not1_saveexec_b32 s11, s11
; %bb.4412:
	v_mov_b32_e32 v3, 0x7f
	v_cmp_lt_u32_e32 vcc_lo, 0x7f800000, v4
	s_delay_alu instid0(VALU_DEP_2)
	v_cndmask_b32_e32 v3, 0x7c, v3, vcc_lo
; %bb.4413:
	s_or_b32 exec_lo, exec_lo, s11
	v_lshrrev_b32_e32 v4, 24, v130
	s_delay_alu instid0(VALU_DEP_1)
	v_and_or_b32 v3, 0x80, v4, v3
	flat_store_b8 v[1:2], v3
.LBB25_4414:
	s_or_b32 exec_lo, exec_lo, s10
	s_delay_alu instid0(SALU_CYCLE_1)
	s_or_b32 s10, s0, exec_lo
                                        ; implicit-def: $vgpr3
                                        ; implicit-def: $vgpr130
                                        ; implicit-def: $vgpr1_vgpr2
.LBB25_4415:
	s_or_saveexec_b32 s9, s9
	s_mov_b32 s11, s7
	s_xor_b32 exec_lo, exec_lo, s9
	s_cbranch_execz .LBB25_4425
; %bb.4416:
	s_mov_b32 s11, s10
	s_mov_b32 s12, s7
	s_mov_b32 s13, exec_lo
	v_cmpx_lt_i16_e32 14, v3
	s_xor_b32 s13, exec_lo, s13
	s_cbranch_execz .LBB25_4420
; %bb.4417:
	s_mov_b32 s14, -1
	s_mov_b32 s11, s10
	s_mov_b32 s12, exec_lo
	v_cmpx_eq_u16_e32 15, v3
	s_cbranch_execz .LBB25_4419
; %bb.4418:
	v_bfe_u32 v3, v130, 16, 1
	v_cmp_o_f32_e32 vcc_lo, v130, v130
	s_xor_b32 s14, exec_lo, -1
	s_or_b32 s11, s10, exec_lo
	s_delay_alu instid0(VALU_DEP_2) | instskip(NEXT) | instid1(VALU_DEP_1)
	v_add3_u32 v3, v130, v3, 0x7fff
	v_lshrrev_b32_e32 v3, 16, v3
	s_delay_alu instid0(VALU_DEP_1)
	v_cndmask_b32_e32 v3, 0x7fc0, v3, vcc_lo
	flat_store_b16 v[1:2], v3
.LBB25_4419:
	s_or_b32 exec_lo, exec_lo, s12
	s_delay_alu instid0(SALU_CYCLE_1)
	s_and_not1_b32 s12, s7, exec_lo
	s_and_b32 s14, s14, exec_lo
	s_and_not1_b32 s15, s10, exec_lo
	s_and_b32 s11, s11, exec_lo
	s_or_b32 s12, s12, s14
	s_or_b32 s11, s15, s11
                                        ; implicit-def: $vgpr3
                                        ; implicit-def: $vgpr130
                                        ; implicit-def: $vgpr1_vgpr2
.LBB25_4420:
	s_and_not1_saveexec_b32 s13, s13
	s_cbranch_execz .LBB25_4424
; %bb.4421:
	s_mov_b32 s15, -1
	s_mov_b32 s14, s11
	s_mov_b32 s16, exec_lo
	v_cmpx_eq_u16_e32 11, v3
	s_cbranch_execz .LBB25_4423
; %bb.4422:
	v_cmp_neq_f32_e32 vcc_lo, 0, v130
	s_xor_b32 s15, exec_lo, -1
	s_or_b32 s14, s11, exec_lo
	v_cndmask_b32_e64 v3, 0, 1, vcc_lo
	flat_store_b8 v[1:2], v3
.LBB25_4423:
	s_or_b32 exec_lo, exec_lo, s16
	s_delay_alu instid0(SALU_CYCLE_1)
	s_and_not1_b32 s12, s12, exec_lo
	s_and_b32 s15, s15, exec_lo
	s_and_not1_b32 s11, s11, exec_lo
	s_and_b32 s14, s14, exec_lo
	s_or_b32 s12, s12, s15
	s_or_b32 s11, s11, s14
.LBB25_4424:
	s_or_b32 exec_lo, exec_lo, s13
	s_delay_alu instid0(SALU_CYCLE_1)
	s_and_not1_b32 s13, s7, exec_lo
	s_and_b32 s12, s12, exec_lo
	s_and_not1_b32 s10, s10, exec_lo
	s_and_b32 s14, s11, exec_lo
	s_or_b32 s11, s13, s12
	s_or_b32 s10, s10, s14
.LBB25_4425:
	s_or_b32 exec_lo, exec_lo, s9
	s_delay_alu instid0(SALU_CYCLE_1)
	s_and_not1_b32 s7, s7, exec_lo
	s_and_b32 s9, s11, exec_lo
	s_and_not1_b32 s0, s0, exec_lo
	s_and_b32 s10, s10, exec_lo
	s_or_b32 s7, s7, s9
	s_or_b32 s0, s0, s10
.LBB25_4426:
	s_or_b32 exec_lo, exec_lo, s8
	s_delay_alu instid0(SALU_CYCLE_1)
	s_and_not1_b32 s8, s3, exec_lo
	s_and_b32 s7, s7, exec_lo
	s_and_b32 s0, s0, exec_lo
	s_or_b32 s7, s8, s7
                                        ; implicit-def: $vgpr3
                                        ; implicit-def: $vgpr130
                                        ; implicit-def: $vgpr1_vgpr2
	s_and_not1_saveexec_b32 s5, s5
	s_cbranch_execz .LBB25_3853
.LBB25_4427:
	s_mov_b32 s8, exec_lo
	v_cmpx_lt_i16_e32 4, v3
	s_xor_b32 s8, exec_lo, s8
	s_cbranch_execz .LBB25_4449
; %bb.4428:
	s_mov_b32 s9, exec_lo
	v_cmpx_lt_i16_e32 7, v3
	s_xor_b32 s9, exec_lo, s9
	s_cbranch_execz .LBB25_4438
; %bb.4429:
	s_mov_b32 s10, exec_lo
	v_cmpx_lt_i16_e32 8, v3
	s_xor_b32 s10, exec_lo, s10
	s_cbranch_execz .LBB25_4435
; %bb.4430:
	s_mov_b32 s11, exec_lo
	v_cmpx_lt_i16_e32 9, v3
	s_xor_b32 s11, exec_lo, s11
	s_cbranch_execz .LBB25_4432
; %bb.4431:
	v_cvt_f64_f32_e32 v[3:4], v130
	v_mov_b32_e32 v5, 0
                                        ; implicit-def: $vgpr130
	s_delay_alu instid0(VALU_DEP_1)
	v_mov_b32_e32 v6, v5
	flat_store_b128 v[1:2], v[3:6]
                                        ; implicit-def: $vgpr1_vgpr2
.LBB25_4432:
	s_and_not1_saveexec_b32 s11, s11
	s_cbranch_execz .LBB25_4434
; %bb.4433:
	v_mov_b32_e32 v131, 0
	flat_store_b64 v[1:2], v[130:131]
.LBB25_4434:
	s_or_b32 exec_lo, exec_lo, s11
                                        ; implicit-def: $vgpr130
                                        ; implicit-def: $vgpr1_vgpr2
.LBB25_4435:
	s_and_not1_saveexec_b32 s10, s10
	s_cbranch_execz .LBB25_4437
; %bb.4436:
	v_cvt_f16_f32_e64 v3, v130
	s_delay_alu instid0(VALU_DEP_1)
	v_and_b32_e32 v3, 0xffff, v3
	flat_store_b32 v[1:2], v3
.LBB25_4437:
	s_or_b32 exec_lo, exec_lo, s10
                                        ; implicit-def: $vgpr130
                                        ; implicit-def: $vgpr1_vgpr2
                                        ; implicit-def: $vgpr3
.LBB25_4438:
	s_and_not1_saveexec_b32 s9, s9
	s_cbranch_execz .LBB25_4448
; %bb.4439:
	s_mov_b32 s10, exec_lo
	v_cmpx_lt_i16_e32 5, v3
	s_xor_b32 s10, exec_lo, s10
	s_cbranch_execz .LBB25_4445
; %bb.4440:
	s_mov_b32 s11, exec_lo
	v_cmpx_lt_i16_e32 6, v3
	s_xor_b32 s11, exec_lo, s11
	s_cbranch_execz .LBB25_4442
; %bb.4441:
	v_cvt_f64_f32_e32 v[3:4], v130
                                        ; implicit-def: $vgpr130
	flat_store_b64 v[1:2], v[3:4]
                                        ; implicit-def: $vgpr1_vgpr2
.LBB25_4442:
	s_and_not1_saveexec_b32 s11, s11
	s_cbranch_execz .LBB25_4444
; %bb.4443:
	flat_store_b32 v[1:2], v130
.LBB25_4444:
	s_or_b32 exec_lo, exec_lo, s11
                                        ; implicit-def: $vgpr130
                                        ; implicit-def: $vgpr1_vgpr2
.LBB25_4445:
	s_and_not1_saveexec_b32 s10, s10
	s_cbranch_execz .LBB25_4447
; %bb.4446:
	v_cvt_f16_f32_e64 v3, v130
	flat_store_b16 v[1:2], v3
.LBB25_4447:
	s_or_b32 exec_lo, exec_lo, s10
.LBB25_4448:
	s_delay_alu instid0(SALU_CYCLE_1)
	s_or_b32 exec_lo, exec_lo, s9
                                        ; implicit-def: $vgpr3
                                        ; implicit-def: $vgpr130
                                        ; implicit-def: $vgpr1_vgpr2
.LBB25_4449:
	s_and_not1_saveexec_b32 s8, s8
	s_cbranch_execz .LBB25_4467
; %bb.4450:
	s_mov_b32 s9, exec_lo
	v_cmpx_lt_i16_e32 1, v3
	s_xor_b32 s9, exec_lo, s9
	s_cbranch_execz .LBB25_4460
; %bb.4451:
	s_mov_b32 s10, exec_lo
	v_cmpx_lt_i16_e32 2, v3
	s_xor_b32 s10, exec_lo, s10
	s_cbranch_execz .LBB25_4457
; %bb.4452:
	s_mov_b32 s11, exec_lo
	v_cmpx_lt_i16_e32 3, v3
	s_xor_b32 s11, exec_lo, s11
	s_cbranch_execz .LBB25_4454
; %bb.4453:
	v_trunc_f32_e32 v3, v130
                                        ; implicit-def: $vgpr130
	s_delay_alu instid0(VALU_DEP_1) | instskip(SKIP_1) | instid1(VALU_DEP_2)
	v_mul_f32_e64 v4, 0x2f800000, |v3|
	v_ashrrev_i32_e32 v6, 31, v3
	v_floor_f32_e32 v4, v4
	s_delay_alu instid0(VALU_DEP_1) | instskip(SKIP_1) | instid1(VALU_DEP_2)
	v_fma_f32 v5, 0xcf800000, v4, |v3|
	v_cvt_u32_f32_e32 v4, v4
	v_cvt_u32_f32_e32 v3, v5
	s_delay_alu instid0(VALU_DEP_2) | instskip(NEXT) | instid1(VALU_DEP_2)
	v_xor_b32_e32 v4, v4, v6
	v_xor_b32_e32 v3, v3, v6
	s_delay_alu instid0(VALU_DEP_1) | instskip(NEXT) | instid1(VALU_DEP_3)
	v_sub_co_u32 v3, vcc_lo, v3, v6
	v_sub_co_ci_u32_e32 v4, vcc_lo, v4, v6, vcc_lo
	flat_store_b64 v[1:2], v[3:4]
                                        ; implicit-def: $vgpr1_vgpr2
.LBB25_4454:
	s_and_not1_saveexec_b32 s11, s11
	s_cbranch_execz .LBB25_4456
; %bb.4455:
	v_cvt_i32_f32_e32 v3, v130
	flat_store_b32 v[1:2], v3
.LBB25_4456:
	s_or_b32 exec_lo, exec_lo, s11
                                        ; implicit-def: $vgpr130
                                        ; implicit-def: $vgpr1_vgpr2
.LBB25_4457:
	s_and_not1_saveexec_b32 s10, s10
	s_cbranch_execz .LBB25_4459
; %bb.4458:
	v_cvt_i32_f32_e32 v3, v130
	flat_store_b16 v[1:2], v3
.LBB25_4459:
	s_or_b32 exec_lo, exec_lo, s10
                                        ; implicit-def: $vgpr130
                                        ; implicit-def: $vgpr1_vgpr2
                                        ; implicit-def: $vgpr3
.LBB25_4460:
	s_and_not1_saveexec_b32 s9, s9
	s_cbranch_execz .LBB25_4466
; %bb.4461:
	s_mov_b32 s10, exec_lo
	v_cmpx_lt_i16_e32 0, v3
	s_xor_b32 s10, exec_lo, s10
	s_cbranch_execz .LBB25_4463
; %bb.4462:
	v_cvt_i32_f32_e32 v3, v130
                                        ; implicit-def: $vgpr130
	flat_store_b8 v[1:2], v3
                                        ; implicit-def: $vgpr1_vgpr2
.LBB25_4463:
	s_and_not1_saveexec_b32 s10, s10
	s_cbranch_execz .LBB25_4465
; %bb.4464:
	v_trunc_f32_e32 v3, v130
	s_delay_alu instid0(VALU_DEP_1) | instskip(NEXT) | instid1(VALU_DEP_1)
	v_mul_f32_e64 v4, 0x2f800000, |v3|
	v_floor_f32_e32 v4, v4
	s_delay_alu instid0(VALU_DEP_1) | instskip(SKIP_1) | instid1(VALU_DEP_2)
	v_fma_f32 v4, 0xcf800000, v4, |v3|
	v_ashrrev_i32_e32 v3, 31, v3
	v_cvt_u32_f32_e32 v4, v4
	s_delay_alu instid0(VALU_DEP_1) | instskip(NEXT) | instid1(VALU_DEP_1)
	v_xor_b32_e32 v4, v4, v3
	v_sub_nc_u32_e32 v3, v4, v3
	flat_store_b8 v[1:2], v3
.LBB25_4465:
	s_or_b32 exec_lo, exec_lo, s10
.LBB25_4466:
	s_delay_alu instid0(SALU_CYCLE_1)
	s_or_b32 exec_lo, exec_lo, s9
.LBB25_4467:
	s_delay_alu instid0(SALU_CYCLE_1) | instskip(NEXT) | instid1(SALU_CYCLE_1)
	s_or_b32 exec_lo, exec_lo, s8
	s_or_b32 s0, s0, exec_lo
	s_or_b32 exec_lo, exec_lo, s5
	s_mov_b32 s8, 0
	s_and_saveexec_b32 s5, s0
	s_cbranch_execnz .LBB25_3854
	s_branch .LBB25_3855
.LBB25_4468:
	s_cbranch_execnz .LBB25_4594
; %bb.4469:
	s_mov_b32 s2, exec_lo
	s_and_not1_b32 s3, s3, exec_lo
	s_or_b32 exec_lo, exec_lo, s5
	s_and_saveexec_b32 s1, s3
	s_delay_alu instid0(SALU_CYCLE_1)
	s_xor_b32 s1, exec_lo, s1
	s_cbranch_execnz .LBB25_4168
	s_branch .LBB25_4169
.LBB25_4470:
	s_trap 2
	s_sendmsg_rtn_b32 s0, sendmsg(MSG_RTN_GET_DOORBELL)
	s_mov_b32 ttmp2, m0
	s_waitcnt lgkmcnt(0)
	s_and_b32 s0, s0, 0x3ff
	s_delay_alu instid0(SALU_CYCLE_1) | instskip(NEXT) | instid1(SALU_CYCLE_1)
	s_bitset1_b32 s0, 10
	s_mov_b32 m0, s0
	s_sendmsg sendmsg(MSG_INTERRUPT)
	s_mov_b32 m0, ttmp2
.LBB25_4471:                            ; =>This Inner Loop Header: Depth=1
	s_sethalt 5
	s_branch .LBB25_4471
.LBB25_4472:
	s_mov_b32 s9, s5
	s_mov_b32 s10, exec_lo
	v_cmpx_lt_i16_e32 25, v3
	s_xor_b32 s10, exec_lo, s10
	s_cbranch_execz .LBB25_4508
; %bb.4473:
	s_mov_b32 s11, s5
	s_mov_b32 s9, exec_lo
	v_cmpx_lt_i16_e32 28, v3
	s_xor_b32 s9, exec_lo, s9
	s_cbranch_execz .LBB25_4491
; %bb.4474:
	;; [unrolled: 6-line block ×3, first 2 shown]
	s_mov_b32 s12, 0
	s_mov_b32 s13, s5
	s_mov_b32 s0, exec_lo
	v_cmpx_lt_i16_e32 45, v3
	s_xor_b32 s0, exec_lo, s0
	s_cbranch_execz .LBB25_4479
; %bb.4476:
	s_mov_b32 s14, -1
	s_mov_b32 s13, exec_lo
	v_cmpx_eq_u16_e32 46, v3
	s_cbranch_execz .LBB25_4478
; %bb.4477:
	v_bfe_u32 v3, v129, 16, 1
	v_cmp_o_f32_e32 vcc_lo, v129, v129
	s_mov_b32 s12, exec_lo
	s_xor_b32 s14, exec_lo, -1
	s_delay_alu instid0(VALU_DEP_2) | instskip(NEXT) | instid1(VALU_DEP_1)
	v_add3_u32 v3, v129, v3, 0x7fff
	v_lshrrev_b32_e32 v3, 16, v3
	s_delay_alu instid0(VALU_DEP_1)
	v_cndmask_b32_e32 v3, 0x7fc0, v3, vcc_lo
	flat_store_b32 v[1:2], v3
.LBB25_4478:
	s_or_b32 exec_lo, exec_lo, s13
	s_delay_alu instid0(SALU_CYCLE_1)
	s_and_not1_b32 s13, s5, exec_lo
	s_and_b32 s14, s14, exec_lo
	s_and_b32 s12, s12, exec_lo
	s_or_b32 s13, s13, s14
                                        ; implicit-def: $vgpr3
                                        ; implicit-def: $vgpr1_vgpr2
                                        ; implicit-def: $vgpr129
.LBB25_4479:
	s_and_not1_saveexec_b32 s14, s0
	s_cbranch_execz .LBB25_4485
; %bb.4480:
	s_mov_b32 s16, -1
	s_mov_b32 s0, s12
	s_mov_b32 s15, exec_lo
	v_cmpx_eq_u16_e32 44, v3
	s_cbranch_execz .LBB25_4484
; %bb.4481:
	v_bfe_u32 v4, v129, 23, 8
	v_mov_b32_e32 v3, 0xff
	s_mov_b32 s16, exec_lo
	s_delay_alu instid0(VALU_DEP_2)
	v_cmpx_ne_u32_e32 0xff, v4
; %bb.4482:
	v_and_b32_e32 v3, 0x400000, v129
	v_and_or_b32 v4, 0x3fffff, v129, v4
	s_delay_alu instid0(VALU_DEP_2) | instskip(NEXT) | instid1(VALU_DEP_2)
	v_cmp_ne_u32_e32 vcc_lo, 0, v3
	v_cmp_ne_u32_e64 s0, 0, v4
	v_lshrrev_b32_e32 v3, 23, v129
	s_delay_alu instid0(VALU_DEP_2) | instskip(NEXT) | instid1(SALU_CYCLE_1)
	s_and_b32 s0, vcc_lo, s0
	v_cndmask_b32_e64 v4, 0, 1, s0
	s_delay_alu instid0(VALU_DEP_1)
	v_add_nc_u32_e32 v3, v3, v4
; %bb.4483:
	s_or_b32 exec_lo, exec_lo, s16
	s_delay_alu instid0(SALU_CYCLE_1)
	s_xor_b32 s16, exec_lo, -1
	s_or_b32 s0, s12, exec_lo
	flat_store_b8 v[1:2], v3
.LBB25_4484:
	s_or_b32 exec_lo, exec_lo, s15
	s_delay_alu instid0(SALU_CYCLE_1)
	s_and_not1_b32 s13, s13, exec_lo
	s_and_b32 s15, s16, exec_lo
	s_and_not1_b32 s12, s12, exec_lo
	s_and_b32 s0, s0, exec_lo
	s_or_b32 s13, s13, s15
	s_or_b32 s12, s12, s0
.LBB25_4485:
	s_or_b32 exec_lo, exec_lo, s14
	s_delay_alu instid0(SALU_CYCLE_1) | instskip(SKIP_1) | instid1(SALU_CYCLE_1)
	s_and_not1_b32 s0, s5, exec_lo
	s_and_b32 s13, s13, exec_lo
                                        ; implicit-def: $vgpr3
                                        ; implicit-def: $vgpr129
                                        ; implicit-def: $vgpr1_vgpr2
	s_or_b32 s13, s0, s13
	s_and_b32 s0, s12, exec_lo
.LBB25_4486:
	s_and_not1_saveexec_b32 s11, s11
	s_cbranch_execz .LBB25_4490
; %bb.4487:
	s_mov_b32 s15, -1
	s_mov_b32 s14, s0
	s_mov_b32 s12, exec_lo
	v_cmpx_eq_u16_e32 29, v3
	s_cbranch_execz .LBB25_4489
; %bb.4488:
	v_trunc_f32_e32 v3, v129
	s_xor_b32 s15, exec_lo, -1
	s_or_b32 s14, s0, exec_lo
	s_delay_alu instid0(VALU_DEP_1) | instskip(NEXT) | instid1(VALU_DEP_1)
	v_mul_f32_e32 v4, 0x2f800000, v3
	v_floor_f32_e32 v4, v4
	s_delay_alu instid0(VALU_DEP_1) | instskip(SKIP_1) | instid1(VALU_DEP_2)
	v_fmamk_f32 v3, v4, 0xcf800000, v3
	v_cvt_u32_f32_e32 v4, v4
	v_cvt_u32_f32_e32 v3, v3
	flat_store_b64 v[1:2], v[3:4]
.LBB25_4489:
	s_or_b32 exec_lo, exec_lo, s12
	s_delay_alu instid0(SALU_CYCLE_1)
	s_and_not1_b32 s12, s13, exec_lo
	s_and_b32 s13, s15, exec_lo
	s_and_not1_b32 s0, s0, exec_lo
	s_and_b32 s14, s14, exec_lo
	s_or_b32 s13, s12, s13
	s_or_b32 s0, s0, s14
.LBB25_4490:
	s_or_b32 exec_lo, exec_lo, s11
	s_delay_alu instid0(SALU_CYCLE_1)
	s_and_not1_b32 s11, s5, exec_lo
	s_and_b32 s12, s13, exec_lo
	s_and_b32 s0, s0, exec_lo
	s_or_b32 s11, s11, s12
                                        ; implicit-def: $vgpr1_vgpr2
                                        ; implicit-def: $vgpr3
                                        ; implicit-def: $vgpr129
.LBB25_4491:
	s_and_not1_saveexec_b32 s9, s9
	s_cbranch_execz .LBB25_4507
; %bb.4492:
	s_mov_b32 s12, exec_lo
	v_cmpx_lt_i16_e32 26, v3
	s_xor_b32 s12, exec_lo, s12
	s_cbranch_execz .LBB25_4498
; %bb.4493:
	v_cmp_lt_i16_e32 vcc_lo, 27, v3
	v_cvt_u32_f32_e32 v3, v129
	s_and_saveexec_b32 s13, vcc_lo
	s_delay_alu instid0(SALU_CYCLE_1)
	s_xor_b32 s13, exec_lo, s13
	s_cbranch_execz .LBB25_4495
; %bb.4494:
	flat_store_b32 v[1:2], v3
                                        ; implicit-def: $vgpr1_vgpr2
                                        ; implicit-def: $vgpr3
.LBB25_4495:
	s_and_not1_saveexec_b32 s13, s13
	s_cbranch_execz .LBB25_4497
; %bb.4496:
	flat_store_b16 v[1:2], v3
.LBB25_4497:
	s_or_b32 exec_lo, exec_lo, s13
                                        ; implicit-def: $vgpr1_vgpr2
                                        ; implicit-def: $vgpr129
.LBB25_4498:
	s_and_not1_saveexec_b32 s12, s12
	s_cbranch_execz .LBB25_4506
; %bb.4499:
	v_and_b32_e32 v3, 0x7fffffff, v129
	v_mov_b32_e32 v4, 0x80
	s_mov_b32 s13, exec_lo
	s_delay_alu instid0(VALU_DEP_2)
	v_cmpx_gt_u32_e32 0x43800000, v3
	s_cbranch_execz .LBB25_4505
; %bb.4500:
	v_cmp_lt_u32_e32 vcc_lo, 0x3bffffff, v3
	s_mov_b32 s14, 0
                                        ; implicit-def: $vgpr3
	s_and_saveexec_b32 s15, vcc_lo
	s_delay_alu instid0(SALU_CYCLE_1)
	s_xor_b32 s15, exec_lo, s15
	s_cbranch_execnz .LBB25_5218
; %bb.4501:
	s_or_saveexec_b32 s15, s15
                                        ; implicit-def: $sgpr16
	s_delay_alu instid0(SALU_CYCLE_1)
	s_xor_b32 exec_lo, exec_lo, s15
	s_cbranch_execnz .LBB25_5219
.LBB25_4502:
	s_or_b32 exec_lo, exec_lo, s15
	v_mov_b32_e32 v4, s16
	s_and_saveexec_b32 s15, s14
.LBB25_4503:
	v_lshrrev_b32_e32 v4, 24, v129
	s_delay_alu instid0(VALU_DEP_1)
	v_and_or_b32 v4, 0x80, v4, v3
.LBB25_4504:
	s_or_b32 exec_lo, exec_lo, s15
.LBB25_4505:
	s_delay_alu instid0(SALU_CYCLE_1)
	s_or_b32 exec_lo, exec_lo, s13
	flat_store_b8 v[1:2], v4
.LBB25_4506:
	s_or_b32 exec_lo, exec_lo, s12
	s_delay_alu instid0(SALU_CYCLE_1)
	s_or_b32 s0, s0, exec_lo
.LBB25_4507:
	s_or_b32 exec_lo, exec_lo, s9
	s_delay_alu instid0(SALU_CYCLE_1)
	s_and_not1_b32 s9, s5, exec_lo
	s_and_b32 s11, s11, exec_lo
	s_and_b32 s0, s0, exec_lo
	s_or_b32 s9, s9, s11
                                        ; implicit-def: $vgpr3
                                        ; implicit-def: $vgpr129
                                        ; implicit-def: $vgpr1_vgpr2
.LBB25_4508:
	s_and_not1_saveexec_b32 s10, s10
	s_cbranch_execz .LBB25_4552
; %bb.4509:
	s_mov_b32 s12, s0
	s_mov_b32 s11, exec_lo
	v_cmpx_lt_i16_e32 22, v3
	s_xor_b32 s11, exec_lo, s11
	s_cbranch_execz .LBB25_4541
; %bb.4510:
	s_mov_b32 s12, exec_lo
	v_cmpx_lt_i16_e32 23, v3
	s_xor_b32 s12, exec_lo, s12
	s_cbranch_execz .LBB25_4530
; %bb.4511:
	;; [unrolled: 5-line block ×3, first 2 shown]
	v_and_b32_e32 v3, 0x7fffffff, v129
	v_mov_b32_e32 v4, 0x80
	s_mov_b32 s14, exec_lo
	s_delay_alu instid0(VALU_DEP_2)
	v_cmpx_gt_u32_e32 0x47800000, v3
	s_cbranch_execz .LBB25_4518
; %bb.4513:
	v_cmp_lt_u32_e32 vcc_lo, 0x37ffffff, v3
	s_mov_b32 s15, 0
                                        ; implicit-def: $vgpr3
	s_and_saveexec_b32 s16, vcc_lo
	s_delay_alu instid0(SALU_CYCLE_1)
	s_xor_b32 s16, exec_lo, s16
	s_cbranch_execnz .LBB25_5342
; %bb.4514:
	s_or_saveexec_b32 s16, s16
                                        ; implicit-def: $sgpr17
	s_delay_alu instid0(SALU_CYCLE_1)
	s_xor_b32 exec_lo, exec_lo, s16
	s_cbranch_execnz .LBB25_5343
.LBB25_4515:
	s_or_b32 exec_lo, exec_lo, s16
	v_mov_b32_e32 v4, s17
	s_and_saveexec_b32 s16, s15
.LBB25_4516:
	v_lshrrev_b32_e32 v4, 24, v129
	s_delay_alu instid0(VALU_DEP_1)
	v_and_or_b32 v4, 0x80, v4, v3
.LBB25_4517:
	s_or_b32 exec_lo, exec_lo, s16
.LBB25_4518:
	s_delay_alu instid0(SALU_CYCLE_1)
	s_or_b32 exec_lo, exec_lo, s14
	flat_store_b8 v[1:2], v4
                                        ; implicit-def: $vgpr129
                                        ; implicit-def: $vgpr1_vgpr2
.LBB25_4519:
	s_and_not1_saveexec_b32 s13, s13
	s_cbranch_execz .LBB25_4529
; %bb.4520:
	v_and_b32_e32 v4, 0x7fffffff, v129
	s_mov_b32 s14, exec_lo
                                        ; implicit-def: $vgpr3
	s_delay_alu instid0(VALU_DEP_1)
	v_cmpx_gt_u32_e32 0x43f00000, v4
	s_xor_b32 s14, exec_lo, s14
	s_cbranch_execz .LBB25_4526
; %bb.4521:
	s_mov_b32 s15, exec_lo
                                        ; implicit-def: $vgpr3
	v_cmpx_lt_u32_e32 0x3c7fffff, v4
	s_xor_b32 s15, exec_lo, s15
; %bb.4522:
	v_bfe_u32 v3, v129, 20, 1
	s_delay_alu instid0(VALU_DEP_1) | instskip(NEXT) | instid1(VALU_DEP_1)
	v_add3_u32 v3, v129, v3, 0x407ffff
	v_and_b32_e32 v4, 0xff00000, v3
	v_lshrrev_b32_e32 v3, 20, v3
	s_delay_alu instid0(VALU_DEP_2) | instskip(NEXT) | instid1(VALU_DEP_2)
	v_cmp_ne_u32_e32 vcc_lo, 0x7f00000, v4
	v_cndmask_b32_e32 v3, 0x7e, v3, vcc_lo
; %bb.4523:
	s_and_not1_saveexec_b32 s15, s15
; %bb.4524:
	v_add_f32_e64 v3, 0x46800000, |v129|
; %bb.4525:
	s_or_b32 exec_lo, exec_lo, s15
                                        ; implicit-def: $vgpr4
.LBB25_4526:
	s_and_not1_saveexec_b32 s14, s14
; %bb.4527:
	v_mov_b32_e32 v3, 0x7f
	v_cmp_lt_u32_e32 vcc_lo, 0x7f800000, v4
	s_delay_alu instid0(VALU_DEP_2)
	v_cndmask_b32_e32 v3, 0x7e, v3, vcc_lo
; %bb.4528:
	s_or_b32 exec_lo, exec_lo, s14
	v_lshrrev_b32_e32 v4, 24, v129
	s_delay_alu instid0(VALU_DEP_1)
	v_and_or_b32 v3, 0x80, v4, v3
	flat_store_b8 v[1:2], v3
.LBB25_4529:
	s_or_b32 exec_lo, exec_lo, s13
                                        ; implicit-def: $vgpr129
                                        ; implicit-def: $vgpr1_vgpr2
.LBB25_4530:
	s_and_not1_saveexec_b32 s12, s12
	s_cbranch_execz .LBB25_4540
; %bb.4531:
	v_and_b32_e32 v4, 0x7fffffff, v129
	s_mov_b32 s13, exec_lo
                                        ; implicit-def: $vgpr3
	s_delay_alu instid0(VALU_DEP_1)
	v_cmpx_gt_u32_e32 0x47800000, v4
	s_xor_b32 s13, exec_lo, s13
	s_cbranch_execz .LBB25_4537
; %bb.4532:
	s_mov_b32 s14, exec_lo
                                        ; implicit-def: $vgpr3
	v_cmpx_lt_u32_e32 0x387fffff, v4
	s_xor_b32 s14, exec_lo, s14
; %bb.4533:
	v_bfe_u32 v3, v129, 21, 1
	s_delay_alu instid0(VALU_DEP_1) | instskip(NEXT) | instid1(VALU_DEP_1)
	v_add3_u32 v3, v129, v3, 0x80fffff
	v_lshrrev_b32_e32 v3, 21, v3
; %bb.4534:
	s_and_not1_saveexec_b32 s14, s14
; %bb.4535:
	v_add_f32_e64 v3, 0x43000000, |v129|
; %bb.4536:
	s_or_b32 exec_lo, exec_lo, s14
                                        ; implicit-def: $vgpr4
.LBB25_4537:
	s_and_not1_saveexec_b32 s13, s13
; %bb.4538:
	v_mov_b32_e32 v3, 0x7f
	v_cmp_lt_u32_e32 vcc_lo, 0x7f800000, v4
	s_delay_alu instid0(VALU_DEP_2)
	v_cndmask_b32_e32 v3, 0x7c, v3, vcc_lo
; %bb.4539:
	s_or_b32 exec_lo, exec_lo, s13
	v_lshrrev_b32_e32 v4, 24, v129
	s_delay_alu instid0(VALU_DEP_1)
	v_and_or_b32 v3, 0x80, v4, v3
	flat_store_b8 v[1:2], v3
.LBB25_4540:
	s_or_b32 exec_lo, exec_lo, s12
	s_delay_alu instid0(SALU_CYCLE_1)
	s_or_b32 s12, s0, exec_lo
                                        ; implicit-def: $vgpr3
                                        ; implicit-def: $vgpr129
                                        ; implicit-def: $vgpr1_vgpr2
.LBB25_4541:
	s_or_saveexec_b32 s11, s11
	s_mov_b32 s13, s9
	s_xor_b32 exec_lo, exec_lo, s11
	s_cbranch_execz .LBB25_4551
; %bb.4542:
	s_mov_b32 s13, s12
	s_mov_b32 s14, s9
	s_mov_b32 s15, exec_lo
	v_cmpx_lt_i16_e32 14, v3
	s_xor_b32 s15, exec_lo, s15
	s_cbranch_execz .LBB25_4546
; %bb.4543:
	s_mov_b32 s16, -1
	s_mov_b32 s13, s12
	s_mov_b32 s14, exec_lo
	v_cmpx_eq_u16_e32 15, v3
	s_cbranch_execz .LBB25_4545
; %bb.4544:
	v_bfe_u32 v3, v129, 16, 1
	v_cmp_o_f32_e32 vcc_lo, v129, v129
	s_xor_b32 s16, exec_lo, -1
	s_or_b32 s13, s12, exec_lo
	s_delay_alu instid0(VALU_DEP_2) | instskip(NEXT) | instid1(VALU_DEP_1)
	v_add3_u32 v3, v129, v3, 0x7fff
	v_lshrrev_b32_e32 v3, 16, v3
	s_delay_alu instid0(VALU_DEP_1)
	v_cndmask_b32_e32 v3, 0x7fc0, v3, vcc_lo
	flat_store_b16 v[1:2], v3
.LBB25_4545:
	s_or_b32 exec_lo, exec_lo, s14
	s_delay_alu instid0(SALU_CYCLE_1)
	s_and_not1_b32 s14, s9, exec_lo
	s_and_b32 s16, s16, exec_lo
	s_and_not1_b32 s17, s12, exec_lo
	s_and_b32 s13, s13, exec_lo
	s_or_b32 s14, s14, s16
	s_or_b32 s13, s17, s13
                                        ; implicit-def: $vgpr3
                                        ; implicit-def: $vgpr129
                                        ; implicit-def: $vgpr1_vgpr2
.LBB25_4546:
	s_and_not1_saveexec_b32 s15, s15
	s_cbranch_execz .LBB25_4550
; %bb.4547:
	s_mov_b32 s17, -1
	s_mov_b32 s16, s13
	s_mov_b32 s18, exec_lo
	v_cmpx_eq_u16_e32 11, v3
	s_cbranch_execz .LBB25_4549
; %bb.4548:
	v_cmp_neq_f32_e32 vcc_lo, 0, v129
	s_xor_b32 s17, exec_lo, -1
	s_or_b32 s16, s13, exec_lo
	v_cndmask_b32_e64 v3, 0, 1, vcc_lo
	flat_store_b8 v[1:2], v3
.LBB25_4549:
	s_or_b32 exec_lo, exec_lo, s18
	s_delay_alu instid0(SALU_CYCLE_1)
	s_and_not1_b32 s14, s14, exec_lo
	s_and_b32 s17, s17, exec_lo
	s_and_not1_b32 s13, s13, exec_lo
	s_and_b32 s16, s16, exec_lo
	s_or_b32 s14, s14, s17
	s_or_b32 s13, s13, s16
.LBB25_4550:
	s_or_b32 exec_lo, exec_lo, s15
	s_delay_alu instid0(SALU_CYCLE_1)
	s_and_not1_b32 s15, s9, exec_lo
	s_and_b32 s14, s14, exec_lo
	s_and_not1_b32 s12, s12, exec_lo
	s_and_b32 s16, s13, exec_lo
	s_or_b32 s13, s15, s14
	s_or_b32 s12, s12, s16
.LBB25_4551:
	s_or_b32 exec_lo, exec_lo, s11
	s_delay_alu instid0(SALU_CYCLE_1)
	s_and_not1_b32 s9, s9, exec_lo
	s_and_b32 s11, s13, exec_lo
	s_and_not1_b32 s0, s0, exec_lo
	s_and_b32 s12, s12, exec_lo
	s_or_b32 s9, s9, s11
	s_or_b32 s0, s0, s12
.LBB25_4552:
	s_or_b32 exec_lo, exec_lo, s10
	s_delay_alu instid0(SALU_CYCLE_1)
	s_and_not1_b32 s10, s5, exec_lo
	s_and_b32 s9, s9, exec_lo
	s_and_b32 s0, s0, exec_lo
	s_or_b32 s9, s10, s9
                                        ; implicit-def: $vgpr3
                                        ; implicit-def: $vgpr129
                                        ; implicit-def: $vgpr1_vgpr2
	s_and_not1_saveexec_b32 s7, s7
	s_cbranch_execz .LBB25_3860
.LBB25_4553:
	s_mov_b32 s10, exec_lo
	v_cmpx_lt_i16_e32 4, v3
	s_xor_b32 s10, exec_lo, s10
	s_cbranch_execz .LBB25_4575
; %bb.4554:
	s_mov_b32 s11, exec_lo
	v_cmpx_lt_i16_e32 7, v3
	s_xor_b32 s11, exec_lo, s11
	s_cbranch_execz .LBB25_4564
; %bb.4555:
	;; [unrolled: 5-line block ×4, first 2 shown]
	v_cvt_f64_f32_e32 v[3:4], v129
	v_mov_b32_e32 v5, 0
                                        ; implicit-def: $vgpr129
	s_delay_alu instid0(VALU_DEP_1)
	v_mov_b32_e32 v6, v5
	flat_store_b128 v[1:2], v[3:6]
                                        ; implicit-def: $vgpr1_vgpr2
.LBB25_4558:
	s_and_not1_saveexec_b32 s13, s13
	s_cbranch_execz .LBB25_4560
; %bb.4559:
	v_mov_b32_e32 v130, 0
	flat_store_b64 v[1:2], v[129:130]
.LBB25_4560:
	s_or_b32 exec_lo, exec_lo, s13
                                        ; implicit-def: $vgpr129
                                        ; implicit-def: $vgpr1_vgpr2
.LBB25_4561:
	s_and_not1_saveexec_b32 s12, s12
	s_cbranch_execz .LBB25_4563
; %bb.4562:
	v_cvt_f16_f32_e64 v3, v129
	s_delay_alu instid0(VALU_DEP_1)
	v_and_b32_e32 v3, 0xffff, v3
	flat_store_b32 v[1:2], v3
.LBB25_4563:
	s_or_b32 exec_lo, exec_lo, s12
                                        ; implicit-def: $vgpr129
                                        ; implicit-def: $vgpr1_vgpr2
                                        ; implicit-def: $vgpr3
.LBB25_4564:
	s_and_not1_saveexec_b32 s11, s11
	s_cbranch_execz .LBB25_4574
; %bb.4565:
	s_mov_b32 s12, exec_lo
	v_cmpx_lt_i16_e32 5, v3
	s_xor_b32 s12, exec_lo, s12
	s_cbranch_execz .LBB25_4571
; %bb.4566:
	s_mov_b32 s13, exec_lo
	v_cmpx_lt_i16_e32 6, v3
	s_xor_b32 s13, exec_lo, s13
	s_cbranch_execz .LBB25_4568
; %bb.4567:
	v_cvt_f64_f32_e32 v[3:4], v129
                                        ; implicit-def: $vgpr129
	flat_store_b64 v[1:2], v[3:4]
                                        ; implicit-def: $vgpr1_vgpr2
.LBB25_4568:
	s_and_not1_saveexec_b32 s13, s13
	s_cbranch_execz .LBB25_4570
; %bb.4569:
	flat_store_b32 v[1:2], v129
.LBB25_4570:
	s_or_b32 exec_lo, exec_lo, s13
                                        ; implicit-def: $vgpr129
                                        ; implicit-def: $vgpr1_vgpr2
.LBB25_4571:
	s_and_not1_saveexec_b32 s12, s12
	s_cbranch_execz .LBB25_4573
; %bb.4572:
	v_cvt_f16_f32_e64 v3, v129
	flat_store_b16 v[1:2], v3
.LBB25_4573:
	s_or_b32 exec_lo, exec_lo, s12
.LBB25_4574:
	s_delay_alu instid0(SALU_CYCLE_1)
	s_or_b32 exec_lo, exec_lo, s11
                                        ; implicit-def: $vgpr3
                                        ; implicit-def: $vgpr129
                                        ; implicit-def: $vgpr1_vgpr2
.LBB25_4575:
	s_and_not1_saveexec_b32 s10, s10
	s_cbranch_execz .LBB25_4593
; %bb.4576:
	s_mov_b32 s11, exec_lo
	v_cmpx_lt_i16_e32 1, v3
	s_xor_b32 s11, exec_lo, s11
	s_cbranch_execz .LBB25_4586
; %bb.4577:
	s_mov_b32 s12, exec_lo
	v_cmpx_lt_i16_e32 2, v3
	s_xor_b32 s12, exec_lo, s12
	;; [unrolled: 5-line block ×3, first 2 shown]
	s_cbranch_execz .LBB25_4580
; %bb.4579:
	v_trunc_f32_e32 v3, v129
                                        ; implicit-def: $vgpr129
	s_delay_alu instid0(VALU_DEP_1) | instskip(SKIP_1) | instid1(VALU_DEP_2)
	v_mul_f32_e64 v4, 0x2f800000, |v3|
	v_ashrrev_i32_e32 v6, 31, v3
	v_floor_f32_e32 v4, v4
	s_delay_alu instid0(VALU_DEP_1) | instskip(SKIP_1) | instid1(VALU_DEP_2)
	v_fma_f32 v5, 0xcf800000, v4, |v3|
	v_cvt_u32_f32_e32 v4, v4
	v_cvt_u32_f32_e32 v3, v5
	s_delay_alu instid0(VALU_DEP_2) | instskip(NEXT) | instid1(VALU_DEP_2)
	v_xor_b32_e32 v4, v4, v6
	v_xor_b32_e32 v3, v3, v6
	s_delay_alu instid0(VALU_DEP_1) | instskip(NEXT) | instid1(VALU_DEP_3)
	v_sub_co_u32 v3, vcc_lo, v3, v6
	v_sub_co_ci_u32_e32 v4, vcc_lo, v4, v6, vcc_lo
	flat_store_b64 v[1:2], v[3:4]
                                        ; implicit-def: $vgpr1_vgpr2
.LBB25_4580:
	s_and_not1_saveexec_b32 s13, s13
	s_cbranch_execz .LBB25_4582
; %bb.4581:
	v_cvt_i32_f32_e32 v3, v129
	flat_store_b32 v[1:2], v3
.LBB25_4582:
	s_or_b32 exec_lo, exec_lo, s13
                                        ; implicit-def: $vgpr129
                                        ; implicit-def: $vgpr1_vgpr2
.LBB25_4583:
	s_and_not1_saveexec_b32 s12, s12
	s_cbranch_execz .LBB25_4585
; %bb.4584:
	v_cvt_i32_f32_e32 v3, v129
	flat_store_b16 v[1:2], v3
.LBB25_4585:
	s_or_b32 exec_lo, exec_lo, s12
                                        ; implicit-def: $vgpr129
                                        ; implicit-def: $vgpr1_vgpr2
                                        ; implicit-def: $vgpr3
.LBB25_4586:
	s_and_not1_saveexec_b32 s11, s11
	s_cbranch_execz .LBB25_4592
; %bb.4587:
	s_mov_b32 s12, exec_lo
	v_cmpx_lt_i16_e32 0, v3
	s_xor_b32 s12, exec_lo, s12
	s_cbranch_execz .LBB25_4589
; %bb.4588:
	v_cvt_i32_f32_e32 v3, v129
                                        ; implicit-def: $vgpr129
	flat_store_b8 v[1:2], v3
                                        ; implicit-def: $vgpr1_vgpr2
.LBB25_4589:
	s_and_not1_saveexec_b32 s12, s12
	s_cbranch_execz .LBB25_4591
; %bb.4590:
	v_trunc_f32_e32 v3, v129
	s_delay_alu instid0(VALU_DEP_1) | instskip(NEXT) | instid1(VALU_DEP_1)
	v_mul_f32_e64 v4, 0x2f800000, |v3|
	v_floor_f32_e32 v4, v4
	s_delay_alu instid0(VALU_DEP_1) | instskip(SKIP_1) | instid1(VALU_DEP_2)
	v_fma_f32 v4, 0xcf800000, v4, |v3|
	v_ashrrev_i32_e32 v3, 31, v3
	v_cvt_u32_f32_e32 v4, v4
	s_delay_alu instid0(VALU_DEP_1) | instskip(NEXT) | instid1(VALU_DEP_1)
	v_xor_b32_e32 v4, v4, v3
	v_sub_nc_u32_e32 v3, v4, v3
	flat_store_b8 v[1:2], v3
.LBB25_4591:
	s_or_b32 exec_lo, exec_lo, s12
.LBB25_4592:
	s_delay_alu instid0(SALU_CYCLE_1)
	s_or_b32 exec_lo, exec_lo, s11
.LBB25_4593:
	s_delay_alu instid0(SALU_CYCLE_1) | instskip(NEXT) | instid1(SALU_CYCLE_1)
	s_or_b32 exec_lo, exec_lo, s10
	s_or_b32 s0, s0, exec_lo
	s_or_b32 exec_lo, exec_lo, s7
	s_mov_b32 s10, 0
	s_and_saveexec_b32 s7, s0
	s_cbranch_execnz .LBB25_3861
	s_branch .LBB25_3862
.LBB25_4594:
	s_trap 2
	s_sendmsg_rtn_b32 s0, sendmsg(MSG_RTN_GET_DOORBELL)
	s_mov_b32 ttmp2, m0
	s_waitcnt lgkmcnt(0)
	s_and_b32 s0, s0, 0x3ff
	s_delay_alu instid0(SALU_CYCLE_1) | instskip(NEXT) | instid1(SALU_CYCLE_1)
	s_bitset1_b32 s0, 10
	s_mov_b32 m0, s0
	s_sendmsg sendmsg(MSG_INTERRUPT)
	s_mov_b32 m0, ttmp2
.LBB25_4595:                            ; =>This Inner Loop Header: Depth=1
	s_sethalt 5
	s_branch .LBB25_4595
.LBB25_4596:
	s_mov_b32 s11, s7
	s_mov_b32 s12, exec_lo
	v_cmpx_lt_i16_e32 25, v3
	s_xor_b32 s12, exec_lo, s12
	s_cbranch_execz .LBB25_4632
; %bb.4597:
	s_mov_b32 s13, s7
	s_mov_b32 s11, exec_lo
	v_cmpx_lt_i16_e32 28, v3
	s_xor_b32 s11, exec_lo, s11
	s_cbranch_execz .LBB25_4615
; %bb.4598:
	;; [unrolled: 6-line block ×3, first 2 shown]
	s_mov_b32 s14, 0
	s_mov_b32 s15, s7
	s_mov_b32 s0, exec_lo
	v_cmpx_lt_i16_e32 45, v3
	s_xor_b32 s0, exec_lo, s0
	s_cbranch_execz .LBB25_4603
; %bb.4600:
	s_mov_b32 s16, -1
	s_mov_b32 s15, exec_lo
	v_cmpx_eq_u16_e32 46, v3
	s_cbranch_execz .LBB25_4602
; %bb.4601:
	v_bfe_u32 v3, v128, 16, 1
	v_cmp_o_f32_e32 vcc_lo, v128, v128
	s_mov_b32 s14, exec_lo
	s_xor_b32 s16, exec_lo, -1
	s_delay_alu instid0(VALU_DEP_2) | instskip(NEXT) | instid1(VALU_DEP_1)
	v_add3_u32 v3, v128, v3, 0x7fff
	v_lshrrev_b32_e32 v3, 16, v3
	s_delay_alu instid0(VALU_DEP_1)
	v_cndmask_b32_e32 v3, 0x7fc0, v3, vcc_lo
	flat_store_b32 v[1:2], v3
.LBB25_4602:
	s_or_b32 exec_lo, exec_lo, s15
	s_delay_alu instid0(SALU_CYCLE_1)
	s_and_not1_b32 s15, s7, exec_lo
	s_and_b32 s16, s16, exec_lo
	s_and_b32 s14, s14, exec_lo
	s_or_b32 s15, s15, s16
                                        ; implicit-def: $vgpr3
                                        ; implicit-def: $vgpr1_vgpr2
                                        ; implicit-def: $vgpr128
.LBB25_4603:
	s_and_not1_saveexec_b32 s16, s0
	s_cbranch_execz .LBB25_4609
; %bb.4604:
	s_mov_b32 s18, -1
	s_mov_b32 s0, s14
	s_mov_b32 s17, exec_lo
	v_cmpx_eq_u16_e32 44, v3
	s_cbranch_execz .LBB25_4608
; %bb.4605:
	v_bfe_u32 v4, v128, 23, 8
	v_mov_b32_e32 v3, 0xff
	s_mov_b32 s18, exec_lo
	s_delay_alu instid0(VALU_DEP_2)
	v_cmpx_ne_u32_e32 0xff, v4
; %bb.4606:
	v_and_b32_e32 v3, 0x400000, v128
	v_and_or_b32 v4, 0x3fffff, v128, v4
	s_delay_alu instid0(VALU_DEP_2) | instskip(NEXT) | instid1(VALU_DEP_2)
	v_cmp_ne_u32_e32 vcc_lo, 0, v3
	v_cmp_ne_u32_e64 s0, 0, v4
	v_lshrrev_b32_e32 v3, 23, v128
	s_delay_alu instid0(VALU_DEP_2) | instskip(NEXT) | instid1(SALU_CYCLE_1)
	s_and_b32 s0, vcc_lo, s0
	v_cndmask_b32_e64 v4, 0, 1, s0
	s_delay_alu instid0(VALU_DEP_1)
	v_add_nc_u32_e32 v3, v3, v4
; %bb.4607:
	s_or_b32 exec_lo, exec_lo, s18
	s_delay_alu instid0(SALU_CYCLE_1)
	s_xor_b32 s18, exec_lo, -1
	s_or_b32 s0, s14, exec_lo
	flat_store_b8 v[1:2], v3
.LBB25_4608:
	s_or_b32 exec_lo, exec_lo, s17
	s_delay_alu instid0(SALU_CYCLE_1)
	s_and_not1_b32 s15, s15, exec_lo
	s_and_b32 s17, s18, exec_lo
	s_and_not1_b32 s14, s14, exec_lo
	s_and_b32 s0, s0, exec_lo
	s_or_b32 s15, s15, s17
	s_or_b32 s14, s14, s0
.LBB25_4609:
	s_or_b32 exec_lo, exec_lo, s16
	s_delay_alu instid0(SALU_CYCLE_1) | instskip(SKIP_1) | instid1(SALU_CYCLE_1)
	s_and_not1_b32 s0, s7, exec_lo
	s_and_b32 s15, s15, exec_lo
                                        ; implicit-def: $vgpr3
                                        ; implicit-def: $vgpr128
                                        ; implicit-def: $vgpr1_vgpr2
	s_or_b32 s15, s0, s15
	s_and_b32 s0, s14, exec_lo
.LBB25_4610:
	s_and_not1_saveexec_b32 s13, s13
	s_cbranch_execz .LBB25_4614
; %bb.4611:
	s_mov_b32 s17, -1
	s_mov_b32 s16, s0
	s_mov_b32 s14, exec_lo
	v_cmpx_eq_u16_e32 29, v3
	s_cbranch_execz .LBB25_4613
; %bb.4612:
	v_trunc_f32_e32 v3, v128
	s_xor_b32 s17, exec_lo, -1
	s_or_b32 s16, s0, exec_lo
	s_delay_alu instid0(VALU_DEP_1) | instskip(NEXT) | instid1(VALU_DEP_1)
	v_mul_f32_e32 v4, 0x2f800000, v3
	v_floor_f32_e32 v4, v4
	s_delay_alu instid0(VALU_DEP_1) | instskip(SKIP_1) | instid1(VALU_DEP_2)
	v_fmamk_f32 v3, v4, 0xcf800000, v3
	v_cvt_u32_f32_e32 v4, v4
	v_cvt_u32_f32_e32 v3, v3
	flat_store_b64 v[1:2], v[3:4]
.LBB25_4613:
	s_or_b32 exec_lo, exec_lo, s14
	s_delay_alu instid0(SALU_CYCLE_1)
	s_and_not1_b32 s14, s15, exec_lo
	s_and_b32 s15, s17, exec_lo
	s_and_not1_b32 s0, s0, exec_lo
	s_and_b32 s16, s16, exec_lo
	s_or_b32 s15, s14, s15
	s_or_b32 s0, s0, s16
.LBB25_4614:
	s_or_b32 exec_lo, exec_lo, s13
	s_delay_alu instid0(SALU_CYCLE_1)
	s_and_not1_b32 s13, s7, exec_lo
	s_and_b32 s14, s15, exec_lo
	s_and_b32 s0, s0, exec_lo
	s_or_b32 s13, s13, s14
                                        ; implicit-def: $vgpr1_vgpr2
                                        ; implicit-def: $vgpr3
                                        ; implicit-def: $vgpr128
.LBB25_4615:
	s_and_not1_saveexec_b32 s11, s11
	s_cbranch_execz .LBB25_4631
; %bb.4616:
	s_mov_b32 s14, exec_lo
	v_cmpx_lt_i16_e32 26, v3
	s_xor_b32 s14, exec_lo, s14
	s_cbranch_execz .LBB25_4622
; %bb.4617:
	v_cmp_lt_i16_e32 vcc_lo, 27, v3
	v_cvt_u32_f32_e32 v3, v128
	s_and_saveexec_b32 s15, vcc_lo
	s_delay_alu instid0(SALU_CYCLE_1)
	s_xor_b32 s15, exec_lo, s15
	s_cbranch_execz .LBB25_4619
; %bb.4618:
	flat_store_b32 v[1:2], v3
                                        ; implicit-def: $vgpr1_vgpr2
                                        ; implicit-def: $vgpr3
.LBB25_4619:
	s_and_not1_saveexec_b32 s15, s15
	s_cbranch_execz .LBB25_4621
; %bb.4620:
	flat_store_b16 v[1:2], v3
.LBB25_4621:
	s_or_b32 exec_lo, exec_lo, s15
                                        ; implicit-def: $vgpr1_vgpr2
                                        ; implicit-def: $vgpr128
.LBB25_4622:
	s_and_not1_saveexec_b32 s14, s14
	s_cbranch_execz .LBB25_4630
; %bb.4623:
	v_and_b32_e32 v3, 0x7fffffff, v128
	v_mov_b32_e32 v4, 0x80
	s_mov_b32 s15, exec_lo
	s_delay_alu instid0(VALU_DEP_2)
	v_cmpx_gt_u32_e32 0x43800000, v3
	s_cbranch_execz .LBB25_4629
; %bb.4624:
	v_cmp_lt_u32_e32 vcc_lo, 0x3bffffff, v3
	s_mov_b32 s16, 0
                                        ; implicit-def: $vgpr3
	s_and_saveexec_b32 s17, vcc_lo
	s_delay_alu instid0(SALU_CYCLE_1)
	s_xor_b32 s17, exec_lo, s17
	s_cbranch_execnz .LBB25_5344
; %bb.4625:
	s_or_saveexec_b32 s17, s17
                                        ; implicit-def: $sgpr18
	s_delay_alu instid0(SALU_CYCLE_1)
	s_xor_b32 exec_lo, exec_lo, s17
	s_cbranch_execnz .LBB25_5345
.LBB25_4626:
	s_or_b32 exec_lo, exec_lo, s17
	v_mov_b32_e32 v4, s18
	s_and_saveexec_b32 s17, s16
.LBB25_4627:
	v_lshrrev_b32_e32 v4, 24, v128
	s_delay_alu instid0(VALU_DEP_1)
	v_and_or_b32 v4, 0x80, v4, v3
.LBB25_4628:
	s_or_b32 exec_lo, exec_lo, s17
.LBB25_4629:
	s_delay_alu instid0(SALU_CYCLE_1)
	s_or_b32 exec_lo, exec_lo, s15
	flat_store_b8 v[1:2], v4
.LBB25_4630:
	s_or_b32 exec_lo, exec_lo, s14
	s_delay_alu instid0(SALU_CYCLE_1)
	s_or_b32 s0, s0, exec_lo
.LBB25_4631:
	s_or_b32 exec_lo, exec_lo, s11
	s_delay_alu instid0(SALU_CYCLE_1)
	s_and_not1_b32 s11, s7, exec_lo
	s_and_b32 s13, s13, exec_lo
	s_and_b32 s0, s0, exec_lo
	s_or_b32 s11, s11, s13
                                        ; implicit-def: $vgpr3
                                        ; implicit-def: $vgpr128
                                        ; implicit-def: $vgpr1_vgpr2
.LBB25_4632:
	s_and_not1_saveexec_b32 s12, s12
	s_cbranch_execz .LBB25_4676
; %bb.4633:
	s_mov_b32 s14, s0
	s_mov_b32 s13, exec_lo
	v_cmpx_lt_i16_e32 22, v3
	s_xor_b32 s13, exec_lo, s13
	s_cbranch_execz .LBB25_4665
; %bb.4634:
	s_mov_b32 s14, exec_lo
	v_cmpx_lt_i16_e32 23, v3
	s_xor_b32 s14, exec_lo, s14
	s_cbranch_execz .LBB25_4654
; %bb.4635:
	;; [unrolled: 5-line block ×3, first 2 shown]
	v_and_b32_e32 v3, 0x7fffffff, v128
	v_mov_b32_e32 v4, 0x80
	s_mov_b32 s16, exec_lo
	s_delay_alu instid0(VALU_DEP_2)
	v_cmpx_gt_u32_e32 0x47800000, v3
	s_cbranch_execz .LBB25_4642
; %bb.4637:
	v_cmp_lt_u32_e32 vcc_lo, 0x37ffffff, v3
	s_mov_b32 s17, 0
                                        ; implicit-def: $vgpr3
	s_and_saveexec_b32 s18, vcc_lo
	s_delay_alu instid0(SALU_CYCLE_1)
	s_xor_b32 s18, exec_lo, s18
	s_cbranch_execnz .LBB25_5468
; %bb.4638:
	s_or_saveexec_b32 s18, s18
                                        ; implicit-def: $sgpr19
	s_delay_alu instid0(SALU_CYCLE_1)
	s_xor_b32 exec_lo, exec_lo, s18
	s_cbranch_execnz .LBB25_5469
.LBB25_4639:
	s_or_b32 exec_lo, exec_lo, s18
	v_mov_b32_e32 v4, s19
	s_and_saveexec_b32 s18, s17
.LBB25_4640:
	v_lshrrev_b32_e32 v4, 24, v128
	s_delay_alu instid0(VALU_DEP_1)
	v_and_or_b32 v4, 0x80, v4, v3
.LBB25_4641:
	s_or_b32 exec_lo, exec_lo, s18
.LBB25_4642:
	s_delay_alu instid0(SALU_CYCLE_1)
	s_or_b32 exec_lo, exec_lo, s16
	flat_store_b8 v[1:2], v4
                                        ; implicit-def: $vgpr128
                                        ; implicit-def: $vgpr1_vgpr2
.LBB25_4643:
	s_and_not1_saveexec_b32 s15, s15
	s_cbranch_execz .LBB25_4653
; %bb.4644:
	v_and_b32_e32 v4, 0x7fffffff, v128
	s_mov_b32 s16, exec_lo
                                        ; implicit-def: $vgpr3
	s_delay_alu instid0(VALU_DEP_1)
	v_cmpx_gt_u32_e32 0x43f00000, v4
	s_xor_b32 s16, exec_lo, s16
	s_cbranch_execz .LBB25_4650
; %bb.4645:
	s_mov_b32 s17, exec_lo
                                        ; implicit-def: $vgpr3
	v_cmpx_lt_u32_e32 0x3c7fffff, v4
	s_xor_b32 s17, exec_lo, s17
; %bb.4646:
	v_bfe_u32 v3, v128, 20, 1
	s_delay_alu instid0(VALU_DEP_1) | instskip(NEXT) | instid1(VALU_DEP_1)
	v_add3_u32 v3, v128, v3, 0x407ffff
	v_and_b32_e32 v4, 0xff00000, v3
	v_lshrrev_b32_e32 v3, 20, v3
	s_delay_alu instid0(VALU_DEP_2) | instskip(NEXT) | instid1(VALU_DEP_2)
	v_cmp_ne_u32_e32 vcc_lo, 0x7f00000, v4
	v_cndmask_b32_e32 v3, 0x7e, v3, vcc_lo
; %bb.4647:
	s_and_not1_saveexec_b32 s17, s17
; %bb.4648:
	v_add_f32_e64 v3, 0x46800000, |v128|
; %bb.4649:
	s_or_b32 exec_lo, exec_lo, s17
                                        ; implicit-def: $vgpr4
.LBB25_4650:
	s_and_not1_saveexec_b32 s16, s16
; %bb.4651:
	v_mov_b32_e32 v3, 0x7f
	v_cmp_lt_u32_e32 vcc_lo, 0x7f800000, v4
	s_delay_alu instid0(VALU_DEP_2)
	v_cndmask_b32_e32 v3, 0x7e, v3, vcc_lo
; %bb.4652:
	s_or_b32 exec_lo, exec_lo, s16
	v_lshrrev_b32_e32 v4, 24, v128
	s_delay_alu instid0(VALU_DEP_1)
	v_and_or_b32 v3, 0x80, v4, v3
	flat_store_b8 v[1:2], v3
.LBB25_4653:
	s_or_b32 exec_lo, exec_lo, s15
                                        ; implicit-def: $vgpr128
                                        ; implicit-def: $vgpr1_vgpr2
.LBB25_4654:
	s_and_not1_saveexec_b32 s14, s14
	s_cbranch_execz .LBB25_4664
; %bb.4655:
	v_and_b32_e32 v4, 0x7fffffff, v128
	s_mov_b32 s15, exec_lo
                                        ; implicit-def: $vgpr3
	s_delay_alu instid0(VALU_DEP_1)
	v_cmpx_gt_u32_e32 0x47800000, v4
	s_xor_b32 s15, exec_lo, s15
	s_cbranch_execz .LBB25_4661
; %bb.4656:
	s_mov_b32 s16, exec_lo
                                        ; implicit-def: $vgpr3
	v_cmpx_lt_u32_e32 0x387fffff, v4
	s_xor_b32 s16, exec_lo, s16
; %bb.4657:
	v_bfe_u32 v3, v128, 21, 1
	s_delay_alu instid0(VALU_DEP_1) | instskip(NEXT) | instid1(VALU_DEP_1)
	v_add3_u32 v3, v128, v3, 0x80fffff
	v_lshrrev_b32_e32 v3, 21, v3
; %bb.4658:
	s_and_not1_saveexec_b32 s16, s16
; %bb.4659:
	v_add_f32_e64 v3, 0x43000000, |v128|
; %bb.4660:
	s_or_b32 exec_lo, exec_lo, s16
                                        ; implicit-def: $vgpr4
.LBB25_4661:
	s_and_not1_saveexec_b32 s15, s15
; %bb.4662:
	v_mov_b32_e32 v3, 0x7f
	v_cmp_lt_u32_e32 vcc_lo, 0x7f800000, v4
	s_delay_alu instid0(VALU_DEP_2)
	v_cndmask_b32_e32 v3, 0x7c, v3, vcc_lo
; %bb.4663:
	s_or_b32 exec_lo, exec_lo, s15
	v_lshrrev_b32_e32 v4, 24, v128
	s_delay_alu instid0(VALU_DEP_1)
	v_and_or_b32 v3, 0x80, v4, v3
	flat_store_b8 v[1:2], v3
.LBB25_4664:
	s_or_b32 exec_lo, exec_lo, s14
	s_delay_alu instid0(SALU_CYCLE_1)
	s_or_b32 s14, s0, exec_lo
                                        ; implicit-def: $vgpr3
                                        ; implicit-def: $vgpr128
                                        ; implicit-def: $vgpr1_vgpr2
.LBB25_4665:
	s_or_saveexec_b32 s13, s13
	s_mov_b32 s15, s11
	s_xor_b32 exec_lo, exec_lo, s13
	s_cbranch_execz .LBB25_4675
; %bb.4666:
	s_mov_b32 s15, s14
	s_mov_b32 s16, s11
	s_mov_b32 s17, exec_lo
	v_cmpx_lt_i16_e32 14, v3
	s_xor_b32 s17, exec_lo, s17
	s_cbranch_execz .LBB25_4670
; %bb.4667:
	s_mov_b32 s18, -1
	s_mov_b32 s15, s14
	s_mov_b32 s16, exec_lo
	v_cmpx_eq_u16_e32 15, v3
	s_cbranch_execz .LBB25_4669
; %bb.4668:
	v_bfe_u32 v3, v128, 16, 1
	v_cmp_o_f32_e32 vcc_lo, v128, v128
	s_xor_b32 s18, exec_lo, -1
	s_or_b32 s15, s14, exec_lo
	s_delay_alu instid0(VALU_DEP_2) | instskip(NEXT) | instid1(VALU_DEP_1)
	v_add3_u32 v3, v128, v3, 0x7fff
	v_lshrrev_b32_e32 v3, 16, v3
	s_delay_alu instid0(VALU_DEP_1)
	v_cndmask_b32_e32 v3, 0x7fc0, v3, vcc_lo
	flat_store_b16 v[1:2], v3
.LBB25_4669:
	s_or_b32 exec_lo, exec_lo, s16
	s_delay_alu instid0(SALU_CYCLE_1)
	s_and_not1_b32 s16, s11, exec_lo
	s_and_b32 s18, s18, exec_lo
	s_and_not1_b32 s19, s14, exec_lo
	s_and_b32 s15, s15, exec_lo
	s_or_b32 s16, s16, s18
	s_or_b32 s15, s19, s15
                                        ; implicit-def: $vgpr3
                                        ; implicit-def: $vgpr128
                                        ; implicit-def: $vgpr1_vgpr2
.LBB25_4670:
	s_and_not1_saveexec_b32 s17, s17
	s_cbranch_execz .LBB25_4674
; %bb.4671:
	s_mov_b32 s19, -1
	s_mov_b32 s18, s15
	s_mov_b32 s20, exec_lo
	v_cmpx_eq_u16_e32 11, v3
	s_cbranch_execz .LBB25_4673
; %bb.4672:
	v_cmp_neq_f32_e32 vcc_lo, 0, v128
	s_xor_b32 s19, exec_lo, -1
	s_or_b32 s18, s15, exec_lo
	v_cndmask_b32_e64 v3, 0, 1, vcc_lo
	flat_store_b8 v[1:2], v3
.LBB25_4673:
	s_or_b32 exec_lo, exec_lo, s20
	s_delay_alu instid0(SALU_CYCLE_1)
	s_and_not1_b32 s16, s16, exec_lo
	s_and_b32 s19, s19, exec_lo
	s_and_not1_b32 s15, s15, exec_lo
	s_and_b32 s18, s18, exec_lo
	s_or_b32 s16, s16, s19
	s_or_b32 s15, s15, s18
.LBB25_4674:
	s_or_b32 exec_lo, exec_lo, s17
	s_delay_alu instid0(SALU_CYCLE_1)
	s_and_not1_b32 s17, s11, exec_lo
	s_and_b32 s16, s16, exec_lo
	s_and_not1_b32 s14, s14, exec_lo
	s_and_b32 s18, s15, exec_lo
	s_or_b32 s15, s17, s16
	s_or_b32 s14, s14, s18
.LBB25_4675:
	s_or_b32 exec_lo, exec_lo, s13
	s_delay_alu instid0(SALU_CYCLE_1)
	s_and_not1_b32 s11, s11, exec_lo
	s_and_b32 s13, s15, exec_lo
	s_and_not1_b32 s0, s0, exec_lo
	s_and_b32 s14, s14, exec_lo
	s_or_b32 s11, s11, s13
	s_or_b32 s0, s0, s14
.LBB25_4676:
	s_or_b32 exec_lo, exec_lo, s12
	s_delay_alu instid0(SALU_CYCLE_1)
	s_and_not1_b32 s12, s7, exec_lo
	s_and_b32 s11, s11, exec_lo
	s_and_b32 s0, s0, exec_lo
	s_or_b32 s11, s12, s11
                                        ; implicit-def: $vgpr3
                                        ; implicit-def: $vgpr128
                                        ; implicit-def: $vgpr1_vgpr2
	s_and_not1_saveexec_b32 s9, s9
	s_cbranch_execz .LBB25_3867
.LBB25_4677:
	s_mov_b32 s12, exec_lo
	v_cmpx_lt_i16_e32 4, v3
	s_xor_b32 s12, exec_lo, s12
	s_cbranch_execz .LBB25_4699
; %bb.4678:
	s_mov_b32 s13, exec_lo
	v_cmpx_lt_i16_e32 7, v3
	s_xor_b32 s13, exec_lo, s13
	s_cbranch_execz .LBB25_4688
; %bb.4679:
	;; [unrolled: 5-line block ×4, first 2 shown]
	v_cvt_f64_f32_e32 v[3:4], v128
	v_mov_b32_e32 v5, 0
                                        ; implicit-def: $vgpr128
	s_delay_alu instid0(VALU_DEP_1)
	v_mov_b32_e32 v6, v5
	flat_store_b128 v[1:2], v[3:6]
                                        ; implicit-def: $vgpr1_vgpr2
.LBB25_4682:
	s_and_not1_saveexec_b32 s15, s15
	s_cbranch_execz .LBB25_4684
; %bb.4683:
	v_mov_b32_e32 v129, 0
	flat_store_b64 v[1:2], v[128:129]
.LBB25_4684:
	s_or_b32 exec_lo, exec_lo, s15
                                        ; implicit-def: $vgpr128
                                        ; implicit-def: $vgpr1_vgpr2
.LBB25_4685:
	s_and_not1_saveexec_b32 s14, s14
	s_cbranch_execz .LBB25_4687
; %bb.4686:
	v_cvt_f16_f32_e64 v3, v128
	s_delay_alu instid0(VALU_DEP_1)
	v_and_b32_e32 v3, 0xffff, v3
	flat_store_b32 v[1:2], v3
.LBB25_4687:
	s_or_b32 exec_lo, exec_lo, s14
                                        ; implicit-def: $vgpr128
                                        ; implicit-def: $vgpr1_vgpr2
                                        ; implicit-def: $vgpr3
.LBB25_4688:
	s_and_not1_saveexec_b32 s13, s13
	s_cbranch_execz .LBB25_4698
; %bb.4689:
	s_mov_b32 s14, exec_lo
	v_cmpx_lt_i16_e32 5, v3
	s_xor_b32 s14, exec_lo, s14
	s_cbranch_execz .LBB25_4695
; %bb.4690:
	s_mov_b32 s15, exec_lo
	v_cmpx_lt_i16_e32 6, v3
	s_xor_b32 s15, exec_lo, s15
	s_cbranch_execz .LBB25_4692
; %bb.4691:
	v_cvt_f64_f32_e32 v[3:4], v128
                                        ; implicit-def: $vgpr128
	flat_store_b64 v[1:2], v[3:4]
                                        ; implicit-def: $vgpr1_vgpr2
.LBB25_4692:
	s_and_not1_saveexec_b32 s15, s15
	s_cbranch_execz .LBB25_4694
; %bb.4693:
	flat_store_b32 v[1:2], v128
.LBB25_4694:
	s_or_b32 exec_lo, exec_lo, s15
                                        ; implicit-def: $vgpr128
                                        ; implicit-def: $vgpr1_vgpr2
.LBB25_4695:
	s_and_not1_saveexec_b32 s14, s14
	s_cbranch_execz .LBB25_4697
; %bb.4696:
	v_cvt_f16_f32_e64 v3, v128
	flat_store_b16 v[1:2], v3
.LBB25_4697:
	s_or_b32 exec_lo, exec_lo, s14
.LBB25_4698:
	s_delay_alu instid0(SALU_CYCLE_1)
	s_or_b32 exec_lo, exec_lo, s13
                                        ; implicit-def: $vgpr3
                                        ; implicit-def: $vgpr128
                                        ; implicit-def: $vgpr1_vgpr2
.LBB25_4699:
	s_and_not1_saveexec_b32 s12, s12
	s_cbranch_execz .LBB25_4717
; %bb.4700:
	s_mov_b32 s13, exec_lo
	v_cmpx_lt_i16_e32 1, v3
	s_xor_b32 s13, exec_lo, s13
	s_cbranch_execz .LBB25_4710
; %bb.4701:
	s_mov_b32 s14, exec_lo
	v_cmpx_lt_i16_e32 2, v3
	s_xor_b32 s14, exec_lo, s14
	;; [unrolled: 5-line block ×3, first 2 shown]
	s_cbranch_execz .LBB25_4704
; %bb.4703:
	v_trunc_f32_e32 v3, v128
                                        ; implicit-def: $vgpr128
	s_delay_alu instid0(VALU_DEP_1) | instskip(SKIP_1) | instid1(VALU_DEP_2)
	v_mul_f32_e64 v4, 0x2f800000, |v3|
	v_ashrrev_i32_e32 v6, 31, v3
	v_floor_f32_e32 v4, v4
	s_delay_alu instid0(VALU_DEP_1) | instskip(SKIP_1) | instid1(VALU_DEP_2)
	v_fma_f32 v5, 0xcf800000, v4, |v3|
	v_cvt_u32_f32_e32 v4, v4
	v_cvt_u32_f32_e32 v3, v5
	s_delay_alu instid0(VALU_DEP_2) | instskip(NEXT) | instid1(VALU_DEP_2)
	v_xor_b32_e32 v4, v4, v6
	v_xor_b32_e32 v3, v3, v6
	s_delay_alu instid0(VALU_DEP_1) | instskip(NEXT) | instid1(VALU_DEP_3)
	v_sub_co_u32 v3, vcc_lo, v3, v6
	v_sub_co_ci_u32_e32 v4, vcc_lo, v4, v6, vcc_lo
	flat_store_b64 v[1:2], v[3:4]
                                        ; implicit-def: $vgpr1_vgpr2
.LBB25_4704:
	s_and_not1_saveexec_b32 s15, s15
	s_cbranch_execz .LBB25_4706
; %bb.4705:
	v_cvt_i32_f32_e32 v3, v128
	flat_store_b32 v[1:2], v3
.LBB25_4706:
	s_or_b32 exec_lo, exec_lo, s15
                                        ; implicit-def: $vgpr128
                                        ; implicit-def: $vgpr1_vgpr2
.LBB25_4707:
	s_and_not1_saveexec_b32 s14, s14
	s_cbranch_execz .LBB25_4709
; %bb.4708:
	v_cvt_i32_f32_e32 v3, v128
	flat_store_b16 v[1:2], v3
.LBB25_4709:
	s_or_b32 exec_lo, exec_lo, s14
                                        ; implicit-def: $vgpr128
                                        ; implicit-def: $vgpr1_vgpr2
                                        ; implicit-def: $vgpr3
.LBB25_4710:
	s_and_not1_saveexec_b32 s13, s13
	s_cbranch_execz .LBB25_4716
; %bb.4711:
	s_mov_b32 s14, exec_lo
	v_cmpx_lt_i16_e32 0, v3
	s_xor_b32 s14, exec_lo, s14
	s_cbranch_execz .LBB25_4713
; %bb.4712:
	v_cvt_i32_f32_e32 v3, v128
                                        ; implicit-def: $vgpr128
	flat_store_b8 v[1:2], v3
                                        ; implicit-def: $vgpr1_vgpr2
.LBB25_4713:
	s_and_not1_saveexec_b32 s14, s14
	s_cbranch_execz .LBB25_4715
; %bb.4714:
	v_trunc_f32_e32 v3, v128
	s_delay_alu instid0(VALU_DEP_1) | instskip(NEXT) | instid1(VALU_DEP_1)
	v_mul_f32_e64 v4, 0x2f800000, |v3|
	v_floor_f32_e32 v4, v4
	s_delay_alu instid0(VALU_DEP_1) | instskip(SKIP_1) | instid1(VALU_DEP_2)
	v_fma_f32 v4, 0xcf800000, v4, |v3|
	v_ashrrev_i32_e32 v3, 31, v3
	v_cvt_u32_f32_e32 v4, v4
	s_delay_alu instid0(VALU_DEP_1) | instskip(NEXT) | instid1(VALU_DEP_1)
	v_xor_b32_e32 v4, v4, v3
	v_sub_nc_u32_e32 v3, v4, v3
	flat_store_b8 v[1:2], v3
.LBB25_4715:
	s_or_b32 exec_lo, exec_lo, s14
.LBB25_4716:
	s_delay_alu instid0(SALU_CYCLE_1)
	s_or_b32 exec_lo, exec_lo, s13
.LBB25_4717:
	s_delay_alu instid0(SALU_CYCLE_1) | instskip(NEXT) | instid1(SALU_CYCLE_1)
	s_or_b32 exec_lo, exec_lo, s12
	s_or_b32 s0, s0, exec_lo
	s_or_b32 exec_lo, exec_lo, s9
	s_mov_b32 s12, 0
	s_and_saveexec_b32 s9, s0
	s_cbranch_execnz .LBB25_3868
	s_branch .LBB25_3869
.LBB25_4718:
	v_bfe_u32 v3, v132, 20, 1
	s_mov_b32 s9, exec_lo
	s_delay_alu instid0(VALU_DEP_1) | instskip(NEXT) | instid1(VALU_DEP_1)
	v_add3_u32 v3, v132, v3, 0x487ffff
	v_lshrrev_b32_e32 v3, 20, v3
	s_or_saveexec_b32 s10, s10
                                        ; implicit-def: $sgpr11
	s_delay_alu instid0(SALU_CYCLE_1)
	s_xor_b32 exec_lo, exec_lo, s10
	s_cbranch_execz .LBB25_3748
.LBB25_4719:
	v_add_f32_e64 v3, 0x46000000, |v132|
	s_and_not1_b32 s9, s9, exec_lo
	s_mov_b32 s11, 0
	s_delay_alu instid0(VALU_DEP_1) | instskip(NEXT) | instid1(VALU_DEP_1)
	v_and_b32_e32 v3, 0xff, v3
	v_cmp_ne_u32_e32 vcc_lo, 0, v3
	s_and_b32 s12, vcc_lo, exec_lo
	s_delay_alu instid0(SALU_CYCLE_1)
	s_or_b32 s9, s9, s12
	s_or_b32 exec_lo, exec_lo, s10
	v_mov_b32_e32 v4, s11
	s_and_saveexec_b32 s10, s9
	s_cbranch_execnz .LBB25_3749
	s_branch .LBB25_3750
.LBB25_4720:
	s_mov_b32 s13, s9
	s_mov_b32 s14, exec_lo
	v_cmpx_lt_i16_e32 25, v3
	s_xor_b32 s14, exec_lo, s14
	s_cbranch_execz .LBB25_4756
; %bb.4721:
	s_mov_b32 s15, s9
	s_mov_b32 s13, exec_lo
	v_cmpx_lt_i16_e32 28, v3
	s_xor_b32 s13, exec_lo, s13
	s_cbranch_execz .LBB25_4739
; %bb.4722:
	;; [unrolled: 6-line block ×3, first 2 shown]
	s_mov_b32 s16, 0
	s_mov_b32 s17, s9
	s_mov_b32 s0, exec_lo
	v_cmpx_lt_i16_e32 45, v3
	s_xor_b32 s0, exec_lo, s0
	s_cbranch_execz .LBB25_4727
; %bb.4724:
	s_mov_b32 s18, -1
	s_mov_b32 s17, exec_lo
	v_cmpx_eq_u16_e32 46, v3
	s_cbranch_execz .LBB25_4726
; %bb.4725:
	v_bfe_u32 v3, v118, 16, 1
	v_cmp_o_f32_e32 vcc_lo, v118, v118
	s_mov_b32 s16, exec_lo
	s_xor_b32 s18, exec_lo, -1
	s_delay_alu instid0(VALU_DEP_2) | instskip(NEXT) | instid1(VALU_DEP_1)
	v_add3_u32 v3, v118, v3, 0x7fff
	v_lshrrev_b32_e32 v3, 16, v3
	s_delay_alu instid0(VALU_DEP_1)
	v_cndmask_b32_e32 v3, 0x7fc0, v3, vcc_lo
	flat_store_b32 v[1:2], v3
.LBB25_4726:
	s_or_b32 exec_lo, exec_lo, s17
	s_delay_alu instid0(SALU_CYCLE_1)
	s_and_not1_b32 s17, s9, exec_lo
	s_and_b32 s18, s18, exec_lo
	s_and_b32 s16, s16, exec_lo
	s_or_b32 s17, s17, s18
                                        ; implicit-def: $vgpr3
                                        ; implicit-def: $vgpr1_vgpr2
                                        ; implicit-def: $vgpr118
.LBB25_4727:
	s_and_not1_saveexec_b32 s18, s0
	s_cbranch_execz .LBB25_4733
; %bb.4728:
	s_mov_b32 s20, -1
	s_mov_b32 s0, s16
	s_mov_b32 s19, exec_lo
	v_cmpx_eq_u16_e32 44, v3
	s_cbranch_execz .LBB25_4732
; %bb.4729:
	v_bfe_u32 v4, v118, 23, 8
	v_mov_b32_e32 v3, 0xff
	s_mov_b32 s20, exec_lo
	s_delay_alu instid0(VALU_DEP_2)
	v_cmpx_ne_u32_e32 0xff, v4
; %bb.4730:
	v_and_b32_e32 v3, 0x400000, v118
	v_and_or_b32 v4, 0x3fffff, v118, v4
	s_delay_alu instid0(VALU_DEP_2) | instskip(NEXT) | instid1(VALU_DEP_2)
	v_cmp_ne_u32_e32 vcc_lo, 0, v3
	v_cmp_ne_u32_e64 s0, 0, v4
	v_lshrrev_b32_e32 v3, 23, v118
	s_delay_alu instid0(VALU_DEP_2) | instskip(NEXT) | instid1(SALU_CYCLE_1)
	s_and_b32 s0, vcc_lo, s0
	v_cndmask_b32_e64 v4, 0, 1, s0
	s_delay_alu instid0(VALU_DEP_1)
	v_add_nc_u32_e32 v3, v3, v4
; %bb.4731:
	s_or_b32 exec_lo, exec_lo, s20
	s_delay_alu instid0(SALU_CYCLE_1)
	s_xor_b32 s20, exec_lo, -1
	s_or_b32 s0, s16, exec_lo
	flat_store_b8 v[1:2], v3
.LBB25_4732:
	s_or_b32 exec_lo, exec_lo, s19
	s_delay_alu instid0(SALU_CYCLE_1)
	s_and_not1_b32 s17, s17, exec_lo
	s_and_b32 s19, s20, exec_lo
	s_and_not1_b32 s16, s16, exec_lo
	s_and_b32 s0, s0, exec_lo
	s_or_b32 s17, s17, s19
	s_or_b32 s16, s16, s0
.LBB25_4733:
	s_or_b32 exec_lo, exec_lo, s18
	s_delay_alu instid0(SALU_CYCLE_1) | instskip(SKIP_1) | instid1(SALU_CYCLE_1)
	s_and_not1_b32 s0, s9, exec_lo
	s_and_b32 s17, s17, exec_lo
                                        ; implicit-def: $vgpr3
                                        ; implicit-def: $vgpr118
                                        ; implicit-def: $vgpr1_vgpr2
	s_or_b32 s17, s0, s17
	s_and_b32 s0, s16, exec_lo
.LBB25_4734:
	s_and_not1_saveexec_b32 s15, s15
	s_cbranch_execz .LBB25_4738
; %bb.4735:
	s_mov_b32 s19, -1
	s_mov_b32 s18, s0
	s_mov_b32 s16, exec_lo
	v_cmpx_eq_u16_e32 29, v3
	s_cbranch_execz .LBB25_4737
; %bb.4736:
	v_trunc_f32_e32 v3, v118
	s_xor_b32 s19, exec_lo, -1
	s_or_b32 s18, s0, exec_lo
	s_delay_alu instid0(VALU_DEP_1) | instskip(NEXT) | instid1(VALU_DEP_1)
	v_mul_f32_e32 v4, 0x2f800000, v3
	v_floor_f32_e32 v4, v4
	s_delay_alu instid0(VALU_DEP_1) | instskip(SKIP_1) | instid1(VALU_DEP_2)
	v_fmamk_f32 v3, v4, 0xcf800000, v3
	v_cvt_u32_f32_e32 v4, v4
	v_cvt_u32_f32_e32 v3, v3
	flat_store_b64 v[1:2], v[3:4]
.LBB25_4737:
	s_or_b32 exec_lo, exec_lo, s16
	s_delay_alu instid0(SALU_CYCLE_1)
	s_and_not1_b32 s16, s17, exec_lo
	s_and_b32 s17, s19, exec_lo
	s_and_not1_b32 s0, s0, exec_lo
	s_and_b32 s18, s18, exec_lo
	s_or_b32 s17, s16, s17
	s_or_b32 s0, s0, s18
.LBB25_4738:
	s_or_b32 exec_lo, exec_lo, s15
	s_delay_alu instid0(SALU_CYCLE_1)
	s_and_not1_b32 s15, s9, exec_lo
	s_and_b32 s16, s17, exec_lo
	s_and_b32 s0, s0, exec_lo
	s_or_b32 s15, s15, s16
                                        ; implicit-def: $vgpr1_vgpr2
                                        ; implicit-def: $vgpr3
                                        ; implicit-def: $vgpr118
.LBB25_4739:
	s_and_not1_saveexec_b32 s13, s13
	s_cbranch_execz .LBB25_4755
; %bb.4740:
	s_mov_b32 s16, exec_lo
	v_cmpx_lt_i16_e32 26, v3
	s_xor_b32 s16, exec_lo, s16
	s_cbranch_execz .LBB25_4746
; %bb.4741:
	v_cmp_lt_i16_e32 vcc_lo, 27, v3
	v_cvt_u32_f32_e32 v3, v118
	s_and_saveexec_b32 s17, vcc_lo
	s_delay_alu instid0(SALU_CYCLE_1)
	s_xor_b32 s17, exec_lo, s17
	s_cbranch_execz .LBB25_4743
; %bb.4742:
	flat_store_b32 v[1:2], v3
                                        ; implicit-def: $vgpr1_vgpr2
                                        ; implicit-def: $vgpr3
.LBB25_4743:
	s_and_not1_saveexec_b32 s17, s17
	s_cbranch_execz .LBB25_4745
; %bb.4744:
	flat_store_b16 v[1:2], v3
.LBB25_4745:
	s_or_b32 exec_lo, exec_lo, s17
                                        ; implicit-def: $vgpr1_vgpr2
                                        ; implicit-def: $vgpr118
.LBB25_4746:
	s_and_not1_saveexec_b32 s16, s16
	s_cbranch_execz .LBB25_4754
; %bb.4747:
	v_and_b32_e32 v3, 0x7fffffff, v118
	v_mov_b32_e32 v4, 0x80
	s_mov_b32 s17, exec_lo
	s_delay_alu instid0(VALU_DEP_2)
	v_cmpx_gt_u32_e32 0x43800000, v3
	s_cbranch_execz .LBB25_4753
; %bb.4748:
	v_cmp_lt_u32_e32 vcc_lo, 0x3bffffff, v3
	s_mov_b32 s18, 0
                                        ; implicit-def: $vgpr3
	s_and_saveexec_b32 s19, vcc_lo
	s_delay_alu instid0(SALU_CYCLE_1)
	s_xor_b32 s19, exec_lo, s19
	s_cbranch_execnz .LBB25_5470
; %bb.4749:
	s_or_saveexec_b32 s19, s19
                                        ; implicit-def: $sgpr20
	s_delay_alu instid0(SALU_CYCLE_1)
	s_xor_b32 exec_lo, exec_lo, s19
	s_cbranch_execnz .LBB25_5471
.LBB25_4750:
	s_or_b32 exec_lo, exec_lo, s19
	v_mov_b32_e32 v4, s20
	s_and_saveexec_b32 s19, s18
.LBB25_4751:
	v_lshrrev_b32_e32 v4, 24, v118
	s_delay_alu instid0(VALU_DEP_1)
	v_and_or_b32 v4, 0x80, v4, v3
.LBB25_4752:
	s_or_b32 exec_lo, exec_lo, s19
.LBB25_4753:
	s_delay_alu instid0(SALU_CYCLE_1)
	s_or_b32 exec_lo, exec_lo, s17
	flat_store_b8 v[1:2], v4
.LBB25_4754:
	s_or_b32 exec_lo, exec_lo, s16
	s_delay_alu instid0(SALU_CYCLE_1)
	s_or_b32 s0, s0, exec_lo
.LBB25_4755:
	s_or_b32 exec_lo, exec_lo, s13
	s_delay_alu instid0(SALU_CYCLE_1)
	s_and_not1_b32 s13, s9, exec_lo
	s_and_b32 s15, s15, exec_lo
	s_and_b32 s0, s0, exec_lo
	s_or_b32 s13, s13, s15
                                        ; implicit-def: $vgpr3
                                        ; implicit-def: $vgpr118
                                        ; implicit-def: $vgpr1_vgpr2
.LBB25_4756:
	s_and_not1_saveexec_b32 s14, s14
	s_cbranch_execz .LBB25_4800
; %bb.4757:
	s_mov_b32 s16, s0
	s_mov_b32 s15, exec_lo
	v_cmpx_lt_i16_e32 22, v3
	s_xor_b32 s15, exec_lo, s15
	s_cbranch_execz .LBB25_4789
; %bb.4758:
	s_mov_b32 s16, exec_lo
	v_cmpx_lt_i16_e32 23, v3
	s_xor_b32 s16, exec_lo, s16
	s_cbranch_execz .LBB25_4778
; %bb.4759:
	;; [unrolled: 5-line block ×3, first 2 shown]
	v_and_b32_e32 v3, 0x7fffffff, v118
	v_mov_b32_e32 v4, 0x80
	s_mov_b32 s18, exec_lo
	s_delay_alu instid0(VALU_DEP_2)
	v_cmpx_gt_u32_e32 0x47800000, v3
	s_cbranch_execz .LBB25_4766
; %bb.4761:
	v_cmp_lt_u32_e32 vcc_lo, 0x37ffffff, v3
	s_mov_b32 s19, 0
                                        ; implicit-def: $vgpr3
	s_and_saveexec_b32 s20, vcc_lo
	s_delay_alu instid0(SALU_CYCLE_1)
	s_xor_b32 s20, exec_lo, s20
	s_cbranch_execnz .LBB25_5594
; %bb.4762:
	s_or_saveexec_b32 s20, s20
                                        ; implicit-def: $sgpr21
	s_delay_alu instid0(SALU_CYCLE_1)
	s_xor_b32 exec_lo, exec_lo, s20
	s_cbranch_execnz .LBB25_5595
.LBB25_4763:
	s_or_b32 exec_lo, exec_lo, s20
	v_mov_b32_e32 v4, s21
	s_and_saveexec_b32 s20, s19
.LBB25_4764:
	v_lshrrev_b32_e32 v4, 24, v118
	s_delay_alu instid0(VALU_DEP_1)
	v_and_or_b32 v4, 0x80, v4, v3
.LBB25_4765:
	s_or_b32 exec_lo, exec_lo, s20
.LBB25_4766:
	s_delay_alu instid0(SALU_CYCLE_1)
	s_or_b32 exec_lo, exec_lo, s18
	flat_store_b8 v[1:2], v4
                                        ; implicit-def: $vgpr118
                                        ; implicit-def: $vgpr1_vgpr2
.LBB25_4767:
	s_and_not1_saveexec_b32 s17, s17
	s_cbranch_execz .LBB25_4777
; %bb.4768:
	v_and_b32_e32 v4, 0x7fffffff, v118
	s_mov_b32 s18, exec_lo
                                        ; implicit-def: $vgpr3
	s_delay_alu instid0(VALU_DEP_1)
	v_cmpx_gt_u32_e32 0x43f00000, v4
	s_xor_b32 s18, exec_lo, s18
	s_cbranch_execz .LBB25_4774
; %bb.4769:
	s_mov_b32 s19, exec_lo
                                        ; implicit-def: $vgpr3
	v_cmpx_lt_u32_e32 0x3c7fffff, v4
	s_xor_b32 s19, exec_lo, s19
; %bb.4770:
	v_bfe_u32 v3, v118, 20, 1
	s_delay_alu instid0(VALU_DEP_1) | instskip(NEXT) | instid1(VALU_DEP_1)
	v_add3_u32 v3, v118, v3, 0x407ffff
	v_and_b32_e32 v4, 0xff00000, v3
	v_lshrrev_b32_e32 v3, 20, v3
	s_delay_alu instid0(VALU_DEP_2) | instskip(NEXT) | instid1(VALU_DEP_2)
	v_cmp_ne_u32_e32 vcc_lo, 0x7f00000, v4
	v_cndmask_b32_e32 v3, 0x7e, v3, vcc_lo
; %bb.4771:
	s_and_not1_saveexec_b32 s19, s19
; %bb.4772:
	v_add_f32_e64 v3, 0x46800000, |v118|
; %bb.4773:
	s_or_b32 exec_lo, exec_lo, s19
                                        ; implicit-def: $vgpr4
.LBB25_4774:
	s_and_not1_saveexec_b32 s18, s18
; %bb.4775:
	v_mov_b32_e32 v3, 0x7f
	v_cmp_lt_u32_e32 vcc_lo, 0x7f800000, v4
	s_delay_alu instid0(VALU_DEP_2)
	v_cndmask_b32_e32 v3, 0x7e, v3, vcc_lo
; %bb.4776:
	s_or_b32 exec_lo, exec_lo, s18
	v_lshrrev_b32_e32 v4, 24, v118
	s_delay_alu instid0(VALU_DEP_1)
	v_and_or_b32 v3, 0x80, v4, v3
	flat_store_b8 v[1:2], v3
.LBB25_4777:
	s_or_b32 exec_lo, exec_lo, s17
                                        ; implicit-def: $vgpr118
                                        ; implicit-def: $vgpr1_vgpr2
.LBB25_4778:
	s_and_not1_saveexec_b32 s16, s16
	s_cbranch_execz .LBB25_4788
; %bb.4779:
	v_and_b32_e32 v4, 0x7fffffff, v118
	s_mov_b32 s17, exec_lo
                                        ; implicit-def: $vgpr3
	s_delay_alu instid0(VALU_DEP_1)
	v_cmpx_gt_u32_e32 0x47800000, v4
	s_xor_b32 s17, exec_lo, s17
	s_cbranch_execz .LBB25_4785
; %bb.4780:
	s_mov_b32 s18, exec_lo
                                        ; implicit-def: $vgpr3
	v_cmpx_lt_u32_e32 0x387fffff, v4
	s_xor_b32 s18, exec_lo, s18
; %bb.4781:
	v_bfe_u32 v3, v118, 21, 1
	s_delay_alu instid0(VALU_DEP_1) | instskip(NEXT) | instid1(VALU_DEP_1)
	v_add3_u32 v3, v118, v3, 0x80fffff
	v_lshrrev_b32_e32 v3, 21, v3
; %bb.4782:
	s_and_not1_saveexec_b32 s18, s18
; %bb.4783:
	v_add_f32_e64 v3, 0x43000000, |v118|
; %bb.4784:
	s_or_b32 exec_lo, exec_lo, s18
                                        ; implicit-def: $vgpr4
.LBB25_4785:
	s_and_not1_saveexec_b32 s17, s17
; %bb.4786:
	v_mov_b32_e32 v3, 0x7f
	v_cmp_lt_u32_e32 vcc_lo, 0x7f800000, v4
	s_delay_alu instid0(VALU_DEP_2)
	v_cndmask_b32_e32 v3, 0x7c, v3, vcc_lo
; %bb.4787:
	s_or_b32 exec_lo, exec_lo, s17
	v_lshrrev_b32_e32 v4, 24, v118
	s_delay_alu instid0(VALU_DEP_1)
	v_and_or_b32 v3, 0x80, v4, v3
	flat_store_b8 v[1:2], v3
.LBB25_4788:
	s_or_b32 exec_lo, exec_lo, s16
	s_delay_alu instid0(SALU_CYCLE_1)
	s_or_b32 s16, s0, exec_lo
                                        ; implicit-def: $vgpr3
                                        ; implicit-def: $vgpr118
                                        ; implicit-def: $vgpr1_vgpr2
.LBB25_4789:
	s_or_saveexec_b32 s15, s15
	s_mov_b32 s17, s13
	s_xor_b32 exec_lo, exec_lo, s15
	s_cbranch_execz .LBB25_4799
; %bb.4790:
	s_mov_b32 s17, s16
	s_mov_b32 s18, s13
	s_mov_b32 s19, exec_lo
	v_cmpx_lt_i16_e32 14, v3
	s_xor_b32 s19, exec_lo, s19
	s_cbranch_execz .LBB25_4794
; %bb.4791:
	s_mov_b32 s20, -1
	s_mov_b32 s17, s16
	s_mov_b32 s18, exec_lo
	v_cmpx_eq_u16_e32 15, v3
	s_cbranch_execz .LBB25_4793
; %bb.4792:
	v_bfe_u32 v3, v118, 16, 1
	v_cmp_o_f32_e32 vcc_lo, v118, v118
	s_xor_b32 s20, exec_lo, -1
	s_or_b32 s17, s16, exec_lo
	s_delay_alu instid0(VALU_DEP_2) | instskip(NEXT) | instid1(VALU_DEP_1)
	v_add3_u32 v3, v118, v3, 0x7fff
	v_lshrrev_b32_e32 v3, 16, v3
	s_delay_alu instid0(VALU_DEP_1)
	v_cndmask_b32_e32 v3, 0x7fc0, v3, vcc_lo
	flat_store_b16 v[1:2], v3
.LBB25_4793:
	s_or_b32 exec_lo, exec_lo, s18
	s_delay_alu instid0(SALU_CYCLE_1)
	s_and_not1_b32 s18, s13, exec_lo
	s_and_b32 s20, s20, exec_lo
	s_and_not1_b32 s21, s16, exec_lo
	s_and_b32 s17, s17, exec_lo
	s_or_b32 s18, s18, s20
	s_or_b32 s17, s21, s17
                                        ; implicit-def: $vgpr3
                                        ; implicit-def: $vgpr118
                                        ; implicit-def: $vgpr1_vgpr2
.LBB25_4794:
	s_and_not1_saveexec_b32 s19, s19
	s_cbranch_execz .LBB25_4798
; %bb.4795:
	s_mov_b32 s21, -1
	s_mov_b32 s20, s17
	s_mov_b32 s22, exec_lo
	v_cmpx_eq_u16_e32 11, v3
	s_cbranch_execz .LBB25_4797
; %bb.4796:
	v_cmp_neq_f32_e32 vcc_lo, 0, v118
	s_xor_b32 s21, exec_lo, -1
	s_or_b32 s20, s17, exec_lo
	v_cndmask_b32_e64 v3, 0, 1, vcc_lo
	flat_store_b8 v[1:2], v3
.LBB25_4797:
	s_or_b32 exec_lo, exec_lo, s22
	s_delay_alu instid0(SALU_CYCLE_1)
	s_and_not1_b32 s18, s18, exec_lo
	s_and_b32 s21, s21, exec_lo
	s_and_not1_b32 s17, s17, exec_lo
	s_and_b32 s20, s20, exec_lo
	s_or_b32 s18, s18, s21
	s_or_b32 s17, s17, s20
.LBB25_4798:
	s_or_b32 exec_lo, exec_lo, s19
	s_delay_alu instid0(SALU_CYCLE_1)
	s_and_not1_b32 s19, s13, exec_lo
	s_and_b32 s18, s18, exec_lo
	s_and_not1_b32 s16, s16, exec_lo
	s_and_b32 s20, s17, exec_lo
	s_or_b32 s17, s19, s18
	s_or_b32 s16, s16, s20
.LBB25_4799:
	s_or_b32 exec_lo, exec_lo, s15
	s_delay_alu instid0(SALU_CYCLE_1)
	s_and_not1_b32 s13, s13, exec_lo
	s_and_b32 s15, s17, exec_lo
	s_and_not1_b32 s0, s0, exec_lo
	s_and_b32 s16, s16, exec_lo
	s_or_b32 s13, s13, s15
	s_or_b32 s0, s0, s16
.LBB25_4800:
	s_or_b32 exec_lo, exec_lo, s14
	s_delay_alu instid0(SALU_CYCLE_1)
	s_and_not1_b32 s14, s9, exec_lo
	s_and_b32 s13, s13, exec_lo
	s_and_b32 s0, s0, exec_lo
	s_or_b32 s13, s14, s13
                                        ; implicit-def: $vgpr3
                                        ; implicit-def: $vgpr118
                                        ; implicit-def: $vgpr1_vgpr2
	s_and_not1_saveexec_b32 s11, s11
	s_cbranch_execz .LBB25_3874
.LBB25_4801:
	s_mov_b32 s14, exec_lo
	v_cmpx_lt_i16_e32 4, v3
	s_xor_b32 s14, exec_lo, s14
	s_cbranch_execz .LBB25_4823
; %bb.4802:
	s_mov_b32 s15, exec_lo
	v_cmpx_lt_i16_e32 7, v3
	s_xor_b32 s15, exec_lo, s15
	s_cbranch_execz .LBB25_4812
; %bb.4803:
	;; [unrolled: 5-line block ×4, first 2 shown]
	v_cvt_f64_f32_e32 v[3:4], v118
	v_mov_b32_e32 v5, 0
                                        ; implicit-def: $vgpr118
	s_delay_alu instid0(VALU_DEP_1)
	v_mov_b32_e32 v6, v5
	flat_store_b128 v[1:2], v[3:6]
                                        ; implicit-def: $vgpr1_vgpr2
.LBB25_4806:
	s_and_not1_saveexec_b32 s17, s17
	s_cbranch_execz .LBB25_4808
; %bb.4807:
	v_mov_b32_e32 v119, 0
	flat_store_b64 v[1:2], v[118:119]
.LBB25_4808:
	s_or_b32 exec_lo, exec_lo, s17
                                        ; implicit-def: $vgpr118
                                        ; implicit-def: $vgpr1_vgpr2
.LBB25_4809:
	s_and_not1_saveexec_b32 s16, s16
	s_cbranch_execz .LBB25_4811
; %bb.4810:
	v_cvt_f16_f32_e32 v3, v118
	s_delay_alu instid0(VALU_DEP_1)
	v_and_b32_e32 v3, 0xffff, v3
	flat_store_b32 v[1:2], v3
.LBB25_4811:
	s_or_b32 exec_lo, exec_lo, s16
                                        ; implicit-def: $vgpr118
                                        ; implicit-def: $vgpr1_vgpr2
                                        ; implicit-def: $vgpr3
.LBB25_4812:
	s_and_not1_saveexec_b32 s15, s15
	s_cbranch_execz .LBB25_4822
; %bb.4813:
	s_mov_b32 s16, exec_lo
	v_cmpx_lt_i16_e32 5, v3
	s_xor_b32 s16, exec_lo, s16
	s_cbranch_execz .LBB25_4819
; %bb.4814:
	s_mov_b32 s17, exec_lo
	v_cmpx_lt_i16_e32 6, v3
	s_xor_b32 s17, exec_lo, s17
	s_cbranch_execz .LBB25_4816
; %bb.4815:
	v_cvt_f64_f32_e32 v[3:4], v118
                                        ; implicit-def: $vgpr118
	flat_store_b64 v[1:2], v[3:4]
                                        ; implicit-def: $vgpr1_vgpr2
.LBB25_4816:
	s_and_not1_saveexec_b32 s17, s17
	s_cbranch_execz .LBB25_4818
; %bb.4817:
	flat_store_b32 v[1:2], v118
.LBB25_4818:
	s_or_b32 exec_lo, exec_lo, s17
                                        ; implicit-def: $vgpr118
                                        ; implicit-def: $vgpr1_vgpr2
.LBB25_4819:
	s_and_not1_saveexec_b32 s16, s16
	s_cbranch_execz .LBB25_4821
; %bb.4820:
	v_cvt_f16_f32_e32 v3, v118
	flat_store_b16 v[1:2], v3
.LBB25_4821:
	s_or_b32 exec_lo, exec_lo, s16
.LBB25_4822:
	s_delay_alu instid0(SALU_CYCLE_1)
	s_or_b32 exec_lo, exec_lo, s15
                                        ; implicit-def: $vgpr3
                                        ; implicit-def: $vgpr118
                                        ; implicit-def: $vgpr1_vgpr2
.LBB25_4823:
	s_and_not1_saveexec_b32 s14, s14
	s_cbranch_execz .LBB25_4841
; %bb.4824:
	s_mov_b32 s15, exec_lo
	v_cmpx_lt_i16_e32 1, v3
	s_xor_b32 s15, exec_lo, s15
	s_cbranch_execz .LBB25_4834
; %bb.4825:
	s_mov_b32 s16, exec_lo
	v_cmpx_lt_i16_e32 2, v3
	s_xor_b32 s16, exec_lo, s16
	;; [unrolled: 5-line block ×3, first 2 shown]
	s_cbranch_execz .LBB25_4828
; %bb.4827:
	v_trunc_f32_e32 v3, v118
                                        ; implicit-def: $vgpr118
	s_delay_alu instid0(VALU_DEP_1) | instskip(SKIP_1) | instid1(VALU_DEP_2)
	v_mul_f32_e64 v4, 0x2f800000, |v3|
	v_ashrrev_i32_e32 v6, 31, v3
	v_floor_f32_e32 v4, v4
	s_delay_alu instid0(VALU_DEP_1) | instskip(SKIP_1) | instid1(VALU_DEP_2)
	v_fma_f32 v5, 0xcf800000, v4, |v3|
	v_cvt_u32_f32_e32 v4, v4
	v_cvt_u32_f32_e32 v3, v5
	s_delay_alu instid0(VALU_DEP_2) | instskip(NEXT) | instid1(VALU_DEP_2)
	v_xor_b32_e32 v4, v4, v6
	v_xor_b32_e32 v3, v3, v6
	s_delay_alu instid0(VALU_DEP_1) | instskip(NEXT) | instid1(VALU_DEP_3)
	v_sub_co_u32 v3, vcc_lo, v3, v6
	v_sub_co_ci_u32_e32 v4, vcc_lo, v4, v6, vcc_lo
	flat_store_b64 v[1:2], v[3:4]
                                        ; implicit-def: $vgpr1_vgpr2
.LBB25_4828:
	s_and_not1_saveexec_b32 s17, s17
	s_cbranch_execz .LBB25_4830
; %bb.4829:
	v_cvt_i32_f32_e32 v3, v118
	flat_store_b32 v[1:2], v3
.LBB25_4830:
	s_or_b32 exec_lo, exec_lo, s17
                                        ; implicit-def: $vgpr118
                                        ; implicit-def: $vgpr1_vgpr2
.LBB25_4831:
	s_and_not1_saveexec_b32 s16, s16
	s_cbranch_execz .LBB25_4833
; %bb.4832:
	v_cvt_i32_f32_e32 v3, v118
	flat_store_b16 v[1:2], v3
.LBB25_4833:
	s_or_b32 exec_lo, exec_lo, s16
                                        ; implicit-def: $vgpr118
                                        ; implicit-def: $vgpr1_vgpr2
                                        ; implicit-def: $vgpr3
.LBB25_4834:
	s_and_not1_saveexec_b32 s15, s15
	s_cbranch_execz .LBB25_4840
; %bb.4835:
	s_mov_b32 s16, exec_lo
	v_cmpx_lt_i16_e32 0, v3
	s_xor_b32 s16, exec_lo, s16
	s_cbranch_execz .LBB25_4837
; %bb.4836:
	v_cvt_i32_f32_e32 v3, v118
                                        ; implicit-def: $vgpr118
	flat_store_b8 v[1:2], v3
                                        ; implicit-def: $vgpr1_vgpr2
.LBB25_4837:
	s_and_not1_saveexec_b32 s16, s16
	s_cbranch_execz .LBB25_4839
; %bb.4838:
	v_trunc_f32_e32 v3, v118
	s_delay_alu instid0(VALU_DEP_1) | instskip(NEXT) | instid1(VALU_DEP_1)
	v_mul_f32_e64 v4, 0x2f800000, |v3|
	v_floor_f32_e32 v4, v4
	s_delay_alu instid0(VALU_DEP_1) | instskip(SKIP_1) | instid1(VALU_DEP_2)
	v_fma_f32 v4, 0xcf800000, v4, |v3|
	v_ashrrev_i32_e32 v3, 31, v3
	v_cvt_u32_f32_e32 v4, v4
	s_delay_alu instid0(VALU_DEP_1) | instskip(NEXT) | instid1(VALU_DEP_1)
	v_xor_b32_e32 v4, v4, v3
	v_sub_nc_u32_e32 v3, v4, v3
	flat_store_b8 v[1:2], v3
.LBB25_4839:
	s_or_b32 exec_lo, exec_lo, s16
.LBB25_4840:
	s_delay_alu instid0(SALU_CYCLE_1)
	s_or_b32 exec_lo, exec_lo, s15
.LBB25_4841:
	s_delay_alu instid0(SALU_CYCLE_1) | instskip(NEXT) | instid1(SALU_CYCLE_1)
	s_or_b32 exec_lo, exec_lo, s14
	s_or_b32 s0, s0, exec_lo
	s_or_b32 exec_lo, exec_lo, s11
	s_mov_b32 s14, 0
	s_and_saveexec_b32 s11, s0
	s_cbranch_execnz .LBB25_3875
	s_branch .LBB25_3876
.LBB25_4842:
	v_bfe_u32 v3, v132, 21, 1
	s_mov_b32 s10, exec_lo
	s_delay_alu instid0(VALU_DEP_1) | instskip(NEXT) | instid1(VALU_DEP_1)
	v_add3_u32 v3, v132, v3, 0x88fffff
	v_lshrrev_b32_e32 v3, 21, v3
	s_or_saveexec_b32 s11, s11
                                        ; implicit-def: $sgpr12
	s_delay_alu instid0(SALU_CYCLE_1)
	s_xor_b32 exec_lo, exec_lo, s11
	s_cbranch_execz .LBB25_3761
.LBB25_4843:
	v_add_f32_e64 v3, 0x42800000, |v132|
	s_and_not1_b32 s10, s10, exec_lo
	s_mov_b32 s12, 0
	s_delay_alu instid0(VALU_DEP_1) | instskip(NEXT) | instid1(VALU_DEP_1)
	v_and_b32_e32 v3, 0xff, v3
	v_cmp_ne_u32_e32 vcc_lo, 0, v3
	s_and_b32 s13, vcc_lo, exec_lo
	s_delay_alu instid0(SALU_CYCLE_1)
	s_or_b32 s10, s10, s13
	s_or_b32 exec_lo, exec_lo, s11
	v_mov_b32_e32 v4, s12
	s_and_saveexec_b32 s11, s10
	s_cbranch_execnz .LBB25_3762
	s_branch .LBB25_3763
.LBB25_4844:
	s_mov_b32 s15, s11
	s_mov_b32 s16, exec_lo
	v_cmpx_lt_i16_e32 25, v3
	s_xor_b32 s16, exec_lo, s16
	s_cbranch_execz .LBB25_4880
; %bb.4845:
	s_mov_b32 s17, s11
	s_mov_b32 s15, exec_lo
	v_cmpx_lt_i16_e32 28, v3
	s_xor_b32 s15, exec_lo, s15
	s_cbranch_execz .LBB25_4863
; %bb.4846:
	;; [unrolled: 6-line block ×3, first 2 shown]
	s_mov_b32 s18, 0
	s_mov_b32 s19, s11
	s_mov_b32 s0, exec_lo
	v_cmpx_lt_i16_e32 45, v3
	s_xor_b32 s0, exec_lo, s0
	s_cbranch_execz .LBB25_4851
; %bb.4848:
	s_mov_b32 s20, -1
	s_mov_b32 s19, exec_lo
	v_cmpx_eq_u16_e32 46, v3
	s_cbranch_execz .LBB25_4850
; %bb.4849:
	v_bfe_u32 v3, v117, 16, 1
	v_cmp_o_f32_e32 vcc_lo, v117, v117
	s_mov_b32 s18, exec_lo
	s_xor_b32 s20, exec_lo, -1
	s_delay_alu instid0(VALU_DEP_2) | instskip(NEXT) | instid1(VALU_DEP_1)
	v_add3_u32 v3, v117, v3, 0x7fff
	v_lshrrev_b32_e32 v3, 16, v3
	s_delay_alu instid0(VALU_DEP_1)
	v_cndmask_b32_e32 v3, 0x7fc0, v3, vcc_lo
	flat_store_b32 v[1:2], v3
.LBB25_4850:
	s_or_b32 exec_lo, exec_lo, s19
	s_delay_alu instid0(SALU_CYCLE_1)
	s_and_not1_b32 s19, s11, exec_lo
	s_and_b32 s20, s20, exec_lo
	s_and_b32 s18, s18, exec_lo
	s_or_b32 s19, s19, s20
                                        ; implicit-def: $vgpr3
                                        ; implicit-def: $vgpr1_vgpr2
                                        ; implicit-def: $vgpr117
.LBB25_4851:
	s_and_not1_saveexec_b32 s20, s0
	s_cbranch_execz .LBB25_4857
; %bb.4852:
	s_mov_b32 s22, -1
	s_mov_b32 s0, s18
	s_mov_b32 s21, exec_lo
	v_cmpx_eq_u16_e32 44, v3
	s_cbranch_execz .LBB25_4856
; %bb.4853:
	v_bfe_u32 v4, v117, 23, 8
	v_mov_b32_e32 v3, 0xff
	s_mov_b32 s22, exec_lo
	s_delay_alu instid0(VALU_DEP_2)
	v_cmpx_ne_u32_e32 0xff, v4
; %bb.4854:
	v_and_b32_e32 v3, 0x400000, v117
	v_and_or_b32 v4, 0x3fffff, v117, v4
	s_delay_alu instid0(VALU_DEP_2) | instskip(NEXT) | instid1(VALU_DEP_2)
	v_cmp_ne_u32_e32 vcc_lo, 0, v3
	v_cmp_ne_u32_e64 s0, 0, v4
	v_lshrrev_b32_e32 v3, 23, v117
	s_delay_alu instid0(VALU_DEP_2) | instskip(NEXT) | instid1(SALU_CYCLE_1)
	s_and_b32 s0, vcc_lo, s0
	v_cndmask_b32_e64 v4, 0, 1, s0
	s_delay_alu instid0(VALU_DEP_1)
	v_add_nc_u32_e32 v3, v3, v4
; %bb.4855:
	s_or_b32 exec_lo, exec_lo, s22
	s_delay_alu instid0(SALU_CYCLE_1)
	s_xor_b32 s22, exec_lo, -1
	s_or_b32 s0, s18, exec_lo
	flat_store_b8 v[1:2], v3
.LBB25_4856:
	s_or_b32 exec_lo, exec_lo, s21
	s_delay_alu instid0(SALU_CYCLE_1)
	s_and_not1_b32 s19, s19, exec_lo
	s_and_b32 s21, s22, exec_lo
	s_and_not1_b32 s18, s18, exec_lo
	s_and_b32 s0, s0, exec_lo
	s_or_b32 s19, s19, s21
	s_or_b32 s18, s18, s0
.LBB25_4857:
	s_or_b32 exec_lo, exec_lo, s20
	s_delay_alu instid0(SALU_CYCLE_1) | instskip(SKIP_1) | instid1(SALU_CYCLE_1)
	s_and_not1_b32 s0, s11, exec_lo
	s_and_b32 s19, s19, exec_lo
                                        ; implicit-def: $vgpr3
                                        ; implicit-def: $vgpr117
                                        ; implicit-def: $vgpr1_vgpr2
	s_or_b32 s19, s0, s19
	s_and_b32 s0, s18, exec_lo
.LBB25_4858:
	s_and_not1_saveexec_b32 s17, s17
	s_cbranch_execz .LBB25_4862
; %bb.4859:
	s_mov_b32 s21, -1
	s_mov_b32 s20, s0
	s_mov_b32 s18, exec_lo
	v_cmpx_eq_u16_e32 29, v3
	s_cbranch_execz .LBB25_4861
; %bb.4860:
	v_trunc_f32_e32 v3, v117
	s_xor_b32 s21, exec_lo, -1
	s_or_b32 s20, s0, exec_lo
	s_delay_alu instid0(VALU_DEP_1) | instskip(NEXT) | instid1(VALU_DEP_1)
	v_mul_f32_e32 v4, 0x2f800000, v3
	v_floor_f32_e32 v4, v4
	s_delay_alu instid0(VALU_DEP_1) | instskip(SKIP_1) | instid1(VALU_DEP_2)
	v_fmamk_f32 v3, v4, 0xcf800000, v3
	v_cvt_u32_f32_e32 v4, v4
	v_cvt_u32_f32_e32 v3, v3
	flat_store_b64 v[1:2], v[3:4]
.LBB25_4861:
	s_or_b32 exec_lo, exec_lo, s18
	s_delay_alu instid0(SALU_CYCLE_1)
	s_and_not1_b32 s18, s19, exec_lo
	s_and_b32 s19, s21, exec_lo
	s_and_not1_b32 s0, s0, exec_lo
	s_and_b32 s20, s20, exec_lo
	s_or_b32 s19, s18, s19
	s_or_b32 s0, s0, s20
.LBB25_4862:
	s_or_b32 exec_lo, exec_lo, s17
	s_delay_alu instid0(SALU_CYCLE_1)
	s_and_not1_b32 s17, s11, exec_lo
	s_and_b32 s18, s19, exec_lo
	s_and_b32 s0, s0, exec_lo
	s_or_b32 s17, s17, s18
                                        ; implicit-def: $vgpr1_vgpr2
                                        ; implicit-def: $vgpr3
                                        ; implicit-def: $vgpr117
.LBB25_4863:
	s_and_not1_saveexec_b32 s15, s15
	s_cbranch_execz .LBB25_4879
; %bb.4864:
	s_mov_b32 s18, exec_lo
	v_cmpx_lt_i16_e32 26, v3
	s_xor_b32 s18, exec_lo, s18
	s_cbranch_execz .LBB25_4870
; %bb.4865:
	s_mov_b32 s19, exec_lo
	v_cmpx_lt_i16_e32 27, v3
	s_xor_b32 s19, exec_lo, s19
	s_cbranch_execz .LBB25_4867
; %bb.4866:
	v_cvt_u32_f32_e32 v3, v117
                                        ; implicit-def: $vgpr117
	flat_store_b32 v[1:2], v3
                                        ; implicit-def: $vgpr1_vgpr2
.LBB25_4867:
	s_and_not1_saveexec_b32 s19, s19
	s_cbranch_execz .LBB25_4869
; %bb.4868:
	v_cvt_u32_f32_e32 v3, v117
	flat_store_b16 v[1:2], v3
.LBB25_4869:
	s_or_b32 exec_lo, exec_lo, s19
                                        ; implicit-def: $vgpr1_vgpr2
                                        ; implicit-def: $vgpr117
.LBB25_4870:
	s_and_not1_saveexec_b32 s18, s18
	s_cbranch_execz .LBB25_4878
; %bb.4871:
	v_and_b32_e32 v3, 0x7fffffff, v117
	v_mov_b32_e32 v4, 0x80
	s_mov_b32 s19, exec_lo
	s_delay_alu instid0(VALU_DEP_2)
	v_cmpx_gt_u32_e32 0x43800000, v3
	s_cbranch_execz .LBB25_4877
; %bb.4872:
	v_cmp_lt_u32_e32 vcc_lo, 0x3bffffff, v3
	s_mov_b32 s20, 0
                                        ; implicit-def: $vgpr3
	s_and_saveexec_b32 s21, vcc_lo
	s_delay_alu instid0(SALU_CYCLE_1)
	s_xor_b32 s21, exec_lo, s21
	s_cbranch_execnz .LBB25_5596
; %bb.4873:
	s_or_saveexec_b32 s21, s21
                                        ; implicit-def: $sgpr22
	s_delay_alu instid0(SALU_CYCLE_1)
	s_xor_b32 exec_lo, exec_lo, s21
	s_cbranch_execnz .LBB25_5597
.LBB25_4874:
	s_or_b32 exec_lo, exec_lo, s21
	v_mov_b32_e32 v4, s22
	s_and_saveexec_b32 s21, s20
.LBB25_4875:
	v_lshrrev_b32_e32 v4, 24, v117
	s_delay_alu instid0(VALU_DEP_1)
	v_and_or_b32 v4, 0x80, v4, v3
.LBB25_4876:
	s_or_b32 exec_lo, exec_lo, s21
.LBB25_4877:
	s_delay_alu instid0(SALU_CYCLE_1)
	s_or_b32 exec_lo, exec_lo, s19
	flat_store_b8 v[1:2], v4
.LBB25_4878:
	s_or_b32 exec_lo, exec_lo, s18
	s_delay_alu instid0(SALU_CYCLE_1)
	s_or_b32 s0, s0, exec_lo
.LBB25_4879:
	s_or_b32 exec_lo, exec_lo, s15
	s_delay_alu instid0(SALU_CYCLE_1)
	s_and_not1_b32 s15, s11, exec_lo
	s_and_b32 s17, s17, exec_lo
	s_and_b32 s0, s0, exec_lo
	s_or_b32 s15, s15, s17
                                        ; implicit-def: $vgpr3
                                        ; implicit-def: $vgpr117
                                        ; implicit-def: $vgpr1_vgpr2
.LBB25_4880:
	s_and_not1_saveexec_b32 s16, s16
	s_cbranch_execz .LBB25_4924
; %bb.4881:
	s_mov_b32 s18, s0
	s_mov_b32 s17, exec_lo
	v_cmpx_lt_i16_e32 22, v3
	s_xor_b32 s17, exec_lo, s17
	s_cbranch_execz .LBB25_4913
; %bb.4882:
	s_mov_b32 s18, exec_lo
	v_cmpx_lt_i16_e32 23, v3
	s_xor_b32 s18, exec_lo, s18
	s_cbranch_execz .LBB25_4902
; %bb.4883:
	;; [unrolled: 5-line block ×3, first 2 shown]
	v_and_b32_e32 v3, 0x7fffffff, v117
	v_mov_b32_e32 v4, 0x80
	s_mov_b32 s20, exec_lo
	s_delay_alu instid0(VALU_DEP_2)
	v_cmpx_gt_u32_e32 0x47800000, v3
	s_cbranch_execz .LBB25_4890
; %bb.4885:
	v_cmp_lt_u32_e32 vcc_lo, 0x37ffffff, v3
	s_mov_b32 s21, 0
                                        ; implicit-def: $vgpr3
	s_and_saveexec_b32 s22, vcc_lo
	s_delay_alu instid0(SALU_CYCLE_1)
	s_xor_b32 s22, exec_lo, s22
	s_cbranch_execnz .LBB25_5720
; %bb.4886:
	s_or_saveexec_b32 s22, s22
                                        ; implicit-def: $sgpr23
	s_delay_alu instid0(SALU_CYCLE_1)
	s_xor_b32 exec_lo, exec_lo, s22
	s_cbranch_execnz .LBB25_5721
.LBB25_4887:
	s_or_b32 exec_lo, exec_lo, s22
	v_mov_b32_e32 v4, s23
	s_and_saveexec_b32 s22, s21
.LBB25_4888:
	v_lshrrev_b32_e32 v4, 24, v117
	s_delay_alu instid0(VALU_DEP_1)
	v_and_or_b32 v4, 0x80, v4, v3
.LBB25_4889:
	s_or_b32 exec_lo, exec_lo, s22
.LBB25_4890:
	s_delay_alu instid0(SALU_CYCLE_1)
	s_or_b32 exec_lo, exec_lo, s20
	flat_store_b8 v[1:2], v4
                                        ; implicit-def: $vgpr117
                                        ; implicit-def: $vgpr1_vgpr2
.LBB25_4891:
	s_and_not1_saveexec_b32 s19, s19
	s_cbranch_execz .LBB25_4901
; %bb.4892:
	v_and_b32_e32 v4, 0x7fffffff, v117
	s_mov_b32 s20, exec_lo
                                        ; implicit-def: $vgpr3
	s_delay_alu instid0(VALU_DEP_1)
	v_cmpx_gt_u32_e32 0x43f00000, v4
	s_xor_b32 s20, exec_lo, s20
	s_cbranch_execz .LBB25_4898
; %bb.4893:
	s_mov_b32 s21, exec_lo
                                        ; implicit-def: $vgpr3
	v_cmpx_lt_u32_e32 0x3c7fffff, v4
	s_xor_b32 s21, exec_lo, s21
; %bb.4894:
	v_bfe_u32 v3, v117, 20, 1
	s_delay_alu instid0(VALU_DEP_1) | instskip(NEXT) | instid1(VALU_DEP_1)
	v_add3_u32 v3, v117, v3, 0x407ffff
	v_and_b32_e32 v4, 0xff00000, v3
	v_lshrrev_b32_e32 v3, 20, v3
	s_delay_alu instid0(VALU_DEP_2) | instskip(NEXT) | instid1(VALU_DEP_2)
	v_cmp_ne_u32_e32 vcc_lo, 0x7f00000, v4
	v_cndmask_b32_e32 v3, 0x7e, v3, vcc_lo
; %bb.4895:
	s_and_not1_saveexec_b32 s21, s21
; %bb.4896:
	v_add_f32_e64 v3, 0x46800000, |v117|
; %bb.4897:
	s_or_b32 exec_lo, exec_lo, s21
                                        ; implicit-def: $vgpr4
.LBB25_4898:
	s_and_not1_saveexec_b32 s20, s20
; %bb.4899:
	v_mov_b32_e32 v3, 0x7f
	v_cmp_lt_u32_e32 vcc_lo, 0x7f800000, v4
	s_delay_alu instid0(VALU_DEP_2)
	v_cndmask_b32_e32 v3, 0x7e, v3, vcc_lo
; %bb.4900:
	s_or_b32 exec_lo, exec_lo, s20
	v_lshrrev_b32_e32 v4, 24, v117
	s_delay_alu instid0(VALU_DEP_1)
	v_and_or_b32 v3, 0x80, v4, v3
	flat_store_b8 v[1:2], v3
.LBB25_4901:
	s_or_b32 exec_lo, exec_lo, s19
                                        ; implicit-def: $vgpr117
                                        ; implicit-def: $vgpr1_vgpr2
.LBB25_4902:
	s_and_not1_saveexec_b32 s18, s18
	s_cbranch_execz .LBB25_4912
; %bb.4903:
	v_and_b32_e32 v4, 0x7fffffff, v117
	s_mov_b32 s19, exec_lo
                                        ; implicit-def: $vgpr3
	s_delay_alu instid0(VALU_DEP_1)
	v_cmpx_gt_u32_e32 0x47800000, v4
	s_xor_b32 s19, exec_lo, s19
	s_cbranch_execz .LBB25_4909
; %bb.4904:
	s_mov_b32 s20, exec_lo
                                        ; implicit-def: $vgpr3
	v_cmpx_lt_u32_e32 0x387fffff, v4
	s_xor_b32 s20, exec_lo, s20
; %bb.4905:
	v_bfe_u32 v3, v117, 21, 1
	s_delay_alu instid0(VALU_DEP_1) | instskip(NEXT) | instid1(VALU_DEP_1)
	v_add3_u32 v3, v117, v3, 0x80fffff
	v_lshrrev_b32_e32 v3, 21, v3
; %bb.4906:
	s_and_not1_saveexec_b32 s20, s20
; %bb.4907:
	v_add_f32_e64 v3, 0x43000000, |v117|
; %bb.4908:
	s_or_b32 exec_lo, exec_lo, s20
                                        ; implicit-def: $vgpr4
.LBB25_4909:
	s_and_not1_saveexec_b32 s19, s19
; %bb.4910:
	v_mov_b32_e32 v3, 0x7f
	v_cmp_lt_u32_e32 vcc_lo, 0x7f800000, v4
	s_delay_alu instid0(VALU_DEP_2)
	v_cndmask_b32_e32 v3, 0x7c, v3, vcc_lo
; %bb.4911:
	s_or_b32 exec_lo, exec_lo, s19
	v_lshrrev_b32_e32 v4, 24, v117
	s_delay_alu instid0(VALU_DEP_1)
	v_and_or_b32 v3, 0x80, v4, v3
	flat_store_b8 v[1:2], v3
.LBB25_4912:
	s_or_b32 exec_lo, exec_lo, s18
	s_delay_alu instid0(SALU_CYCLE_1)
	s_or_b32 s18, s0, exec_lo
                                        ; implicit-def: $vgpr3
                                        ; implicit-def: $vgpr117
                                        ; implicit-def: $vgpr1_vgpr2
.LBB25_4913:
	s_or_saveexec_b32 s17, s17
	s_mov_b32 s19, s15
	s_xor_b32 exec_lo, exec_lo, s17
	s_cbranch_execz .LBB25_4923
; %bb.4914:
	s_mov_b32 s19, s18
	s_mov_b32 s20, s15
	s_mov_b32 s21, exec_lo
	v_cmpx_lt_i16_e32 14, v3
	s_xor_b32 s21, exec_lo, s21
	s_cbranch_execz .LBB25_4918
; %bb.4915:
	s_mov_b32 s22, -1
	s_mov_b32 s19, s18
	s_mov_b32 s20, exec_lo
	v_cmpx_eq_u16_e32 15, v3
	s_cbranch_execz .LBB25_4917
; %bb.4916:
	v_bfe_u32 v3, v117, 16, 1
	v_cmp_o_f32_e32 vcc_lo, v117, v117
	s_xor_b32 s22, exec_lo, -1
	s_or_b32 s19, s18, exec_lo
	s_delay_alu instid0(VALU_DEP_2) | instskip(NEXT) | instid1(VALU_DEP_1)
	v_add3_u32 v3, v117, v3, 0x7fff
	v_lshrrev_b32_e32 v3, 16, v3
	s_delay_alu instid0(VALU_DEP_1)
	v_cndmask_b32_e32 v3, 0x7fc0, v3, vcc_lo
	flat_store_b16 v[1:2], v3
.LBB25_4917:
	s_or_b32 exec_lo, exec_lo, s20
	s_delay_alu instid0(SALU_CYCLE_1)
	s_and_not1_b32 s20, s15, exec_lo
	s_and_b32 s22, s22, exec_lo
	s_and_not1_b32 s23, s18, exec_lo
	s_and_b32 s19, s19, exec_lo
	s_or_b32 s20, s20, s22
	s_or_b32 s19, s23, s19
                                        ; implicit-def: $vgpr3
                                        ; implicit-def: $vgpr117
                                        ; implicit-def: $vgpr1_vgpr2
.LBB25_4918:
	s_and_not1_saveexec_b32 s21, s21
	s_cbranch_execz .LBB25_4922
; %bb.4919:
	s_mov_b32 s23, -1
	s_mov_b32 s22, s19
	s_mov_b32 s24, exec_lo
	v_cmpx_eq_u16_e32 11, v3
	s_cbranch_execz .LBB25_4921
; %bb.4920:
	v_cmp_neq_f32_e32 vcc_lo, 0, v117
	s_xor_b32 s23, exec_lo, -1
	s_or_b32 s22, s19, exec_lo
	v_cndmask_b32_e64 v3, 0, 1, vcc_lo
	flat_store_b8 v[1:2], v3
.LBB25_4921:
	s_or_b32 exec_lo, exec_lo, s24
	s_delay_alu instid0(SALU_CYCLE_1)
	s_and_not1_b32 s20, s20, exec_lo
	s_and_b32 s23, s23, exec_lo
	s_and_not1_b32 s19, s19, exec_lo
	s_and_b32 s22, s22, exec_lo
	s_or_b32 s20, s20, s23
	s_or_b32 s19, s19, s22
.LBB25_4922:
	s_or_b32 exec_lo, exec_lo, s21
	s_delay_alu instid0(SALU_CYCLE_1)
	s_and_not1_b32 s21, s15, exec_lo
	s_and_b32 s20, s20, exec_lo
	s_and_not1_b32 s18, s18, exec_lo
	s_and_b32 s22, s19, exec_lo
	s_or_b32 s19, s21, s20
	s_or_b32 s18, s18, s22
.LBB25_4923:
	s_or_b32 exec_lo, exec_lo, s17
	s_delay_alu instid0(SALU_CYCLE_1)
	s_and_not1_b32 s15, s15, exec_lo
	s_and_b32 s17, s19, exec_lo
	s_and_not1_b32 s0, s0, exec_lo
	s_and_b32 s18, s18, exec_lo
	s_or_b32 s15, s15, s17
	s_or_b32 s0, s0, s18
.LBB25_4924:
	s_or_b32 exec_lo, exec_lo, s16
	s_delay_alu instid0(SALU_CYCLE_1)
	s_and_not1_b32 s16, s11, exec_lo
	s_and_b32 s15, s15, exec_lo
	s_and_b32 s0, s0, exec_lo
	s_or_b32 s15, s16, s15
                                        ; implicit-def: $vgpr3
                                        ; implicit-def: $vgpr117
                                        ; implicit-def: $vgpr1_vgpr2
	s_and_not1_saveexec_b32 s13, s13
	s_cbranch_execz .LBB25_3881
.LBB25_4925:
	s_mov_b32 s16, exec_lo
	v_cmpx_lt_i16_e32 4, v3
	s_xor_b32 s16, exec_lo, s16
	s_cbranch_execz .LBB25_4947
; %bb.4926:
	s_mov_b32 s17, exec_lo
	v_cmpx_lt_i16_e32 7, v3
	s_xor_b32 s17, exec_lo, s17
	s_cbranch_execz .LBB25_4936
; %bb.4927:
	;; [unrolled: 5-line block ×4, first 2 shown]
	v_cvt_f64_f32_e32 v[3:4], v117
	v_mov_b32_e32 v5, 0
                                        ; implicit-def: $vgpr117
	s_delay_alu instid0(VALU_DEP_1)
	v_mov_b32_e32 v6, v5
	flat_store_b128 v[1:2], v[3:6]
                                        ; implicit-def: $vgpr1_vgpr2
.LBB25_4930:
	s_and_not1_saveexec_b32 s19, s19
	s_cbranch_execz .LBB25_4932
; %bb.4931:
	v_mov_b32_e32 v118, 0
	flat_store_b64 v[1:2], v[117:118]
.LBB25_4932:
	s_or_b32 exec_lo, exec_lo, s19
                                        ; implicit-def: $vgpr117
                                        ; implicit-def: $vgpr1_vgpr2
.LBB25_4933:
	s_and_not1_saveexec_b32 s18, s18
	s_cbranch_execz .LBB25_4935
; %bb.4934:
	v_cvt_f16_f32_e32 v3, v117
	s_delay_alu instid0(VALU_DEP_1)
	v_and_b32_e32 v3, 0xffff, v3
	flat_store_b32 v[1:2], v3
.LBB25_4935:
	s_or_b32 exec_lo, exec_lo, s18
                                        ; implicit-def: $vgpr117
                                        ; implicit-def: $vgpr1_vgpr2
                                        ; implicit-def: $vgpr3
.LBB25_4936:
	s_and_not1_saveexec_b32 s17, s17
	s_cbranch_execz .LBB25_4946
; %bb.4937:
	s_mov_b32 s18, exec_lo
	v_cmpx_lt_i16_e32 5, v3
	s_xor_b32 s18, exec_lo, s18
	s_cbranch_execz .LBB25_4943
; %bb.4938:
	s_mov_b32 s19, exec_lo
	v_cmpx_lt_i16_e32 6, v3
	s_xor_b32 s19, exec_lo, s19
	s_cbranch_execz .LBB25_4940
; %bb.4939:
	v_cvt_f64_f32_e32 v[3:4], v117
                                        ; implicit-def: $vgpr117
	flat_store_b64 v[1:2], v[3:4]
                                        ; implicit-def: $vgpr1_vgpr2
.LBB25_4940:
	s_and_not1_saveexec_b32 s19, s19
	s_cbranch_execz .LBB25_4942
; %bb.4941:
	flat_store_b32 v[1:2], v117
.LBB25_4942:
	s_or_b32 exec_lo, exec_lo, s19
                                        ; implicit-def: $vgpr117
                                        ; implicit-def: $vgpr1_vgpr2
.LBB25_4943:
	s_and_not1_saveexec_b32 s18, s18
	s_cbranch_execz .LBB25_4945
; %bb.4944:
	v_cvt_f16_f32_e32 v3, v117
	flat_store_b16 v[1:2], v3
.LBB25_4945:
	s_or_b32 exec_lo, exec_lo, s18
.LBB25_4946:
	s_delay_alu instid0(SALU_CYCLE_1)
	s_or_b32 exec_lo, exec_lo, s17
                                        ; implicit-def: $vgpr3
                                        ; implicit-def: $vgpr117
                                        ; implicit-def: $vgpr1_vgpr2
.LBB25_4947:
	s_and_not1_saveexec_b32 s16, s16
	s_cbranch_execz .LBB25_4965
; %bb.4948:
	s_mov_b32 s17, exec_lo
	v_cmpx_lt_i16_e32 1, v3
	s_xor_b32 s17, exec_lo, s17
	s_cbranch_execz .LBB25_4958
; %bb.4949:
	s_mov_b32 s18, exec_lo
	v_cmpx_lt_i16_e32 2, v3
	s_xor_b32 s18, exec_lo, s18
	;; [unrolled: 5-line block ×3, first 2 shown]
	s_cbranch_execz .LBB25_4952
; %bb.4951:
	v_trunc_f32_e32 v3, v117
                                        ; implicit-def: $vgpr117
	s_delay_alu instid0(VALU_DEP_1) | instskip(SKIP_1) | instid1(VALU_DEP_2)
	v_mul_f32_e64 v4, 0x2f800000, |v3|
	v_ashrrev_i32_e32 v6, 31, v3
	v_floor_f32_e32 v4, v4
	s_delay_alu instid0(VALU_DEP_1) | instskip(SKIP_1) | instid1(VALU_DEP_2)
	v_fma_f32 v5, 0xcf800000, v4, |v3|
	v_cvt_u32_f32_e32 v4, v4
	v_cvt_u32_f32_e32 v3, v5
	s_delay_alu instid0(VALU_DEP_2) | instskip(NEXT) | instid1(VALU_DEP_2)
	v_xor_b32_e32 v4, v4, v6
	v_xor_b32_e32 v3, v3, v6
	s_delay_alu instid0(VALU_DEP_1) | instskip(NEXT) | instid1(VALU_DEP_3)
	v_sub_co_u32 v3, vcc_lo, v3, v6
	v_sub_co_ci_u32_e32 v4, vcc_lo, v4, v6, vcc_lo
	flat_store_b64 v[1:2], v[3:4]
                                        ; implicit-def: $vgpr1_vgpr2
.LBB25_4952:
	s_and_not1_saveexec_b32 s19, s19
	s_cbranch_execz .LBB25_4954
; %bb.4953:
	v_cvt_i32_f32_e32 v3, v117
	flat_store_b32 v[1:2], v3
.LBB25_4954:
	s_or_b32 exec_lo, exec_lo, s19
                                        ; implicit-def: $vgpr117
                                        ; implicit-def: $vgpr1_vgpr2
.LBB25_4955:
	s_and_not1_saveexec_b32 s18, s18
	s_cbranch_execz .LBB25_4957
; %bb.4956:
	v_cvt_i32_f32_e32 v3, v117
	flat_store_b16 v[1:2], v3
.LBB25_4957:
	s_or_b32 exec_lo, exec_lo, s18
                                        ; implicit-def: $vgpr117
                                        ; implicit-def: $vgpr1_vgpr2
                                        ; implicit-def: $vgpr3
.LBB25_4958:
	s_and_not1_saveexec_b32 s17, s17
	s_cbranch_execz .LBB25_4964
; %bb.4959:
	s_mov_b32 s18, exec_lo
	v_cmpx_lt_i16_e32 0, v3
	s_xor_b32 s18, exec_lo, s18
	s_cbranch_execz .LBB25_4961
; %bb.4960:
	v_cvt_i32_f32_e32 v3, v117
                                        ; implicit-def: $vgpr117
	flat_store_b8 v[1:2], v3
                                        ; implicit-def: $vgpr1_vgpr2
.LBB25_4961:
	s_and_not1_saveexec_b32 s18, s18
	s_cbranch_execz .LBB25_4963
; %bb.4962:
	v_trunc_f32_e32 v3, v117
	s_delay_alu instid0(VALU_DEP_1) | instskip(NEXT) | instid1(VALU_DEP_1)
	v_mul_f32_e64 v4, 0x2f800000, |v3|
	v_floor_f32_e32 v4, v4
	s_delay_alu instid0(VALU_DEP_1) | instskip(SKIP_1) | instid1(VALU_DEP_2)
	v_fma_f32 v4, 0xcf800000, v4, |v3|
	v_ashrrev_i32_e32 v3, 31, v3
	v_cvt_u32_f32_e32 v4, v4
	s_delay_alu instid0(VALU_DEP_1) | instskip(NEXT) | instid1(VALU_DEP_1)
	v_xor_b32_e32 v4, v4, v3
	v_sub_nc_u32_e32 v3, v4, v3
	flat_store_b8 v[1:2], v3
.LBB25_4963:
	s_or_b32 exec_lo, exec_lo, s18
.LBB25_4964:
	s_delay_alu instid0(SALU_CYCLE_1)
	s_or_b32 exec_lo, exec_lo, s17
.LBB25_4965:
	s_delay_alu instid0(SALU_CYCLE_1) | instskip(NEXT) | instid1(SALU_CYCLE_1)
	s_or_b32 exec_lo, exec_lo, s16
	s_or_b32 s0, s0, exec_lo
	s_or_b32 exec_lo, exec_lo, s13
	s_mov_b32 s16, 0
	s_and_saveexec_b32 s13, s0
	s_cbranch_execnz .LBB25_3882
	s_branch .LBB25_3883
.LBB25_4966:
	v_bfe_u32 v3, v131, 20, 1
	s_mov_b32 s10, exec_lo
	s_delay_alu instid0(VALU_DEP_1) | instskip(NEXT) | instid1(VALU_DEP_1)
	v_add3_u32 v3, v131, v3, 0x487ffff
	v_lshrrev_b32_e32 v3, 20, v3
	s_or_saveexec_b32 s11, s11
                                        ; implicit-def: $sgpr12
	s_delay_alu instid0(SALU_CYCLE_1)
	s_xor_b32 exec_lo, exec_lo, s11
	s_cbranch_execz .LBB25_4250
.LBB25_4967:
	v_add_f32_e64 v3, 0x46000000, |v131|
	s_and_not1_b32 s10, s10, exec_lo
	s_mov_b32 s12, 0
	s_delay_alu instid0(VALU_DEP_1) | instskip(NEXT) | instid1(VALU_DEP_1)
	v_and_b32_e32 v3, 0xff, v3
	v_cmp_ne_u32_e32 vcc_lo, 0, v3
	s_and_b32 s13, vcc_lo, exec_lo
	s_delay_alu instid0(SALU_CYCLE_1)
	s_or_b32 s10, s10, s13
	s_or_b32 exec_lo, exec_lo, s11
	v_mov_b32_e32 v4, s12
	s_and_saveexec_b32 s11, s10
	s_cbranch_execnz .LBB25_4251
	s_branch .LBB25_4252
.LBB25_4968:
	s_mov_b32 s17, s13
	s_mov_b32 s18, exec_lo
	v_cmpx_lt_i16_e32 25, v3
	s_xor_b32 s18, exec_lo, s18
	s_cbranch_execz .LBB25_5004
; %bb.4969:
	s_mov_b32 s19, s13
	s_mov_b32 s17, exec_lo
	v_cmpx_lt_i16_e32 28, v3
	s_xor_b32 s17, exec_lo, s17
	s_cbranch_execz .LBB25_4987
; %bb.4970:
	s_mov_b32 s21, s13
	s_mov_b32 s19, exec_lo
	v_cmpx_lt_i16_e32 43, v3
	s_xor_b32 s19, exec_lo, s19
	s_cbranch_execz .LBB25_4982
; %bb.4971:
	s_mov_b32 s20, 0
	s_mov_b32 s21, s13
	s_mov_b32 s0, exec_lo
	v_cmpx_lt_i16_e32 45, v3
	s_xor_b32 s0, exec_lo, s0
	s_cbranch_execz .LBB25_4975
; %bb.4972:
	s_mov_b32 s22, -1
	s_mov_b32 s21, exec_lo
	v_cmpx_eq_u16_e32 46, v3
	s_cbranch_execz .LBB25_4974
; %bb.4973:
	v_bfe_u32 v3, v116, 16, 1
	v_cmp_o_f32_e32 vcc_lo, v116, v116
	s_mov_b32 s20, exec_lo
	s_xor_b32 s22, exec_lo, -1
	s_delay_alu instid0(VALU_DEP_2) | instskip(NEXT) | instid1(VALU_DEP_1)
	v_add3_u32 v3, v116, v3, 0x7fff
	v_lshrrev_b32_e32 v3, 16, v3
	s_delay_alu instid0(VALU_DEP_1)
	v_cndmask_b32_e32 v3, 0x7fc0, v3, vcc_lo
	flat_store_b32 v[1:2], v3
.LBB25_4974:
	s_or_b32 exec_lo, exec_lo, s21
	s_delay_alu instid0(SALU_CYCLE_1)
	s_and_not1_b32 s21, s13, exec_lo
	s_and_b32 s22, s22, exec_lo
	s_and_b32 s20, s20, exec_lo
	s_or_b32 s21, s21, s22
                                        ; implicit-def: $vgpr3
                                        ; implicit-def: $vgpr1_vgpr2
                                        ; implicit-def: $vgpr116
.LBB25_4975:
	s_and_not1_saveexec_b32 s22, s0
	s_cbranch_execz .LBB25_4981
; %bb.4976:
	s_mov_b32 s24, -1
	s_mov_b32 s0, s20
	s_mov_b32 s23, exec_lo
	v_cmpx_eq_u16_e32 44, v3
	s_cbranch_execz .LBB25_4980
; %bb.4977:
	v_bfe_u32 v4, v116, 23, 8
	v_mov_b32_e32 v3, 0xff
	s_mov_b32 s24, exec_lo
	s_delay_alu instid0(VALU_DEP_2)
	v_cmpx_ne_u32_e32 0xff, v4
; %bb.4978:
	v_and_b32_e32 v3, 0x400000, v116
	v_and_or_b32 v4, 0x3fffff, v116, v4
	s_delay_alu instid0(VALU_DEP_2) | instskip(NEXT) | instid1(VALU_DEP_2)
	v_cmp_ne_u32_e32 vcc_lo, 0, v3
	v_cmp_ne_u32_e64 s0, 0, v4
	v_lshrrev_b32_e32 v3, 23, v116
	s_delay_alu instid0(VALU_DEP_2) | instskip(NEXT) | instid1(SALU_CYCLE_1)
	s_and_b32 s0, vcc_lo, s0
	v_cndmask_b32_e64 v4, 0, 1, s0
	s_delay_alu instid0(VALU_DEP_1)
	v_add_nc_u32_e32 v3, v3, v4
; %bb.4979:
	s_or_b32 exec_lo, exec_lo, s24
	s_delay_alu instid0(SALU_CYCLE_1)
	s_xor_b32 s24, exec_lo, -1
	s_or_b32 s0, s20, exec_lo
	flat_store_b8 v[1:2], v3
.LBB25_4980:
	s_or_b32 exec_lo, exec_lo, s23
	s_delay_alu instid0(SALU_CYCLE_1)
	s_and_not1_b32 s21, s21, exec_lo
	s_and_b32 s23, s24, exec_lo
	s_and_not1_b32 s20, s20, exec_lo
	s_and_b32 s0, s0, exec_lo
	s_or_b32 s21, s21, s23
	s_or_b32 s20, s20, s0
.LBB25_4981:
	s_or_b32 exec_lo, exec_lo, s22
	s_delay_alu instid0(SALU_CYCLE_1) | instskip(SKIP_1) | instid1(SALU_CYCLE_1)
	s_and_not1_b32 s0, s13, exec_lo
	s_and_b32 s21, s21, exec_lo
                                        ; implicit-def: $vgpr3
                                        ; implicit-def: $vgpr116
                                        ; implicit-def: $vgpr1_vgpr2
	s_or_b32 s21, s0, s21
	s_and_b32 s0, s20, exec_lo
.LBB25_4982:
	s_and_not1_saveexec_b32 s19, s19
	s_cbranch_execz .LBB25_4986
; %bb.4983:
	s_mov_b32 s23, -1
	s_mov_b32 s22, s0
	s_mov_b32 s20, exec_lo
	v_cmpx_eq_u16_e32 29, v3
	s_cbranch_execz .LBB25_4985
; %bb.4984:
	v_trunc_f32_e32 v3, v116
	s_xor_b32 s23, exec_lo, -1
	s_or_b32 s22, s0, exec_lo
	s_delay_alu instid0(VALU_DEP_1) | instskip(NEXT) | instid1(VALU_DEP_1)
	v_mul_f32_e32 v4, 0x2f800000, v3
	v_floor_f32_e32 v4, v4
	s_delay_alu instid0(VALU_DEP_1) | instskip(SKIP_1) | instid1(VALU_DEP_2)
	v_fmamk_f32 v3, v4, 0xcf800000, v3
	v_cvt_u32_f32_e32 v4, v4
	v_cvt_u32_f32_e32 v3, v3
	flat_store_b64 v[1:2], v[3:4]
.LBB25_4985:
	s_or_b32 exec_lo, exec_lo, s20
	s_delay_alu instid0(SALU_CYCLE_1)
	s_and_not1_b32 s20, s21, exec_lo
	s_and_b32 s21, s23, exec_lo
	s_and_not1_b32 s0, s0, exec_lo
	s_and_b32 s22, s22, exec_lo
	s_or_b32 s21, s20, s21
	s_or_b32 s0, s0, s22
.LBB25_4986:
	s_or_b32 exec_lo, exec_lo, s19
	s_delay_alu instid0(SALU_CYCLE_1)
	s_and_not1_b32 s19, s13, exec_lo
	s_and_b32 s20, s21, exec_lo
	s_and_b32 s0, s0, exec_lo
	s_or_b32 s19, s19, s20
                                        ; implicit-def: $vgpr1_vgpr2
                                        ; implicit-def: $vgpr3
                                        ; implicit-def: $vgpr116
.LBB25_4987:
	s_and_not1_saveexec_b32 s17, s17
	s_cbranch_execz .LBB25_5003
; %bb.4988:
	s_mov_b32 s20, exec_lo
	v_cmpx_lt_i16_e32 26, v3
	s_xor_b32 s20, exec_lo, s20
	s_cbranch_execz .LBB25_4994
; %bb.4989:
	s_mov_b32 s21, exec_lo
	v_cmpx_lt_i16_e32 27, v3
	s_xor_b32 s21, exec_lo, s21
	s_cbranch_execz .LBB25_4991
; %bb.4990:
	v_cvt_u32_f32_e32 v3, v116
                                        ; implicit-def: $vgpr116
	flat_store_b32 v[1:2], v3
                                        ; implicit-def: $vgpr1_vgpr2
.LBB25_4991:
	s_and_not1_saveexec_b32 s21, s21
	s_cbranch_execz .LBB25_4993
; %bb.4992:
	v_cvt_u32_f32_e32 v3, v116
	flat_store_b16 v[1:2], v3
.LBB25_4993:
	s_or_b32 exec_lo, exec_lo, s21
                                        ; implicit-def: $vgpr1_vgpr2
                                        ; implicit-def: $vgpr116
.LBB25_4994:
	s_and_not1_saveexec_b32 s20, s20
	s_cbranch_execz .LBB25_5002
; %bb.4995:
	v_and_b32_e32 v3, 0x7fffffff, v116
	v_mov_b32_e32 v4, 0x80
	s_mov_b32 s21, exec_lo
	s_delay_alu instid0(VALU_DEP_2)
	v_cmpx_gt_u32_e32 0x43800000, v3
	s_cbranch_execz .LBB25_5001
; %bb.4996:
	v_cmp_lt_u32_e32 vcc_lo, 0x3bffffff, v3
	s_mov_b32 s22, 0
                                        ; implicit-def: $vgpr3
	s_and_saveexec_b32 s23, vcc_lo
	s_delay_alu instid0(SALU_CYCLE_1)
	s_xor_b32 s23, exec_lo, s23
	s_cbranch_execnz .LBB25_5722
; %bb.4997:
	s_or_saveexec_b32 s23, s23
                                        ; implicit-def: $sgpr24
	s_delay_alu instid0(SALU_CYCLE_1)
	s_xor_b32 exec_lo, exec_lo, s23
	s_cbranch_execnz .LBB25_5723
.LBB25_4998:
	s_or_b32 exec_lo, exec_lo, s23
	v_mov_b32_e32 v4, s24
	s_and_saveexec_b32 s23, s22
.LBB25_4999:
	v_lshrrev_b32_e32 v4, 24, v116
	s_delay_alu instid0(VALU_DEP_1)
	v_and_or_b32 v4, 0x80, v4, v3
.LBB25_5000:
	s_or_b32 exec_lo, exec_lo, s23
.LBB25_5001:
	s_delay_alu instid0(SALU_CYCLE_1)
	s_or_b32 exec_lo, exec_lo, s21
	flat_store_b8 v[1:2], v4
.LBB25_5002:
	s_or_b32 exec_lo, exec_lo, s20
	s_delay_alu instid0(SALU_CYCLE_1)
	s_or_b32 s0, s0, exec_lo
.LBB25_5003:
	s_or_b32 exec_lo, exec_lo, s17
	s_delay_alu instid0(SALU_CYCLE_1)
	s_and_not1_b32 s17, s13, exec_lo
	s_and_b32 s19, s19, exec_lo
	s_and_b32 s0, s0, exec_lo
	s_or_b32 s17, s17, s19
                                        ; implicit-def: $vgpr3
                                        ; implicit-def: $vgpr116
                                        ; implicit-def: $vgpr1_vgpr2
.LBB25_5004:
	s_and_not1_saveexec_b32 s18, s18
	s_cbranch_execz .LBB25_5048
; %bb.5005:
	s_mov_b32 s20, s0
	s_mov_b32 s19, exec_lo
	v_cmpx_lt_i16_e32 22, v3
	s_xor_b32 s19, exec_lo, s19
	s_cbranch_execz .LBB25_5037
; %bb.5006:
	s_mov_b32 s20, exec_lo
	v_cmpx_lt_i16_e32 23, v3
	s_xor_b32 s20, exec_lo, s20
	s_cbranch_execz .LBB25_5026
; %bb.5007:
	;; [unrolled: 5-line block ×3, first 2 shown]
	v_and_b32_e32 v3, 0x7fffffff, v116
	v_mov_b32_e32 v4, 0x80
	s_mov_b32 s22, exec_lo
	s_delay_alu instid0(VALU_DEP_2)
	v_cmpx_gt_u32_e32 0x47800000, v3
	s_cbranch_execz .LBB25_5014
; %bb.5009:
	v_cmp_lt_u32_e32 vcc_lo, 0x37ffffff, v3
	s_mov_b32 s23, 0
                                        ; implicit-def: $vgpr3
	s_and_saveexec_b32 s24, vcc_lo
	s_delay_alu instid0(SALU_CYCLE_1)
	s_xor_b32 s24, exec_lo, s24
	s_cbranch_execnz .LBB25_5846
; %bb.5010:
	s_or_saveexec_b32 s24, s24
                                        ; implicit-def: $sgpr25
	s_delay_alu instid0(SALU_CYCLE_1)
	s_xor_b32 exec_lo, exec_lo, s24
	s_cbranch_execnz .LBB25_5847
.LBB25_5011:
	s_or_b32 exec_lo, exec_lo, s24
	v_mov_b32_e32 v4, s25
	s_and_saveexec_b32 s24, s23
.LBB25_5012:
	v_lshrrev_b32_e32 v4, 24, v116
	s_delay_alu instid0(VALU_DEP_1)
	v_and_or_b32 v4, 0x80, v4, v3
.LBB25_5013:
	s_or_b32 exec_lo, exec_lo, s24
.LBB25_5014:
	s_delay_alu instid0(SALU_CYCLE_1)
	s_or_b32 exec_lo, exec_lo, s22
	flat_store_b8 v[1:2], v4
                                        ; implicit-def: $vgpr116
                                        ; implicit-def: $vgpr1_vgpr2
.LBB25_5015:
	s_and_not1_saveexec_b32 s21, s21
	s_cbranch_execz .LBB25_5025
; %bb.5016:
	v_and_b32_e32 v4, 0x7fffffff, v116
	s_mov_b32 s22, exec_lo
                                        ; implicit-def: $vgpr3
	s_delay_alu instid0(VALU_DEP_1)
	v_cmpx_gt_u32_e32 0x43f00000, v4
	s_xor_b32 s22, exec_lo, s22
	s_cbranch_execz .LBB25_5022
; %bb.5017:
	s_mov_b32 s23, exec_lo
                                        ; implicit-def: $vgpr3
	v_cmpx_lt_u32_e32 0x3c7fffff, v4
	s_xor_b32 s23, exec_lo, s23
; %bb.5018:
	v_bfe_u32 v3, v116, 20, 1
	s_delay_alu instid0(VALU_DEP_1) | instskip(NEXT) | instid1(VALU_DEP_1)
	v_add3_u32 v3, v116, v3, 0x407ffff
	v_and_b32_e32 v4, 0xff00000, v3
	v_lshrrev_b32_e32 v3, 20, v3
	s_delay_alu instid0(VALU_DEP_2) | instskip(NEXT) | instid1(VALU_DEP_2)
	v_cmp_ne_u32_e32 vcc_lo, 0x7f00000, v4
	v_cndmask_b32_e32 v3, 0x7e, v3, vcc_lo
; %bb.5019:
	s_and_not1_saveexec_b32 s23, s23
; %bb.5020:
	v_add_f32_e64 v3, 0x46800000, |v116|
; %bb.5021:
	s_or_b32 exec_lo, exec_lo, s23
                                        ; implicit-def: $vgpr4
.LBB25_5022:
	s_and_not1_saveexec_b32 s22, s22
; %bb.5023:
	v_mov_b32_e32 v3, 0x7f
	v_cmp_lt_u32_e32 vcc_lo, 0x7f800000, v4
	s_delay_alu instid0(VALU_DEP_2)
	v_cndmask_b32_e32 v3, 0x7e, v3, vcc_lo
; %bb.5024:
	s_or_b32 exec_lo, exec_lo, s22
	v_lshrrev_b32_e32 v4, 24, v116
	s_delay_alu instid0(VALU_DEP_1)
	v_and_or_b32 v3, 0x80, v4, v3
	flat_store_b8 v[1:2], v3
.LBB25_5025:
	s_or_b32 exec_lo, exec_lo, s21
                                        ; implicit-def: $vgpr116
                                        ; implicit-def: $vgpr1_vgpr2
.LBB25_5026:
	s_and_not1_saveexec_b32 s20, s20
	s_cbranch_execz .LBB25_5036
; %bb.5027:
	v_and_b32_e32 v4, 0x7fffffff, v116
	s_mov_b32 s21, exec_lo
                                        ; implicit-def: $vgpr3
	s_delay_alu instid0(VALU_DEP_1)
	v_cmpx_gt_u32_e32 0x47800000, v4
	s_xor_b32 s21, exec_lo, s21
	s_cbranch_execz .LBB25_5033
; %bb.5028:
	s_mov_b32 s22, exec_lo
                                        ; implicit-def: $vgpr3
	v_cmpx_lt_u32_e32 0x387fffff, v4
	s_xor_b32 s22, exec_lo, s22
; %bb.5029:
	v_bfe_u32 v3, v116, 21, 1
	s_delay_alu instid0(VALU_DEP_1) | instskip(NEXT) | instid1(VALU_DEP_1)
	v_add3_u32 v3, v116, v3, 0x80fffff
	v_lshrrev_b32_e32 v3, 21, v3
; %bb.5030:
	s_and_not1_saveexec_b32 s22, s22
; %bb.5031:
	v_add_f32_e64 v3, 0x43000000, |v116|
; %bb.5032:
	s_or_b32 exec_lo, exec_lo, s22
                                        ; implicit-def: $vgpr4
.LBB25_5033:
	s_and_not1_saveexec_b32 s21, s21
; %bb.5034:
	v_mov_b32_e32 v3, 0x7f
	v_cmp_lt_u32_e32 vcc_lo, 0x7f800000, v4
	s_delay_alu instid0(VALU_DEP_2)
	v_cndmask_b32_e32 v3, 0x7c, v3, vcc_lo
; %bb.5035:
	s_or_b32 exec_lo, exec_lo, s21
	v_lshrrev_b32_e32 v4, 24, v116
	s_delay_alu instid0(VALU_DEP_1)
	v_and_or_b32 v3, 0x80, v4, v3
	flat_store_b8 v[1:2], v3
.LBB25_5036:
	s_or_b32 exec_lo, exec_lo, s20
	s_delay_alu instid0(SALU_CYCLE_1)
	s_or_b32 s20, s0, exec_lo
                                        ; implicit-def: $vgpr3
                                        ; implicit-def: $vgpr116
                                        ; implicit-def: $vgpr1_vgpr2
.LBB25_5037:
	s_or_saveexec_b32 s19, s19
	s_mov_b32 s21, s17
	s_xor_b32 exec_lo, exec_lo, s19
	s_cbranch_execz .LBB25_5047
; %bb.5038:
	s_mov_b32 s21, s20
	s_mov_b32 s22, s17
	s_mov_b32 s23, exec_lo
	v_cmpx_lt_i16_e32 14, v3
	s_xor_b32 s23, exec_lo, s23
	s_cbranch_execz .LBB25_5042
; %bb.5039:
	s_mov_b32 s24, -1
	s_mov_b32 s21, s20
	s_mov_b32 s22, exec_lo
	v_cmpx_eq_u16_e32 15, v3
	s_cbranch_execz .LBB25_5041
; %bb.5040:
	v_bfe_u32 v3, v116, 16, 1
	v_cmp_o_f32_e32 vcc_lo, v116, v116
	s_xor_b32 s24, exec_lo, -1
	s_or_b32 s21, s20, exec_lo
	s_delay_alu instid0(VALU_DEP_2) | instskip(NEXT) | instid1(VALU_DEP_1)
	v_add3_u32 v3, v116, v3, 0x7fff
	v_lshrrev_b32_e32 v3, 16, v3
	s_delay_alu instid0(VALU_DEP_1)
	v_cndmask_b32_e32 v3, 0x7fc0, v3, vcc_lo
	flat_store_b16 v[1:2], v3
.LBB25_5041:
	s_or_b32 exec_lo, exec_lo, s22
	s_delay_alu instid0(SALU_CYCLE_1)
	s_and_not1_b32 s22, s17, exec_lo
	s_and_b32 s24, s24, exec_lo
	s_and_not1_b32 s25, s20, exec_lo
	s_and_b32 s21, s21, exec_lo
	s_or_b32 s22, s22, s24
	s_or_b32 s21, s25, s21
                                        ; implicit-def: $vgpr3
                                        ; implicit-def: $vgpr116
                                        ; implicit-def: $vgpr1_vgpr2
.LBB25_5042:
	s_and_not1_saveexec_b32 s23, s23
	s_cbranch_execz .LBB25_5046
; %bb.5043:
	s_mov_b32 s25, -1
	s_mov_b32 s24, s21
	s_mov_b32 s26, exec_lo
	v_cmpx_eq_u16_e32 11, v3
	s_cbranch_execz .LBB25_5045
; %bb.5044:
	v_cmp_neq_f32_e32 vcc_lo, 0, v116
	s_xor_b32 s25, exec_lo, -1
	s_or_b32 s24, s21, exec_lo
	v_cndmask_b32_e64 v3, 0, 1, vcc_lo
	flat_store_b8 v[1:2], v3
.LBB25_5045:
	s_or_b32 exec_lo, exec_lo, s26
	s_delay_alu instid0(SALU_CYCLE_1)
	s_and_not1_b32 s22, s22, exec_lo
	s_and_b32 s25, s25, exec_lo
	s_and_not1_b32 s21, s21, exec_lo
	s_and_b32 s24, s24, exec_lo
	s_or_b32 s22, s22, s25
	s_or_b32 s21, s21, s24
.LBB25_5046:
	s_or_b32 exec_lo, exec_lo, s23
	s_delay_alu instid0(SALU_CYCLE_1)
	s_and_not1_b32 s23, s17, exec_lo
	s_and_b32 s22, s22, exec_lo
	s_and_not1_b32 s20, s20, exec_lo
	s_and_b32 s24, s21, exec_lo
	s_or_b32 s21, s23, s22
	s_or_b32 s20, s20, s24
.LBB25_5047:
	s_or_b32 exec_lo, exec_lo, s19
	s_delay_alu instid0(SALU_CYCLE_1)
	s_and_not1_b32 s17, s17, exec_lo
	s_and_b32 s19, s21, exec_lo
	s_and_not1_b32 s0, s0, exec_lo
	s_and_b32 s20, s20, exec_lo
	s_or_b32 s17, s17, s19
	s_or_b32 s0, s0, s20
.LBB25_5048:
	s_or_b32 exec_lo, exec_lo, s18
	s_delay_alu instid0(SALU_CYCLE_1)
	s_and_not1_b32 s18, s13, exec_lo
	s_and_b32 s17, s17, exec_lo
	s_and_b32 s0, s0, exec_lo
	s_or_b32 s17, s18, s17
                                        ; implicit-def: $vgpr3
                                        ; implicit-def: $vgpr116
                                        ; implicit-def: $vgpr1_vgpr2
	s_and_not1_saveexec_b32 s15, s15
	s_cbranch_execz .LBB25_3888
.LBB25_5049:
	s_mov_b32 s18, exec_lo
	v_cmpx_lt_i16_e32 4, v3
	s_xor_b32 s18, exec_lo, s18
	s_cbranch_execz .LBB25_5071
; %bb.5050:
	s_mov_b32 s19, exec_lo
	v_cmpx_lt_i16_e32 7, v3
	s_xor_b32 s19, exec_lo, s19
	s_cbranch_execz .LBB25_5060
; %bb.5051:
	;; [unrolled: 5-line block ×4, first 2 shown]
	v_cvt_f64_f32_e32 v[3:4], v116
	v_mov_b32_e32 v5, 0
                                        ; implicit-def: $vgpr116
	s_delay_alu instid0(VALU_DEP_1)
	v_mov_b32_e32 v6, v5
	flat_store_b128 v[1:2], v[3:6]
                                        ; implicit-def: $vgpr1_vgpr2
.LBB25_5054:
	s_and_not1_saveexec_b32 s21, s21
	s_cbranch_execz .LBB25_5056
; %bb.5055:
	v_mov_b32_e32 v117, 0
	flat_store_b64 v[1:2], v[116:117]
.LBB25_5056:
	s_or_b32 exec_lo, exec_lo, s21
                                        ; implicit-def: $vgpr116
                                        ; implicit-def: $vgpr1_vgpr2
.LBB25_5057:
	s_and_not1_saveexec_b32 s20, s20
	s_cbranch_execz .LBB25_5059
; %bb.5058:
	v_cvt_f16_f32_e32 v3, v116
	s_delay_alu instid0(VALU_DEP_1)
	v_and_b32_e32 v3, 0xffff, v3
	flat_store_b32 v[1:2], v3
.LBB25_5059:
	s_or_b32 exec_lo, exec_lo, s20
                                        ; implicit-def: $vgpr116
                                        ; implicit-def: $vgpr1_vgpr2
                                        ; implicit-def: $vgpr3
.LBB25_5060:
	s_and_not1_saveexec_b32 s19, s19
	s_cbranch_execz .LBB25_5070
; %bb.5061:
	s_mov_b32 s20, exec_lo
	v_cmpx_lt_i16_e32 5, v3
	s_xor_b32 s20, exec_lo, s20
	s_cbranch_execz .LBB25_5067
; %bb.5062:
	s_mov_b32 s21, exec_lo
	v_cmpx_lt_i16_e32 6, v3
	s_xor_b32 s21, exec_lo, s21
	s_cbranch_execz .LBB25_5064
; %bb.5063:
	v_cvt_f64_f32_e32 v[3:4], v116
                                        ; implicit-def: $vgpr116
	flat_store_b64 v[1:2], v[3:4]
                                        ; implicit-def: $vgpr1_vgpr2
.LBB25_5064:
	s_and_not1_saveexec_b32 s21, s21
	s_cbranch_execz .LBB25_5066
; %bb.5065:
	flat_store_b32 v[1:2], v116
.LBB25_5066:
	s_or_b32 exec_lo, exec_lo, s21
                                        ; implicit-def: $vgpr116
                                        ; implicit-def: $vgpr1_vgpr2
.LBB25_5067:
	s_and_not1_saveexec_b32 s20, s20
	s_cbranch_execz .LBB25_5069
; %bb.5068:
	v_cvt_f16_f32_e32 v3, v116
	flat_store_b16 v[1:2], v3
.LBB25_5069:
	s_or_b32 exec_lo, exec_lo, s20
.LBB25_5070:
	s_delay_alu instid0(SALU_CYCLE_1)
	s_or_b32 exec_lo, exec_lo, s19
                                        ; implicit-def: $vgpr3
                                        ; implicit-def: $vgpr116
                                        ; implicit-def: $vgpr1_vgpr2
.LBB25_5071:
	s_and_not1_saveexec_b32 s18, s18
	s_cbranch_execz .LBB25_5089
; %bb.5072:
	s_mov_b32 s19, exec_lo
	v_cmpx_lt_i16_e32 1, v3
	s_xor_b32 s19, exec_lo, s19
	s_cbranch_execz .LBB25_5082
; %bb.5073:
	s_mov_b32 s20, exec_lo
	v_cmpx_lt_i16_e32 2, v3
	s_xor_b32 s20, exec_lo, s20
	;; [unrolled: 5-line block ×3, first 2 shown]
	s_cbranch_execz .LBB25_5076
; %bb.5075:
	v_trunc_f32_e32 v3, v116
                                        ; implicit-def: $vgpr116
	s_delay_alu instid0(VALU_DEP_1) | instskip(SKIP_1) | instid1(VALU_DEP_2)
	v_mul_f32_e64 v4, 0x2f800000, |v3|
	v_ashrrev_i32_e32 v6, 31, v3
	v_floor_f32_e32 v4, v4
	s_delay_alu instid0(VALU_DEP_1) | instskip(SKIP_1) | instid1(VALU_DEP_2)
	v_fma_f32 v5, 0xcf800000, v4, |v3|
	v_cvt_u32_f32_e32 v4, v4
	v_cvt_u32_f32_e32 v3, v5
	s_delay_alu instid0(VALU_DEP_2) | instskip(NEXT) | instid1(VALU_DEP_2)
	v_xor_b32_e32 v4, v4, v6
	v_xor_b32_e32 v3, v3, v6
	s_delay_alu instid0(VALU_DEP_1) | instskip(NEXT) | instid1(VALU_DEP_3)
	v_sub_co_u32 v3, vcc_lo, v3, v6
	v_sub_co_ci_u32_e32 v4, vcc_lo, v4, v6, vcc_lo
	flat_store_b64 v[1:2], v[3:4]
                                        ; implicit-def: $vgpr1_vgpr2
.LBB25_5076:
	s_and_not1_saveexec_b32 s21, s21
	s_cbranch_execz .LBB25_5078
; %bb.5077:
	v_cvt_i32_f32_e32 v3, v116
	flat_store_b32 v[1:2], v3
.LBB25_5078:
	s_or_b32 exec_lo, exec_lo, s21
                                        ; implicit-def: $vgpr116
                                        ; implicit-def: $vgpr1_vgpr2
.LBB25_5079:
	s_and_not1_saveexec_b32 s20, s20
	s_cbranch_execz .LBB25_5081
; %bb.5080:
	v_cvt_i32_f32_e32 v3, v116
	flat_store_b16 v[1:2], v3
.LBB25_5081:
	s_or_b32 exec_lo, exec_lo, s20
                                        ; implicit-def: $vgpr116
                                        ; implicit-def: $vgpr1_vgpr2
                                        ; implicit-def: $vgpr3
.LBB25_5082:
	s_and_not1_saveexec_b32 s19, s19
	s_cbranch_execz .LBB25_5088
; %bb.5083:
	s_mov_b32 s20, exec_lo
	v_cmpx_lt_i16_e32 0, v3
	s_xor_b32 s20, exec_lo, s20
	s_cbranch_execz .LBB25_5085
; %bb.5084:
	v_cvt_i32_f32_e32 v3, v116
                                        ; implicit-def: $vgpr116
	flat_store_b8 v[1:2], v3
                                        ; implicit-def: $vgpr1_vgpr2
.LBB25_5085:
	s_and_not1_saveexec_b32 s20, s20
	s_cbranch_execz .LBB25_5087
; %bb.5086:
	v_trunc_f32_e32 v3, v116
	s_delay_alu instid0(VALU_DEP_1) | instskip(NEXT) | instid1(VALU_DEP_1)
	v_mul_f32_e64 v4, 0x2f800000, |v3|
	v_floor_f32_e32 v4, v4
	s_delay_alu instid0(VALU_DEP_1) | instskip(SKIP_1) | instid1(VALU_DEP_2)
	v_fma_f32 v4, 0xcf800000, v4, |v3|
	v_ashrrev_i32_e32 v3, 31, v3
	v_cvt_u32_f32_e32 v4, v4
	s_delay_alu instid0(VALU_DEP_1) | instskip(NEXT) | instid1(VALU_DEP_1)
	v_xor_b32_e32 v4, v4, v3
	v_sub_nc_u32_e32 v3, v4, v3
	flat_store_b8 v[1:2], v3
.LBB25_5087:
	s_or_b32 exec_lo, exec_lo, s20
.LBB25_5088:
	s_delay_alu instid0(SALU_CYCLE_1)
	s_or_b32 exec_lo, exec_lo, s19
.LBB25_5089:
	s_delay_alu instid0(SALU_CYCLE_1) | instskip(NEXT) | instid1(SALU_CYCLE_1)
	s_or_b32 exec_lo, exec_lo, s18
	s_or_b32 s0, s0, exec_lo
	s_or_b32 exec_lo, exec_lo, s15
	s_mov_b32 s18, 0
	s_and_saveexec_b32 s15, s0
	s_cbranch_execnz .LBB25_3889
	s_branch .LBB25_3890
.LBB25_5090:
	v_bfe_u32 v3, v131, 21, 1
	s_mov_b32 s11, exec_lo
	s_delay_alu instid0(VALU_DEP_1) | instskip(NEXT) | instid1(VALU_DEP_1)
	v_add3_u32 v3, v131, v3, 0x88fffff
	v_lshrrev_b32_e32 v3, 21, v3
	s_or_saveexec_b32 s12, s12
                                        ; implicit-def: $sgpr13
	s_delay_alu instid0(SALU_CYCLE_1)
	s_xor_b32 exec_lo, exec_lo, s12
	s_cbranch_execz .LBB25_4263
.LBB25_5091:
	v_add_f32_e64 v3, 0x42800000, |v131|
	s_and_not1_b32 s11, s11, exec_lo
	s_mov_b32 s13, 0
	s_delay_alu instid0(VALU_DEP_1) | instskip(NEXT) | instid1(VALU_DEP_1)
	v_and_b32_e32 v3, 0xff, v3
	v_cmp_ne_u32_e32 vcc_lo, 0, v3
	s_and_b32 s14, vcc_lo, exec_lo
	s_delay_alu instid0(SALU_CYCLE_1)
	s_or_b32 s11, s11, s14
	s_or_b32 exec_lo, exec_lo, s12
	v_mov_b32_e32 v4, s13
	s_and_saveexec_b32 s12, s11
	s_cbranch_execnz .LBB25_4264
	s_branch .LBB25_4265
.LBB25_5092:
	v_bfe_u32 v3, v130, 20, 1
	s_mov_b32 s12, exec_lo
	s_delay_alu instid0(VALU_DEP_1) | instskip(NEXT) | instid1(VALU_DEP_1)
	v_add3_u32 v3, v130, v3, 0x487ffff
	v_lshrrev_b32_e32 v3, 20, v3
	s_or_saveexec_b32 s13, s13
                                        ; implicit-def: $sgpr14
	s_delay_alu instid0(SALU_CYCLE_1)
	s_xor_b32 exec_lo, exec_lo, s13
	s_cbranch_execz .LBB25_4376
.LBB25_5093:
	v_add_f32_e64 v3, 0x46000000, |v130|
	s_and_not1_b32 s12, s12, exec_lo
	s_mov_b32 s14, 0
	s_delay_alu instid0(VALU_DEP_1) | instskip(NEXT) | instid1(VALU_DEP_1)
	v_and_b32_e32 v3, 0xff, v3
	v_cmp_ne_u32_e32 vcc_lo, 0, v3
	s_and_b32 s15, vcc_lo, exec_lo
	s_delay_alu instid0(SALU_CYCLE_1)
	s_or_b32 s12, s12, s15
	s_or_b32 exec_lo, exec_lo, s13
	v_mov_b32_e32 v4, s14
	s_and_saveexec_b32 s13, s12
	s_cbranch_execnz .LBB25_4377
	s_branch .LBB25_4378
.LBB25_5094:
	s_mov_b32 s19, s15
	s_mov_b32 s20, exec_lo
	v_cmpx_lt_i16_e32 25, v3
	s_xor_b32 s20, exec_lo, s20
	s_cbranch_execz .LBB25_5130
; %bb.5095:
	s_mov_b32 s21, s15
	s_mov_b32 s19, exec_lo
	v_cmpx_lt_i16_e32 28, v3
	s_xor_b32 s19, exec_lo, s19
	s_cbranch_execz .LBB25_5113
; %bb.5096:
	;; [unrolled: 6-line block ×3, first 2 shown]
	s_mov_b32 s22, 0
	s_mov_b32 s23, s15
	s_mov_b32 s0, exec_lo
	v_cmpx_lt_i16_e32 45, v3
	s_xor_b32 s0, exec_lo, s0
	s_cbranch_execz .LBB25_5101
; %bb.5098:
	s_mov_b32 s24, -1
	s_mov_b32 s23, exec_lo
	v_cmpx_eq_u16_e32 46, v3
	s_cbranch_execz .LBB25_5100
; %bb.5099:
	v_bfe_u32 v3, v115, 16, 1
	v_cmp_o_f32_e32 vcc_lo, v115, v115
	s_mov_b32 s22, exec_lo
	s_xor_b32 s24, exec_lo, -1
	s_delay_alu instid0(VALU_DEP_2) | instskip(NEXT) | instid1(VALU_DEP_1)
	v_add3_u32 v3, v115, v3, 0x7fff
	v_lshrrev_b32_e32 v3, 16, v3
	s_delay_alu instid0(VALU_DEP_1)
	v_cndmask_b32_e32 v3, 0x7fc0, v3, vcc_lo
	flat_store_b32 v[1:2], v3
.LBB25_5100:
	s_or_b32 exec_lo, exec_lo, s23
	s_delay_alu instid0(SALU_CYCLE_1)
	s_and_not1_b32 s23, s15, exec_lo
	s_and_b32 s24, s24, exec_lo
	s_and_b32 s22, s22, exec_lo
	s_or_b32 s23, s23, s24
                                        ; implicit-def: $vgpr3
                                        ; implicit-def: $vgpr1_vgpr2
                                        ; implicit-def: $vgpr115
.LBB25_5101:
	s_and_not1_saveexec_b32 s24, s0
	s_cbranch_execz .LBB25_5107
; %bb.5102:
	s_mov_b32 s26, -1
	s_mov_b32 s0, s22
	s_mov_b32 s25, exec_lo
	v_cmpx_eq_u16_e32 44, v3
	s_cbranch_execz .LBB25_5106
; %bb.5103:
	v_bfe_u32 v4, v115, 23, 8
	v_mov_b32_e32 v3, 0xff
	s_mov_b32 s26, exec_lo
	s_delay_alu instid0(VALU_DEP_2)
	v_cmpx_ne_u32_e32 0xff, v4
; %bb.5104:
	v_and_b32_e32 v3, 0x400000, v115
	v_and_or_b32 v4, 0x3fffff, v115, v4
	s_delay_alu instid0(VALU_DEP_2) | instskip(NEXT) | instid1(VALU_DEP_2)
	v_cmp_ne_u32_e32 vcc_lo, 0, v3
	v_cmp_ne_u32_e64 s0, 0, v4
	v_lshrrev_b32_e32 v3, 23, v115
	s_delay_alu instid0(VALU_DEP_2) | instskip(NEXT) | instid1(SALU_CYCLE_1)
	s_and_b32 s0, vcc_lo, s0
	v_cndmask_b32_e64 v4, 0, 1, s0
	s_delay_alu instid0(VALU_DEP_1)
	v_add_nc_u32_e32 v3, v3, v4
; %bb.5105:
	s_or_b32 exec_lo, exec_lo, s26
	s_delay_alu instid0(SALU_CYCLE_1)
	s_xor_b32 s26, exec_lo, -1
	s_or_b32 s0, s22, exec_lo
	flat_store_b8 v[1:2], v3
.LBB25_5106:
	s_or_b32 exec_lo, exec_lo, s25
	s_delay_alu instid0(SALU_CYCLE_1)
	s_and_not1_b32 s23, s23, exec_lo
	s_and_b32 s25, s26, exec_lo
	s_and_not1_b32 s22, s22, exec_lo
	s_and_b32 s0, s0, exec_lo
	s_or_b32 s23, s23, s25
	s_or_b32 s22, s22, s0
.LBB25_5107:
	s_or_b32 exec_lo, exec_lo, s24
	s_delay_alu instid0(SALU_CYCLE_1) | instskip(SKIP_1) | instid1(SALU_CYCLE_1)
	s_and_not1_b32 s0, s15, exec_lo
	s_and_b32 s23, s23, exec_lo
                                        ; implicit-def: $vgpr3
                                        ; implicit-def: $vgpr115
                                        ; implicit-def: $vgpr1_vgpr2
	s_or_b32 s23, s0, s23
	s_and_b32 s0, s22, exec_lo
.LBB25_5108:
	s_and_not1_saveexec_b32 s21, s21
	s_cbranch_execz .LBB25_5112
; %bb.5109:
	s_mov_b32 s25, -1
	s_mov_b32 s24, s0
	s_mov_b32 s22, exec_lo
	v_cmpx_eq_u16_e32 29, v3
	s_cbranch_execz .LBB25_5111
; %bb.5110:
	v_trunc_f32_e32 v3, v115
	s_xor_b32 s25, exec_lo, -1
	s_or_b32 s24, s0, exec_lo
	s_delay_alu instid0(VALU_DEP_1) | instskip(NEXT) | instid1(VALU_DEP_1)
	v_mul_f32_e32 v4, 0x2f800000, v3
	v_floor_f32_e32 v4, v4
	s_delay_alu instid0(VALU_DEP_1) | instskip(SKIP_1) | instid1(VALU_DEP_2)
	v_fmamk_f32 v3, v4, 0xcf800000, v3
	v_cvt_u32_f32_e32 v4, v4
	v_cvt_u32_f32_e32 v3, v3
	flat_store_b64 v[1:2], v[3:4]
.LBB25_5111:
	s_or_b32 exec_lo, exec_lo, s22
	s_delay_alu instid0(SALU_CYCLE_1)
	s_and_not1_b32 s22, s23, exec_lo
	s_and_b32 s23, s25, exec_lo
	s_and_not1_b32 s0, s0, exec_lo
	s_and_b32 s24, s24, exec_lo
	s_or_b32 s23, s22, s23
	s_or_b32 s0, s0, s24
.LBB25_5112:
	s_or_b32 exec_lo, exec_lo, s21
	s_delay_alu instid0(SALU_CYCLE_1)
	s_and_not1_b32 s21, s15, exec_lo
	s_and_b32 s22, s23, exec_lo
	s_and_b32 s0, s0, exec_lo
	s_or_b32 s21, s21, s22
                                        ; implicit-def: $vgpr1_vgpr2
                                        ; implicit-def: $vgpr3
                                        ; implicit-def: $vgpr115
.LBB25_5113:
	s_and_not1_saveexec_b32 s19, s19
	s_cbranch_execz .LBB25_5129
; %bb.5114:
	s_mov_b32 s22, exec_lo
	v_cmpx_lt_i16_e32 26, v3
	s_xor_b32 s22, exec_lo, s22
	s_cbranch_execz .LBB25_5120
; %bb.5115:
	s_mov_b32 s23, exec_lo
	v_cmpx_lt_i16_e32 27, v3
	s_xor_b32 s23, exec_lo, s23
	s_cbranch_execz .LBB25_5117
; %bb.5116:
	v_cvt_u32_f32_e32 v3, v115
                                        ; implicit-def: $vgpr115
	flat_store_b32 v[1:2], v3
                                        ; implicit-def: $vgpr1_vgpr2
.LBB25_5117:
	s_and_not1_saveexec_b32 s23, s23
	s_cbranch_execz .LBB25_5119
; %bb.5118:
	v_cvt_u32_f32_e32 v3, v115
	flat_store_b16 v[1:2], v3
.LBB25_5119:
	s_or_b32 exec_lo, exec_lo, s23
                                        ; implicit-def: $vgpr1_vgpr2
                                        ; implicit-def: $vgpr115
.LBB25_5120:
	s_and_not1_saveexec_b32 s22, s22
	s_cbranch_execz .LBB25_5128
; %bb.5121:
	v_and_b32_e32 v3, 0x7fffffff, v115
	v_mov_b32_e32 v4, 0x80
	s_mov_b32 s23, exec_lo
	s_delay_alu instid0(VALU_DEP_2)
	v_cmpx_gt_u32_e32 0x43800000, v3
	s_cbranch_execz .LBB25_5127
; %bb.5122:
	v_cmp_lt_u32_e32 vcc_lo, 0x3bffffff, v3
	s_mov_b32 s24, 0
                                        ; implicit-def: $vgpr3
	s_and_saveexec_b32 s25, vcc_lo
	s_delay_alu instid0(SALU_CYCLE_1)
	s_xor_b32 s25, exec_lo, s25
	s_cbranch_execnz .LBB25_5848
; %bb.5123:
	s_or_saveexec_b32 s25, s25
                                        ; implicit-def: $sgpr26
	s_delay_alu instid0(SALU_CYCLE_1)
	s_xor_b32 exec_lo, exec_lo, s25
	s_cbranch_execnz .LBB25_5849
.LBB25_5124:
	s_or_b32 exec_lo, exec_lo, s25
	v_mov_b32_e32 v4, s26
	s_and_saveexec_b32 s25, s24
.LBB25_5125:
	v_lshrrev_b32_e32 v4, 24, v115
	s_delay_alu instid0(VALU_DEP_1)
	v_and_or_b32 v4, 0x80, v4, v3
.LBB25_5126:
	s_or_b32 exec_lo, exec_lo, s25
.LBB25_5127:
	s_delay_alu instid0(SALU_CYCLE_1)
	s_or_b32 exec_lo, exec_lo, s23
	flat_store_b8 v[1:2], v4
.LBB25_5128:
	s_or_b32 exec_lo, exec_lo, s22
	s_delay_alu instid0(SALU_CYCLE_1)
	s_or_b32 s0, s0, exec_lo
.LBB25_5129:
	s_or_b32 exec_lo, exec_lo, s19
	s_delay_alu instid0(SALU_CYCLE_1)
	s_and_not1_b32 s19, s15, exec_lo
	s_and_b32 s21, s21, exec_lo
	s_and_b32 s0, s0, exec_lo
	s_or_b32 s19, s19, s21
                                        ; implicit-def: $vgpr3
                                        ; implicit-def: $vgpr115
                                        ; implicit-def: $vgpr1_vgpr2
.LBB25_5130:
	s_and_not1_saveexec_b32 s20, s20
	s_cbranch_execz .LBB25_5174
; %bb.5131:
	s_mov_b32 s22, s0
	s_mov_b32 s21, exec_lo
	v_cmpx_lt_i16_e32 22, v3
	s_xor_b32 s21, exec_lo, s21
	s_cbranch_execz .LBB25_5163
; %bb.5132:
	s_mov_b32 s22, exec_lo
	v_cmpx_lt_i16_e32 23, v3
	s_xor_b32 s22, exec_lo, s22
	s_cbranch_execz .LBB25_5152
; %bb.5133:
	;; [unrolled: 5-line block ×3, first 2 shown]
	v_and_b32_e32 v3, 0x7fffffff, v115
	v_mov_b32_e32 v4, 0x80
	s_mov_b32 s24, exec_lo
	s_delay_alu instid0(VALU_DEP_2)
	v_cmpx_gt_u32_e32 0x47800000, v3
	s_cbranch_execz .LBB25_5140
; %bb.5135:
	v_cmp_lt_u32_e32 vcc_lo, 0x37ffffff, v3
	s_mov_b32 s25, 0
                                        ; implicit-def: $vgpr3
	s_and_saveexec_b32 s26, vcc_lo
	s_delay_alu instid0(SALU_CYCLE_1)
	s_xor_b32 s26, exec_lo, s26
	s_cbranch_execnz .LBB25_5972
; %bb.5136:
	s_or_saveexec_b32 s26, s26
                                        ; implicit-def: $sgpr27
	s_delay_alu instid0(SALU_CYCLE_1)
	s_xor_b32 exec_lo, exec_lo, s26
	s_cbranch_execnz .LBB25_5973
.LBB25_5137:
	s_or_b32 exec_lo, exec_lo, s26
	v_mov_b32_e32 v4, s27
	s_and_saveexec_b32 s26, s25
.LBB25_5138:
	v_lshrrev_b32_e32 v4, 24, v115
	s_delay_alu instid0(VALU_DEP_1)
	v_and_or_b32 v4, 0x80, v4, v3
.LBB25_5139:
	s_or_b32 exec_lo, exec_lo, s26
.LBB25_5140:
	s_delay_alu instid0(SALU_CYCLE_1)
	s_or_b32 exec_lo, exec_lo, s24
	flat_store_b8 v[1:2], v4
                                        ; implicit-def: $vgpr115
                                        ; implicit-def: $vgpr1_vgpr2
.LBB25_5141:
	s_and_not1_saveexec_b32 s23, s23
	s_cbranch_execz .LBB25_5151
; %bb.5142:
	v_and_b32_e32 v4, 0x7fffffff, v115
	s_mov_b32 s24, exec_lo
                                        ; implicit-def: $vgpr3
	s_delay_alu instid0(VALU_DEP_1)
	v_cmpx_gt_u32_e32 0x43f00000, v4
	s_xor_b32 s24, exec_lo, s24
	s_cbranch_execz .LBB25_5148
; %bb.5143:
	s_mov_b32 s25, exec_lo
                                        ; implicit-def: $vgpr3
	v_cmpx_lt_u32_e32 0x3c7fffff, v4
	s_xor_b32 s25, exec_lo, s25
; %bb.5144:
	v_bfe_u32 v3, v115, 20, 1
	s_delay_alu instid0(VALU_DEP_1) | instskip(NEXT) | instid1(VALU_DEP_1)
	v_add3_u32 v3, v115, v3, 0x407ffff
	v_and_b32_e32 v4, 0xff00000, v3
	v_lshrrev_b32_e32 v3, 20, v3
	s_delay_alu instid0(VALU_DEP_2) | instskip(NEXT) | instid1(VALU_DEP_2)
	v_cmp_ne_u32_e32 vcc_lo, 0x7f00000, v4
	v_cndmask_b32_e32 v3, 0x7e, v3, vcc_lo
; %bb.5145:
	s_and_not1_saveexec_b32 s25, s25
; %bb.5146:
	v_add_f32_e64 v3, 0x46800000, |v115|
; %bb.5147:
	s_or_b32 exec_lo, exec_lo, s25
                                        ; implicit-def: $vgpr4
.LBB25_5148:
	s_and_not1_saveexec_b32 s24, s24
; %bb.5149:
	v_mov_b32_e32 v3, 0x7f
	v_cmp_lt_u32_e32 vcc_lo, 0x7f800000, v4
	s_delay_alu instid0(VALU_DEP_2)
	v_cndmask_b32_e32 v3, 0x7e, v3, vcc_lo
; %bb.5150:
	s_or_b32 exec_lo, exec_lo, s24
	v_lshrrev_b32_e32 v4, 24, v115
	s_delay_alu instid0(VALU_DEP_1)
	v_and_or_b32 v3, 0x80, v4, v3
	flat_store_b8 v[1:2], v3
.LBB25_5151:
	s_or_b32 exec_lo, exec_lo, s23
                                        ; implicit-def: $vgpr115
                                        ; implicit-def: $vgpr1_vgpr2
.LBB25_5152:
	s_and_not1_saveexec_b32 s22, s22
	s_cbranch_execz .LBB25_5162
; %bb.5153:
	v_and_b32_e32 v4, 0x7fffffff, v115
	s_mov_b32 s23, exec_lo
                                        ; implicit-def: $vgpr3
	s_delay_alu instid0(VALU_DEP_1)
	v_cmpx_gt_u32_e32 0x47800000, v4
	s_xor_b32 s23, exec_lo, s23
	s_cbranch_execz .LBB25_5159
; %bb.5154:
	s_mov_b32 s24, exec_lo
                                        ; implicit-def: $vgpr3
	v_cmpx_lt_u32_e32 0x387fffff, v4
	s_xor_b32 s24, exec_lo, s24
; %bb.5155:
	v_bfe_u32 v3, v115, 21, 1
	s_delay_alu instid0(VALU_DEP_1) | instskip(NEXT) | instid1(VALU_DEP_1)
	v_add3_u32 v3, v115, v3, 0x80fffff
	v_lshrrev_b32_e32 v3, 21, v3
; %bb.5156:
	s_and_not1_saveexec_b32 s24, s24
; %bb.5157:
	v_add_f32_e64 v3, 0x43000000, |v115|
; %bb.5158:
	s_or_b32 exec_lo, exec_lo, s24
                                        ; implicit-def: $vgpr4
.LBB25_5159:
	s_and_not1_saveexec_b32 s23, s23
; %bb.5160:
	v_mov_b32_e32 v3, 0x7f
	v_cmp_lt_u32_e32 vcc_lo, 0x7f800000, v4
	s_delay_alu instid0(VALU_DEP_2)
	v_cndmask_b32_e32 v3, 0x7c, v3, vcc_lo
; %bb.5161:
	s_or_b32 exec_lo, exec_lo, s23
	v_lshrrev_b32_e32 v4, 24, v115
	s_delay_alu instid0(VALU_DEP_1)
	v_and_or_b32 v3, 0x80, v4, v3
	flat_store_b8 v[1:2], v3
.LBB25_5162:
	s_or_b32 exec_lo, exec_lo, s22
	s_delay_alu instid0(SALU_CYCLE_1)
	s_or_b32 s22, s0, exec_lo
                                        ; implicit-def: $vgpr3
                                        ; implicit-def: $vgpr115
                                        ; implicit-def: $vgpr1_vgpr2
.LBB25_5163:
	s_or_saveexec_b32 s21, s21
	s_mov_b32 s23, s19
	s_xor_b32 exec_lo, exec_lo, s21
	s_cbranch_execz .LBB25_5173
; %bb.5164:
	s_mov_b32 s23, s22
	s_mov_b32 s24, s19
	s_mov_b32 s25, exec_lo
	v_cmpx_lt_i16_e32 14, v3
	s_xor_b32 s25, exec_lo, s25
	s_cbranch_execz .LBB25_5168
; %bb.5165:
	s_mov_b32 s26, -1
	s_mov_b32 s23, s22
	s_mov_b32 s24, exec_lo
	v_cmpx_eq_u16_e32 15, v3
	s_cbranch_execz .LBB25_5167
; %bb.5166:
	v_bfe_u32 v3, v115, 16, 1
	v_cmp_o_f32_e32 vcc_lo, v115, v115
	s_xor_b32 s26, exec_lo, -1
	s_or_b32 s23, s22, exec_lo
	s_delay_alu instid0(VALU_DEP_2) | instskip(NEXT) | instid1(VALU_DEP_1)
	v_add3_u32 v3, v115, v3, 0x7fff
	v_lshrrev_b32_e32 v3, 16, v3
	s_delay_alu instid0(VALU_DEP_1)
	v_cndmask_b32_e32 v3, 0x7fc0, v3, vcc_lo
	flat_store_b16 v[1:2], v3
.LBB25_5167:
	s_or_b32 exec_lo, exec_lo, s24
	s_delay_alu instid0(SALU_CYCLE_1)
	s_and_not1_b32 s24, s19, exec_lo
	s_and_b32 s26, s26, exec_lo
	s_and_not1_b32 s27, s22, exec_lo
	s_and_b32 s23, s23, exec_lo
	s_or_b32 s24, s24, s26
	s_or_b32 s23, s27, s23
                                        ; implicit-def: $vgpr3
                                        ; implicit-def: $vgpr115
                                        ; implicit-def: $vgpr1_vgpr2
.LBB25_5168:
	s_and_not1_saveexec_b32 s25, s25
	s_cbranch_execz .LBB25_5172
; %bb.5169:
	s_mov_b32 s27, -1
	s_mov_b32 s26, s23
	s_mov_b32 s28, exec_lo
	v_cmpx_eq_u16_e32 11, v3
	s_cbranch_execz .LBB25_5171
; %bb.5170:
	v_cmp_neq_f32_e32 vcc_lo, 0, v115
	s_xor_b32 s27, exec_lo, -1
	s_or_b32 s26, s23, exec_lo
	v_cndmask_b32_e64 v3, 0, 1, vcc_lo
	flat_store_b8 v[1:2], v3
.LBB25_5171:
	s_or_b32 exec_lo, exec_lo, s28
	s_delay_alu instid0(SALU_CYCLE_1)
	s_and_not1_b32 s24, s24, exec_lo
	s_and_b32 s27, s27, exec_lo
	s_and_not1_b32 s23, s23, exec_lo
	s_and_b32 s26, s26, exec_lo
	s_or_b32 s24, s24, s27
	s_or_b32 s23, s23, s26
.LBB25_5172:
	s_or_b32 exec_lo, exec_lo, s25
	s_delay_alu instid0(SALU_CYCLE_1)
	s_and_not1_b32 s25, s19, exec_lo
	s_and_b32 s24, s24, exec_lo
	s_and_not1_b32 s22, s22, exec_lo
	s_and_b32 s26, s23, exec_lo
	s_or_b32 s23, s25, s24
	s_or_b32 s22, s22, s26
.LBB25_5173:
	s_or_b32 exec_lo, exec_lo, s21
	s_delay_alu instid0(SALU_CYCLE_1)
	s_and_not1_b32 s19, s19, exec_lo
	s_and_b32 s21, s23, exec_lo
	s_and_not1_b32 s0, s0, exec_lo
	s_and_b32 s22, s22, exec_lo
	s_or_b32 s19, s19, s21
	s_or_b32 s0, s0, s22
.LBB25_5174:
	s_or_b32 exec_lo, exec_lo, s20
	s_delay_alu instid0(SALU_CYCLE_1)
	s_and_not1_b32 s20, s15, exec_lo
	s_and_b32 s19, s19, exec_lo
	s_and_b32 s0, s0, exec_lo
	s_or_b32 s19, s20, s19
                                        ; implicit-def: $vgpr3
                                        ; implicit-def: $vgpr115
                                        ; implicit-def: $vgpr1_vgpr2
	s_and_not1_saveexec_b32 s17, s17
	s_cbranch_execz .LBB25_3895
.LBB25_5175:
	s_mov_b32 s20, exec_lo
	v_cmpx_lt_i16_e32 4, v3
	s_xor_b32 s20, exec_lo, s20
	s_cbranch_execz .LBB25_5197
; %bb.5176:
	s_mov_b32 s21, exec_lo
	v_cmpx_lt_i16_e32 7, v3
	s_xor_b32 s21, exec_lo, s21
	s_cbranch_execz .LBB25_5186
; %bb.5177:
	;; [unrolled: 5-line block ×4, first 2 shown]
	v_cvt_f64_f32_e32 v[3:4], v115
	v_mov_b32_e32 v5, 0
                                        ; implicit-def: $vgpr115
	s_delay_alu instid0(VALU_DEP_1)
	v_mov_b32_e32 v6, v5
	flat_store_b128 v[1:2], v[3:6]
                                        ; implicit-def: $vgpr1_vgpr2
.LBB25_5180:
	s_and_not1_saveexec_b32 s23, s23
	s_cbranch_execz .LBB25_5182
; %bb.5181:
	v_mov_b32_e32 v116, 0
	flat_store_b64 v[1:2], v[115:116]
.LBB25_5182:
	s_or_b32 exec_lo, exec_lo, s23
                                        ; implicit-def: $vgpr115
                                        ; implicit-def: $vgpr1_vgpr2
.LBB25_5183:
	s_and_not1_saveexec_b32 s22, s22
	s_cbranch_execz .LBB25_5185
; %bb.5184:
	v_cvt_f16_f32_e32 v3, v115
	s_delay_alu instid0(VALU_DEP_1)
	v_and_b32_e32 v3, 0xffff, v3
	flat_store_b32 v[1:2], v3
.LBB25_5185:
	s_or_b32 exec_lo, exec_lo, s22
                                        ; implicit-def: $vgpr115
                                        ; implicit-def: $vgpr1_vgpr2
                                        ; implicit-def: $vgpr3
.LBB25_5186:
	s_and_not1_saveexec_b32 s21, s21
	s_cbranch_execz .LBB25_5196
; %bb.5187:
	s_mov_b32 s22, exec_lo
	v_cmpx_lt_i16_e32 5, v3
	s_xor_b32 s22, exec_lo, s22
	s_cbranch_execz .LBB25_5193
; %bb.5188:
	s_mov_b32 s23, exec_lo
	v_cmpx_lt_i16_e32 6, v3
	s_xor_b32 s23, exec_lo, s23
	s_cbranch_execz .LBB25_5190
; %bb.5189:
	v_cvt_f64_f32_e32 v[3:4], v115
                                        ; implicit-def: $vgpr115
	flat_store_b64 v[1:2], v[3:4]
                                        ; implicit-def: $vgpr1_vgpr2
.LBB25_5190:
	s_and_not1_saveexec_b32 s23, s23
	s_cbranch_execz .LBB25_5192
; %bb.5191:
	flat_store_b32 v[1:2], v115
.LBB25_5192:
	s_or_b32 exec_lo, exec_lo, s23
                                        ; implicit-def: $vgpr115
                                        ; implicit-def: $vgpr1_vgpr2
.LBB25_5193:
	s_and_not1_saveexec_b32 s22, s22
	s_cbranch_execz .LBB25_5195
; %bb.5194:
	v_cvt_f16_f32_e32 v3, v115
	flat_store_b16 v[1:2], v3
.LBB25_5195:
	s_or_b32 exec_lo, exec_lo, s22
.LBB25_5196:
	s_delay_alu instid0(SALU_CYCLE_1)
	s_or_b32 exec_lo, exec_lo, s21
                                        ; implicit-def: $vgpr3
                                        ; implicit-def: $vgpr115
                                        ; implicit-def: $vgpr1_vgpr2
.LBB25_5197:
	s_and_not1_saveexec_b32 s20, s20
	s_cbranch_execz .LBB25_5215
; %bb.5198:
	s_mov_b32 s21, exec_lo
	v_cmpx_lt_i16_e32 1, v3
	s_xor_b32 s21, exec_lo, s21
	s_cbranch_execz .LBB25_5208
; %bb.5199:
	s_mov_b32 s22, exec_lo
	v_cmpx_lt_i16_e32 2, v3
	s_xor_b32 s22, exec_lo, s22
	;; [unrolled: 5-line block ×3, first 2 shown]
	s_cbranch_execz .LBB25_5202
; %bb.5201:
	v_trunc_f32_e32 v3, v115
                                        ; implicit-def: $vgpr115
	s_delay_alu instid0(VALU_DEP_1) | instskip(SKIP_1) | instid1(VALU_DEP_2)
	v_mul_f32_e64 v4, 0x2f800000, |v3|
	v_ashrrev_i32_e32 v6, 31, v3
	v_floor_f32_e32 v4, v4
	s_delay_alu instid0(VALU_DEP_1) | instskip(SKIP_1) | instid1(VALU_DEP_2)
	v_fma_f32 v5, 0xcf800000, v4, |v3|
	v_cvt_u32_f32_e32 v4, v4
	v_cvt_u32_f32_e32 v3, v5
	s_delay_alu instid0(VALU_DEP_2) | instskip(NEXT) | instid1(VALU_DEP_2)
	v_xor_b32_e32 v4, v4, v6
	v_xor_b32_e32 v3, v3, v6
	s_delay_alu instid0(VALU_DEP_1) | instskip(NEXT) | instid1(VALU_DEP_3)
	v_sub_co_u32 v3, vcc_lo, v3, v6
	v_sub_co_ci_u32_e32 v4, vcc_lo, v4, v6, vcc_lo
	flat_store_b64 v[1:2], v[3:4]
                                        ; implicit-def: $vgpr1_vgpr2
.LBB25_5202:
	s_and_not1_saveexec_b32 s23, s23
	s_cbranch_execz .LBB25_5204
; %bb.5203:
	v_cvt_i32_f32_e32 v3, v115
	flat_store_b32 v[1:2], v3
.LBB25_5204:
	s_or_b32 exec_lo, exec_lo, s23
                                        ; implicit-def: $vgpr115
                                        ; implicit-def: $vgpr1_vgpr2
.LBB25_5205:
	s_and_not1_saveexec_b32 s22, s22
	s_cbranch_execz .LBB25_5207
; %bb.5206:
	v_cvt_i32_f32_e32 v3, v115
	flat_store_b16 v[1:2], v3
.LBB25_5207:
	s_or_b32 exec_lo, exec_lo, s22
                                        ; implicit-def: $vgpr115
                                        ; implicit-def: $vgpr1_vgpr2
                                        ; implicit-def: $vgpr3
.LBB25_5208:
	s_and_not1_saveexec_b32 s21, s21
	s_cbranch_execz .LBB25_5214
; %bb.5209:
	s_mov_b32 s22, exec_lo
	v_cmpx_lt_i16_e32 0, v3
	s_xor_b32 s22, exec_lo, s22
	s_cbranch_execz .LBB25_5211
; %bb.5210:
	v_cvt_i32_f32_e32 v3, v115
                                        ; implicit-def: $vgpr115
	flat_store_b8 v[1:2], v3
                                        ; implicit-def: $vgpr1_vgpr2
.LBB25_5211:
	s_and_not1_saveexec_b32 s22, s22
	s_cbranch_execz .LBB25_5213
; %bb.5212:
	v_trunc_f32_e32 v3, v115
	s_delay_alu instid0(VALU_DEP_1) | instskip(NEXT) | instid1(VALU_DEP_1)
	v_mul_f32_e64 v4, 0x2f800000, |v3|
	v_floor_f32_e32 v4, v4
	s_delay_alu instid0(VALU_DEP_1) | instskip(SKIP_1) | instid1(VALU_DEP_2)
	v_fma_f32 v4, 0xcf800000, v4, |v3|
	v_ashrrev_i32_e32 v3, 31, v3
	v_cvt_u32_f32_e32 v4, v4
	s_delay_alu instid0(VALU_DEP_1) | instskip(NEXT) | instid1(VALU_DEP_1)
	v_xor_b32_e32 v4, v4, v3
	v_sub_nc_u32_e32 v3, v4, v3
	flat_store_b8 v[1:2], v3
.LBB25_5213:
	s_or_b32 exec_lo, exec_lo, s22
.LBB25_5214:
	s_delay_alu instid0(SALU_CYCLE_1)
	s_or_b32 exec_lo, exec_lo, s21
.LBB25_5215:
	s_delay_alu instid0(SALU_CYCLE_1) | instskip(NEXT) | instid1(SALU_CYCLE_1)
	s_or_b32 exec_lo, exec_lo, s20
	s_or_b32 s0, s0, exec_lo
	s_or_b32 exec_lo, exec_lo, s17
	s_mov_b32 s20, 0
	s_and_saveexec_b32 s17, s0
	s_cbranch_execnz .LBB25_3896
	s_branch .LBB25_3897
.LBB25_5216:
	v_bfe_u32 v3, v130, 21, 1
	s_mov_b32 s13, exec_lo
	s_delay_alu instid0(VALU_DEP_1) | instskip(NEXT) | instid1(VALU_DEP_1)
	v_add3_u32 v3, v130, v3, 0x88fffff
	v_lshrrev_b32_e32 v3, 21, v3
	s_or_saveexec_b32 s14, s14
                                        ; implicit-def: $sgpr15
	s_delay_alu instid0(SALU_CYCLE_1)
	s_xor_b32 exec_lo, exec_lo, s14
	s_cbranch_execz .LBB25_4389
.LBB25_5217:
	v_add_f32_e64 v3, 0x42800000, |v130|
	s_and_not1_b32 s13, s13, exec_lo
	s_mov_b32 s15, 0
	s_delay_alu instid0(VALU_DEP_1) | instskip(NEXT) | instid1(VALU_DEP_1)
	v_and_b32_e32 v3, 0xff, v3
	v_cmp_ne_u32_e32 vcc_lo, 0, v3
	s_and_b32 s16, vcc_lo, exec_lo
	s_delay_alu instid0(SALU_CYCLE_1)
	s_or_b32 s13, s13, s16
	s_or_b32 exec_lo, exec_lo, s14
	v_mov_b32_e32 v4, s15
	s_and_saveexec_b32 s14, s13
	s_cbranch_execnz .LBB25_4390
	s_branch .LBB25_4391
.LBB25_5218:
	v_bfe_u32 v3, v129, 20, 1
	s_mov_b32 s14, exec_lo
	s_delay_alu instid0(VALU_DEP_1) | instskip(NEXT) | instid1(VALU_DEP_1)
	v_add3_u32 v3, v129, v3, 0x487ffff
	v_lshrrev_b32_e32 v3, 20, v3
	s_or_saveexec_b32 s15, s15
                                        ; implicit-def: $sgpr16
	s_delay_alu instid0(SALU_CYCLE_1)
	s_xor_b32 exec_lo, exec_lo, s15
	s_cbranch_execz .LBB25_4502
.LBB25_5219:
	v_add_f32_e64 v3, 0x46000000, |v129|
	s_and_not1_b32 s14, s14, exec_lo
	s_mov_b32 s16, 0
	s_delay_alu instid0(VALU_DEP_1) | instskip(NEXT) | instid1(VALU_DEP_1)
	v_and_b32_e32 v3, 0xff, v3
	v_cmp_ne_u32_e32 vcc_lo, 0, v3
	s_and_b32 s17, vcc_lo, exec_lo
	s_delay_alu instid0(SALU_CYCLE_1)
	s_or_b32 s14, s14, s17
	s_or_b32 exec_lo, exec_lo, s15
	v_mov_b32_e32 v4, s16
	s_and_saveexec_b32 s15, s14
	s_cbranch_execnz .LBB25_4503
	s_branch .LBB25_4504
.LBB25_5220:
	s_mov_b32 s21, s17
	s_mov_b32 s22, exec_lo
	v_cmpx_lt_i16_e32 25, v3
	s_xor_b32 s22, exec_lo, s22
	s_cbranch_execz .LBB25_5256
; %bb.5221:
	s_mov_b32 s23, s17
	s_mov_b32 s21, exec_lo
	v_cmpx_lt_i16_e32 28, v3
	s_xor_b32 s21, exec_lo, s21
	s_cbranch_execz .LBB25_5239
; %bb.5222:
	;; [unrolled: 6-line block ×3, first 2 shown]
	s_mov_b32 s24, 0
	s_mov_b32 s25, s17
	s_mov_b32 s0, exec_lo
	v_cmpx_lt_i16_e32 45, v3
	s_xor_b32 s0, exec_lo, s0
	s_cbranch_execz .LBB25_5227
; %bb.5224:
	s_mov_b32 s26, -1
	s_mov_b32 s25, exec_lo
	v_cmpx_eq_u16_e32 46, v3
	s_cbranch_execz .LBB25_5226
; %bb.5225:
	v_bfe_u32 v3, v114, 16, 1
	v_cmp_o_f32_e32 vcc_lo, v114, v114
	s_mov_b32 s24, exec_lo
	s_xor_b32 s26, exec_lo, -1
	s_delay_alu instid0(VALU_DEP_2) | instskip(NEXT) | instid1(VALU_DEP_1)
	v_add3_u32 v3, v114, v3, 0x7fff
	v_lshrrev_b32_e32 v3, 16, v3
	s_delay_alu instid0(VALU_DEP_1)
	v_cndmask_b32_e32 v3, 0x7fc0, v3, vcc_lo
	flat_store_b32 v[1:2], v3
.LBB25_5226:
	s_or_b32 exec_lo, exec_lo, s25
	s_delay_alu instid0(SALU_CYCLE_1)
	s_and_not1_b32 s25, s17, exec_lo
	s_and_b32 s26, s26, exec_lo
	s_and_b32 s24, s24, exec_lo
	s_or_b32 s25, s25, s26
                                        ; implicit-def: $vgpr3
                                        ; implicit-def: $vgpr1_vgpr2
                                        ; implicit-def: $vgpr114
.LBB25_5227:
	s_and_not1_saveexec_b32 s26, s0
	s_cbranch_execz .LBB25_5233
; %bb.5228:
	s_mov_b32 s28, -1
	s_mov_b32 s0, s24
	s_mov_b32 s27, exec_lo
	v_cmpx_eq_u16_e32 44, v3
	s_cbranch_execz .LBB25_5232
; %bb.5229:
	v_bfe_u32 v4, v114, 23, 8
	v_mov_b32_e32 v3, 0xff
	s_mov_b32 s28, exec_lo
	s_delay_alu instid0(VALU_DEP_2)
	v_cmpx_ne_u32_e32 0xff, v4
; %bb.5230:
	v_and_b32_e32 v3, 0x400000, v114
	v_and_or_b32 v4, 0x3fffff, v114, v4
	s_delay_alu instid0(VALU_DEP_2) | instskip(NEXT) | instid1(VALU_DEP_2)
	v_cmp_ne_u32_e32 vcc_lo, 0, v3
	v_cmp_ne_u32_e64 s0, 0, v4
	v_lshrrev_b32_e32 v3, 23, v114
	s_delay_alu instid0(VALU_DEP_2) | instskip(NEXT) | instid1(SALU_CYCLE_1)
	s_and_b32 s0, vcc_lo, s0
	v_cndmask_b32_e64 v4, 0, 1, s0
	s_delay_alu instid0(VALU_DEP_1)
	v_add_nc_u32_e32 v3, v3, v4
; %bb.5231:
	s_or_b32 exec_lo, exec_lo, s28
	s_delay_alu instid0(SALU_CYCLE_1)
	s_xor_b32 s28, exec_lo, -1
	s_or_b32 s0, s24, exec_lo
	flat_store_b8 v[1:2], v3
.LBB25_5232:
	s_or_b32 exec_lo, exec_lo, s27
	s_delay_alu instid0(SALU_CYCLE_1)
	s_and_not1_b32 s25, s25, exec_lo
	s_and_b32 s27, s28, exec_lo
	s_and_not1_b32 s24, s24, exec_lo
	s_and_b32 s0, s0, exec_lo
	s_or_b32 s25, s25, s27
	s_or_b32 s24, s24, s0
.LBB25_5233:
	s_or_b32 exec_lo, exec_lo, s26
	s_delay_alu instid0(SALU_CYCLE_1) | instskip(SKIP_1) | instid1(SALU_CYCLE_1)
	s_and_not1_b32 s0, s17, exec_lo
	s_and_b32 s25, s25, exec_lo
                                        ; implicit-def: $vgpr3
                                        ; implicit-def: $vgpr114
                                        ; implicit-def: $vgpr1_vgpr2
	s_or_b32 s25, s0, s25
	s_and_b32 s0, s24, exec_lo
.LBB25_5234:
	s_and_not1_saveexec_b32 s23, s23
	s_cbranch_execz .LBB25_5238
; %bb.5235:
	s_mov_b32 s27, -1
	s_mov_b32 s26, s0
	s_mov_b32 s24, exec_lo
	v_cmpx_eq_u16_e32 29, v3
	s_cbranch_execz .LBB25_5237
; %bb.5236:
	v_trunc_f32_e32 v3, v114
	s_xor_b32 s27, exec_lo, -1
	s_or_b32 s26, s0, exec_lo
	s_delay_alu instid0(VALU_DEP_1) | instskip(NEXT) | instid1(VALU_DEP_1)
	v_mul_f32_e32 v4, 0x2f800000, v3
	v_floor_f32_e32 v4, v4
	s_delay_alu instid0(VALU_DEP_1) | instskip(SKIP_1) | instid1(VALU_DEP_2)
	v_fmamk_f32 v3, v4, 0xcf800000, v3
	v_cvt_u32_f32_e32 v4, v4
	v_cvt_u32_f32_e32 v3, v3
	flat_store_b64 v[1:2], v[3:4]
.LBB25_5237:
	s_or_b32 exec_lo, exec_lo, s24
	s_delay_alu instid0(SALU_CYCLE_1)
	s_and_not1_b32 s24, s25, exec_lo
	s_and_b32 s25, s27, exec_lo
	s_and_not1_b32 s0, s0, exec_lo
	s_and_b32 s26, s26, exec_lo
	s_or_b32 s25, s24, s25
	s_or_b32 s0, s0, s26
.LBB25_5238:
	s_or_b32 exec_lo, exec_lo, s23
	s_delay_alu instid0(SALU_CYCLE_1)
	s_and_not1_b32 s23, s17, exec_lo
	s_and_b32 s24, s25, exec_lo
	s_and_b32 s0, s0, exec_lo
	s_or_b32 s23, s23, s24
                                        ; implicit-def: $vgpr1_vgpr2
                                        ; implicit-def: $vgpr3
                                        ; implicit-def: $vgpr114
.LBB25_5239:
	s_and_not1_saveexec_b32 s21, s21
	s_cbranch_execz .LBB25_5255
; %bb.5240:
	s_mov_b32 s24, exec_lo
	v_cmpx_lt_i16_e32 26, v3
	s_xor_b32 s24, exec_lo, s24
	s_cbranch_execz .LBB25_5246
; %bb.5241:
	v_cmp_lt_i16_e32 vcc_lo, 27, v3
	v_cvt_u32_f32_e32 v3, v114
	s_and_saveexec_b32 s25, vcc_lo
	s_delay_alu instid0(SALU_CYCLE_1)
	s_xor_b32 s25, exec_lo, s25
	s_cbranch_execz .LBB25_5243
; %bb.5242:
	flat_store_b32 v[1:2], v3
                                        ; implicit-def: $vgpr1_vgpr2
                                        ; implicit-def: $vgpr3
.LBB25_5243:
	s_and_not1_saveexec_b32 s25, s25
	s_cbranch_execz .LBB25_5245
; %bb.5244:
	flat_store_b16 v[1:2], v3
.LBB25_5245:
	s_or_b32 exec_lo, exec_lo, s25
                                        ; implicit-def: $vgpr1_vgpr2
                                        ; implicit-def: $vgpr114
.LBB25_5246:
	s_and_not1_saveexec_b32 s24, s24
	s_cbranch_execz .LBB25_5254
; %bb.5247:
	v_and_b32_e32 v3, 0x7fffffff, v114
	v_mov_b32_e32 v4, 0x80
	s_mov_b32 s25, exec_lo
	s_delay_alu instid0(VALU_DEP_2)
	v_cmpx_gt_u32_e32 0x43800000, v3
	s_cbranch_execz .LBB25_5253
; %bb.5248:
	v_cmp_lt_u32_e32 vcc_lo, 0x3bffffff, v3
	s_mov_b32 s26, 0
                                        ; implicit-def: $vgpr3
	s_and_saveexec_b32 s27, vcc_lo
	s_delay_alu instid0(SALU_CYCLE_1)
	s_xor_b32 s27, exec_lo, s27
	s_cbranch_execnz .LBB25_5974
; %bb.5249:
	s_or_saveexec_b32 s27, s27
                                        ; implicit-def: $sgpr28
	s_delay_alu instid0(SALU_CYCLE_1)
	s_xor_b32 exec_lo, exec_lo, s27
	s_cbranch_execnz .LBB25_5975
.LBB25_5250:
	s_or_b32 exec_lo, exec_lo, s27
	v_mov_b32_e32 v4, s28
	s_and_saveexec_b32 s27, s26
.LBB25_5251:
	v_lshrrev_b32_e32 v4, 24, v114
	s_delay_alu instid0(VALU_DEP_1)
	v_and_or_b32 v4, 0x80, v4, v3
.LBB25_5252:
	s_or_b32 exec_lo, exec_lo, s27
.LBB25_5253:
	s_delay_alu instid0(SALU_CYCLE_1)
	s_or_b32 exec_lo, exec_lo, s25
	flat_store_b8 v[1:2], v4
.LBB25_5254:
	s_or_b32 exec_lo, exec_lo, s24
	s_delay_alu instid0(SALU_CYCLE_1)
	s_or_b32 s0, s0, exec_lo
.LBB25_5255:
	s_or_b32 exec_lo, exec_lo, s21
	s_delay_alu instid0(SALU_CYCLE_1)
	s_and_not1_b32 s21, s17, exec_lo
	s_and_b32 s23, s23, exec_lo
	s_and_b32 s0, s0, exec_lo
	s_or_b32 s21, s21, s23
                                        ; implicit-def: $vgpr3
                                        ; implicit-def: $vgpr114
                                        ; implicit-def: $vgpr1_vgpr2
.LBB25_5256:
	s_and_not1_saveexec_b32 s22, s22
	s_cbranch_execz .LBB25_5300
; %bb.5257:
	s_mov_b32 s24, s0
	s_mov_b32 s23, exec_lo
	v_cmpx_lt_i16_e32 22, v3
	s_xor_b32 s23, exec_lo, s23
	s_cbranch_execz .LBB25_5289
; %bb.5258:
	s_mov_b32 s24, exec_lo
	v_cmpx_lt_i16_e32 23, v3
	s_xor_b32 s24, exec_lo, s24
	s_cbranch_execz .LBB25_5278
; %bb.5259:
	;; [unrolled: 5-line block ×3, first 2 shown]
	v_and_b32_e32 v3, 0x7fffffff, v114
	v_mov_b32_e32 v4, 0x80
	s_mov_b32 s26, exec_lo
	s_delay_alu instid0(VALU_DEP_2)
	v_cmpx_gt_u32_e32 0x47800000, v3
	s_cbranch_execz .LBB25_5266
; %bb.5261:
	v_cmp_lt_u32_e32 vcc_lo, 0x37ffffff, v3
	s_mov_b32 s27, 0
                                        ; implicit-def: $vgpr3
	s_and_saveexec_b32 s28, vcc_lo
	s_delay_alu instid0(SALU_CYCLE_1)
	s_xor_b32 s28, exec_lo, s28
	s_cbranch_execnz .LBB25_6098
; %bb.5262:
	s_or_saveexec_b32 s28, s28
                                        ; implicit-def: $sgpr29
	s_delay_alu instid0(SALU_CYCLE_1)
	s_xor_b32 exec_lo, exec_lo, s28
	s_cbranch_execnz .LBB25_6099
.LBB25_5263:
	s_or_b32 exec_lo, exec_lo, s28
	v_mov_b32_e32 v4, s29
	s_and_saveexec_b32 s28, s27
.LBB25_5264:
	v_lshrrev_b32_e32 v4, 24, v114
	s_delay_alu instid0(VALU_DEP_1)
	v_and_or_b32 v4, 0x80, v4, v3
.LBB25_5265:
	s_or_b32 exec_lo, exec_lo, s28
.LBB25_5266:
	s_delay_alu instid0(SALU_CYCLE_1)
	s_or_b32 exec_lo, exec_lo, s26
	flat_store_b8 v[1:2], v4
                                        ; implicit-def: $vgpr114
                                        ; implicit-def: $vgpr1_vgpr2
.LBB25_5267:
	s_and_not1_saveexec_b32 s25, s25
	s_cbranch_execz .LBB25_5277
; %bb.5268:
	v_and_b32_e32 v4, 0x7fffffff, v114
	s_mov_b32 s26, exec_lo
                                        ; implicit-def: $vgpr3
	s_delay_alu instid0(VALU_DEP_1)
	v_cmpx_gt_u32_e32 0x43f00000, v4
	s_xor_b32 s26, exec_lo, s26
	s_cbranch_execz .LBB25_5274
; %bb.5269:
	s_mov_b32 s27, exec_lo
                                        ; implicit-def: $vgpr3
	v_cmpx_lt_u32_e32 0x3c7fffff, v4
	s_xor_b32 s27, exec_lo, s27
; %bb.5270:
	v_bfe_u32 v3, v114, 20, 1
	s_delay_alu instid0(VALU_DEP_1) | instskip(NEXT) | instid1(VALU_DEP_1)
	v_add3_u32 v3, v114, v3, 0x407ffff
	v_and_b32_e32 v4, 0xff00000, v3
	v_lshrrev_b32_e32 v3, 20, v3
	s_delay_alu instid0(VALU_DEP_2) | instskip(NEXT) | instid1(VALU_DEP_2)
	v_cmp_ne_u32_e32 vcc_lo, 0x7f00000, v4
	v_cndmask_b32_e32 v3, 0x7e, v3, vcc_lo
; %bb.5271:
	s_and_not1_saveexec_b32 s27, s27
; %bb.5272:
	v_add_f32_e64 v3, 0x46800000, |v114|
; %bb.5273:
	s_or_b32 exec_lo, exec_lo, s27
                                        ; implicit-def: $vgpr4
.LBB25_5274:
	s_and_not1_saveexec_b32 s26, s26
; %bb.5275:
	v_mov_b32_e32 v3, 0x7f
	v_cmp_lt_u32_e32 vcc_lo, 0x7f800000, v4
	s_delay_alu instid0(VALU_DEP_2)
	v_cndmask_b32_e32 v3, 0x7e, v3, vcc_lo
; %bb.5276:
	s_or_b32 exec_lo, exec_lo, s26
	v_lshrrev_b32_e32 v4, 24, v114
	s_delay_alu instid0(VALU_DEP_1)
	v_and_or_b32 v3, 0x80, v4, v3
	flat_store_b8 v[1:2], v3
.LBB25_5277:
	s_or_b32 exec_lo, exec_lo, s25
                                        ; implicit-def: $vgpr114
                                        ; implicit-def: $vgpr1_vgpr2
.LBB25_5278:
	s_and_not1_saveexec_b32 s24, s24
	s_cbranch_execz .LBB25_5288
; %bb.5279:
	v_and_b32_e32 v4, 0x7fffffff, v114
	s_mov_b32 s25, exec_lo
                                        ; implicit-def: $vgpr3
	s_delay_alu instid0(VALU_DEP_1)
	v_cmpx_gt_u32_e32 0x47800000, v4
	s_xor_b32 s25, exec_lo, s25
	s_cbranch_execz .LBB25_5285
; %bb.5280:
	s_mov_b32 s26, exec_lo
                                        ; implicit-def: $vgpr3
	v_cmpx_lt_u32_e32 0x387fffff, v4
	s_xor_b32 s26, exec_lo, s26
; %bb.5281:
	v_bfe_u32 v3, v114, 21, 1
	s_delay_alu instid0(VALU_DEP_1) | instskip(NEXT) | instid1(VALU_DEP_1)
	v_add3_u32 v3, v114, v3, 0x80fffff
	v_lshrrev_b32_e32 v3, 21, v3
; %bb.5282:
	s_and_not1_saveexec_b32 s26, s26
; %bb.5283:
	v_add_f32_e64 v3, 0x43000000, |v114|
; %bb.5284:
	s_or_b32 exec_lo, exec_lo, s26
                                        ; implicit-def: $vgpr4
.LBB25_5285:
	s_and_not1_saveexec_b32 s25, s25
; %bb.5286:
	v_mov_b32_e32 v3, 0x7f
	v_cmp_lt_u32_e32 vcc_lo, 0x7f800000, v4
	s_delay_alu instid0(VALU_DEP_2)
	v_cndmask_b32_e32 v3, 0x7c, v3, vcc_lo
; %bb.5287:
	s_or_b32 exec_lo, exec_lo, s25
	v_lshrrev_b32_e32 v4, 24, v114
	s_delay_alu instid0(VALU_DEP_1)
	v_and_or_b32 v3, 0x80, v4, v3
	flat_store_b8 v[1:2], v3
.LBB25_5288:
	s_or_b32 exec_lo, exec_lo, s24
	s_delay_alu instid0(SALU_CYCLE_1)
	s_or_b32 s24, s0, exec_lo
                                        ; implicit-def: $vgpr3
                                        ; implicit-def: $vgpr114
                                        ; implicit-def: $vgpr1_vgpr2
.LBB25_5289:
	s_or_saveexec_b32 s23, s23
	s_mov_b32 s25, s21
	s_xor_b32 exec_lo, exec_lo, s23
	s_cbranch_execz .LBB25_5299
; %bb.5290:
	s_mov_b32 s25, s24
	s_mov_b32 s26, s21
	s_mov_b32 s27, exec_lo
	v_cmpx_lt_i16_e32 14, v3
	s_xor_b32 s27, exec_lo, s27
	s_cbranch_execz .LBB25_5294
; %bb.5291:
	s_mov_b32 s28, -1
	s_mov_b32 s25, s24
	s_mov_b32 s26, exec_lo
	v_cmpx_eq_u16_e32 15, v3
	s_cbranch_execz .LBB25_5293
; %bb.5292:
	v_bfe_u32 v3, v114, 16, 1
	v_cmp_o_f32_e32 vcc_lo, v114, v114
	s_xor_b32 s28, exec_lo, -1
	s_or_b32 s25, s24, exec_lo
	s_delay_alu instid0(VALU_DEP_2) | instskip(NEXT) | instid1(VALU_DEP_1)
	v_add3_u32 v3, v114, v3, 0x7fff
	v_lshrrev_b32_e32 v3, 16, v3
	s_delay_alu instid0(VALU_DEP_1)
	v_cndmask_b32_e32 v3, 0x7fc0, v3, vcc_lo
	flat_store_b16 v[1:2], v3
.LBB25_5293:
	s_or_b32 exec_lo, exec_lo, s26
	s_delay_alu instid0(SALU_CYCLE_1)
	s_and_not1_b32 s26, s21, exec_lo
	s_and_b32 s28, s28, exec_lo
	s_and_not1_b32 s29, s24, exec_lo
	s_and_b32 s25, s25, exec_lo
	s_or_b32 s26, s26, s28
	s_or_b32 s25, s29, s25
                                        ; implicit-def: $vgpr3
                                        ; implicit-def: $vgpr114
                                        ; implicit-def: $vgpr1_vgpr2
.LBB25_5294:
	s_and_not1_saveexec_b32 s27, s27
	s_cbranch_execz .LBB25_5298
; %bb.5295:
	s_mov_b32 s29, -1
	s_mov_b32 s28, s25
	s_mov_b32 vcc_hi, exec_lo
	v_cmpx_eq_u16_e32 11, v3
	s_cbranch_execz .LBB25_5297
; %bb.5296:
	v_cmp_neq_f32_e32 vcc_lo, 0, v114
	s_xor_b32 s29, exec_lo, -1
	s_or_b32 s28, s25, exec_lo
	v_cndmask_b32_e64 v3, 0, 1, vcc_lo
	flat_store_b8 v[1:2], v3
.LBB25_5297:
	s_or_b32 exec_lo, exec_lo, vcc_hi
	s_delay_alu instid0(SALU_CYCLE_1)
	s_and_not1_b32 s26, s26, exec_lo
	s_and_b32 s29, s29, exec_lo
	s_and_not1_b32 s25, s25, exec_lo
	s_and_b32 s28, s28, exec_lo
	s_or_b32 s26, s26, s29
	s_or_b32 s25, s25, s28
.LBB25_5298:
	s_or_b32 exec_lo, exec_lo, s27
	s_delay_alu instid0(SALU_CYCLE_1)
	s_and_not1_b32 s27, s21, exec_lo
	s_and_b32 s26, s26, exec_lo
	s_and_not1_b32 s24, s24, exec_lo
	s_and_b32 s28, s25, exec_lo
	s_or_b32 s25, s27, s26
	s_or_b32 s24, s24, s28
.LBB25_5299:
	s_or_b32 exec_lo, exec_lo, s23
	s_delay_alu instid0(SALU_CYCLE_1)
	s_and_not1_b32 s21, s21, exec_lo
	s_and_b32 s23, s25, exec_lo
	s_and_not1_b32 s0, s0, exec_lo
	s_and_b32 s24, s24, exec_lo
	s_or_b32 s21, s21, s23
	s_or_b32 s0, s0, s24
.LBB25_5300:
	s_or_b32 exec_lo, exec_lo, s22
	s_delay_alu instid0(SALU_CYCLE_1)
	s_and_not1_b32 s22, s17, exec_lo
	s_and_b32 s21, s21, exec_lo
	s_and_b32 s0, s0, exec_lo
	s_or_b32 s21, s22, s21
                                        ; implicit-def: $vgpr3
                                        ; implicit-def: $vgpr114
                                        ; implicit-def: $vgpr1_vgpr2
	s_and_not1_saveexec_b32 s19, s19
	s_cbranch_execz .LBB25_3902
.LBB25_5301:
	s_mov_b32 s22, exec_lo
	v_cmpx_lt_i16_e32 4, v3
	s_xor_b32 s22, exec_lo, s22
	s_cbranch_execz .LBB25_5323
; %bb.5302:
	s_mov_b32 s23, exec_lo
	v_cmpx_lt_i16_e32 7, v3
	s_xor_b32 s23, exec_lo, s23
	s_cbranch_execz .LBB25_5312
; %bb.5303:
	;; [unrolled: 5-line block ×4, first 2 shown]
	v_cvt_f64_f32_e32 v[3:4], v114
	v_mov_b32_e32 v5, 0
                                        ; implicit-def: $vgpr114
	s_delay_alu instid0(VALU_DEP_1)
	v_mov_b32_e32 v6, v5
	flat_store_b128 v[1:2], v[3:6]
                                        ; implicit-def: $vgpr1_vgpr2
.LBB25_5306:
	s_and_not1_saveexec_b32 s25, s25
	s_cbranch_execz .LBB25_5308
; %bb.5307:
	v_mov_b32_e32 v115, 0
	flat_store_b64 v[1:2], v[114:115]
.LBB25_5308:
	s_or_b32 exec_lo, exec_lo, s25
                                        ; implicit-def: $vgpr114
                                        ; implicit-def: $vgpr1_vgpr2
.LBB25_5309:
	s_and_not1_saveexec_b32 s24, s24
	s_cbranch_execz .LBB25_5311
; %bb.5310:
	v_cvt_f16_f32_e32 v3, v114
	s_delay_alu instid0(VALU_DEP_1)
	v_and_b32_e32 v3, 0xffff, v3
	flat_store_b32 v[1:2], v3
.LBB25_5311:
	s_or_b32 exec_lo, exec_lo, s24
                                        ; implicit-def: $vgpr114
                                        ; implicit-def: $vgpr1_vgpr2
                                        ; implicit-def: $vgpr3
.LBB25_5312:
	s_and_not1_saveexec_b32 s23, s23
	s_cbranch_execz .LBB25_5322
; %bb.5313:
	s_mov_b32 s24, exec_lo
	v_cmpx_lt_i16_e32 5, v3
	s_xor_b32 s24, exec_lo, s24
	s_cbranch_execz .LBB25_5319
; %bb.5314:
	s_mov_b32 s25, exec_lo
	v_cmpx_lt_i16_e32 6, v3
	s_xor_b32 s25, exec_lo, s25
	s_cbranch_execz .LBB25_5316
; %bb.5315:
	v_cvt_f64_f32_e32 v[3:4], v114
                                        ; implicit-def: $vgpr114
	flat_store_b64 v[1:2], v[3:4]
                                        ; implicit-def: $vgpr1_vgpr2
.LBB25_5316:
	s_and_not1_saveexec_b32 s25, s25
	s_cbranch_execz .LBB25_5318
; %bb.5317:
	flat_store_b32 v[1:2], v114
.LBB25_5318:
	s_or_b32 exec_lo, exec_lo, s25
                                        ; implicit-def: $vgpr114
                                        ; implicit-def: $vgpr1_vgpr2
.LBB25_5319:
	s_and_not1_saveexec_b32 s24, s24
	s_cbranch_execz .LBB25_5321
; %bb.5320:
	v_cvt_f16_f32_e32 v3, v114
	flat_store_b16 v[1:2], v3
.LBB25_5321:
	s_or_b32 exec_lo, exec_lo, s24
.LBB25_5322:
	s_delay_alu instid0(SALU_CYCLE_1)
	s_or_b32 exec_lo, exec_lo, s23
                                        ; implicit-def: $vgpr3
                                        ; implicit-def: $vgpr114
                                        ; implicit-def: $vgpr1_vgpr2
.LBB25_5323:
	s_and_not1_saveexec_b32 s22, s22
	s_cbranch_execz .LBB25_5341
; %bb.5324:
	s_mov_b32 s23, exec_lo
	v_cmpx_lt_i16_e32 1, v3
	s_xor_b32 s23, exec_lo, s23
	s_cbranch_execz .LBB25_5334
; %bb.5325:
	s_mov_b32 s24, exec_lo
	v_cmpx_lt_i16_e32 2, v3
	s_xor_b32 s24, exec_lo, s24
	;; [unrolled: 5-line block ×3, first 2 shown]
	s_cbranch_execz .LBB25_5328
; %bb.5327:
	v_trunc_f32_e32 v3, v114
                                        ; implicit-def: $vgpr114
	s_delay_alu instid0(VALU_DEP_1) | instskip(SKIP_1) | instid1(VALU_DEP_2)
	v_mul_f32_e64 v4, 0x2f800000, |v3|
	v_ashrrev_i32_e32 v6, 31, v3
	v_floor_f32_e32 v4, v4
	s_delay_alu instid0(VALU_DEP_1) | instskip(SKIP_1) | instid1(VALU_DEP_2)
	v_fma_f32 v5, 0xcf800000, v4, |v3|
	v_cvt_u32_f32_e32 v4, v4
	v_cvt_u32_f32_e32 v3, v5
	s_delay_alu instid0(VALU_DEP_2) | instskip(NEXT) | instid1(VALU_DEP_2)
	v_xor_b32_e32 v4, v4, v6
	v_xor_b32_e32 v3, v3, v6
	s_delay_alu instid0(VALU_DEP_1) | instskip(NEXT) | instid1(VALU_DEP_3)
	v_sub_co_u32 v3, vcc_lo, v3, v6
	v_sub_co_ci_u32_e32 v4, vcc_lo, v4, v6, vcc_lo
	flat_store_b64 v[1:2], v[3:4]
                                        ; implicit-def: $vgpr1_vgpr2
.LBB25_5328:
	s_and_not1_saveexec_b32 s25, s25
	s_cbranch_execz .LBB25_5330
; %bb.5329:
	v_cvt_i32_f32_e32 v3, v114
	flat_store_b32 v[1:2], v3
.LBB25_5330:
	s_or_b32 exec_lo, exec_lo, s25
                                        ; implicit-def: $vgpr114
                                        ; implicit-def: $vgpr1_vgpr2
.LBB25_5331:
	s_and_not1_saveexec_b32 s24, s24
	s_cbranch_execz .LBB25_5333
; %bb.5332:
	v_cvt_i32_f32_e32 v3, v114
	flat_store_b16 v[1:2], v3
.LBB25_5333:
	s_or_b32 exec_lo, exec_lo, s24
                                        ; implicit-def: $vgpr114
                                        ; implicit-def: $vgpr1_vgpr2
                                        ; implicit-def: $vgpr3
.LBB25_5334:
	s_and_not1_saveexec_b32 s23, s23
	s_cbranch_execz .LBB25_5340
; %bb.5335:
	s_mov_b32 s24, exec_lo
	v_cmpx_lt_i16_e32 0, v3
	s_xor_b32 s24, exec_lo, s24
	s_cbranch_execz .LBB25_5337
; %bb.5336:
	v_cvt_i32_f32_e32 v3, v114
                                        ; implicit-def: $vgpr114
	flat_store_b8 v[1:2], v3
                                        ; implicit-def: $vgpr1_vgpr2
.LBB25_5337:
	s_and_not1_saveexec_b32 s24, s24
	s_cbranch_execz .LBB25_5339
; %bb.5338:
	v_trunc_f32_e32 v3, v114
	s_delay_alu instid0(VALU_DEP_1) | instskip(NEXT) | instid1(VALU_DEP_1)
	v_mul_f32_e64 v4, 0x2f800000, |v3|
	v_floor_f32_e32 v4, v4
	s_delay_alu instid0(VALU_DEP_1) | instskip(SKIP_1) | instid1(VALU_DEP_2)
	v_fma_f32 v4, 0xcf800000, v4, |v3|
	v_ashrrev_i32_e32 v3, 31, v3
	v_cvt_u32_f32_e32 v4, v4
	s_delay_alu instid0(VALU_DEP_1) | instskip(NEXT) | instid1(VALU_DEP_1)
	v_xor_b32_e32 v4, v4, v3
	v_sub_nc_u32_e32 v3, v4, v3
	flat_store_b8 v[1:2], v3
.LBB25_5339:
	s_or_b32 exec_lo, exec_lo, s24
.LBB25_5340:
	s_delay_alu instid0(SALU_CYCLE_1)
	s_or_b32 exec_lo, exec_lo, s23
.LBB25_5341:
	s_delay_alu instid0(SALU_CYCLE_1) | instskip(NEXT) | instid1(SALU_CYCLE_1)
	s_or_b32 exec_lo, exec_lo, s22
	s_or_b32 s0, s0, exec_lo
	s_or_b32 exec_lo, exec_lo, s19
	s_mov_b32 s22, 0
	s_and_saveexec_b32 s19, s0
	s_cbranch_execnz .LBB25_3903
	s_branch .LBB25_3904
.LBB25_5342:
	v_bfe_u32 v3, v129, 21, 1
	s_mov_b32 s15, exec_lo
	s_delay_alu instid0(VALU_DEP_1) | instskip(NEXT) | instid1(VALU_DEP_1)
	v_add3_u32 v3, v129, v3, 0x88fffff
	v_lshrrev_b32_e32 v3, 21, v3
	s_or_saveexec_b32 s16, s16
                                        ; implicit-def: $sgpr17
	s_delay_alu instid0(SALU_CYCLE_1)
	s_xor_b32 exec_lo, exec_lo, s16
	s_cbranch_execz .LBB25_4515
.LBB25_5343:
	v_add_f32_e64 v3, 0x42800000, |v129|
	s_and_not1_b32 s15, s15, exec_lo
	s_mov_b32 s17, 0
	s_delay_alu instid0(VALU_DEP_1) | instskip(NEXT) | instid1(VALU_DEP_1)
	v_and_b32_e32 v3, 0xff, v3
	v_cmp_ne_u32_e32 vcc_lo, 0, v3
	s_and_b32 s18, vcc_lo, exec_lo
	s_delay_alu instid0(SALU_CYCLE_1)
	s_or_b32 s15, s15, s18
	s_or_b32 exec_lo, exec_lo, s16
	v_mov_b32_e32 v4, s17
	s_and_saveexec_b32 s16, s15
	s_cbranch_execnz .LBB25_4516
	s_branch .LBB25_4517
.LBB25_5344:
	v_bfe_u32 v3, v128, 20, 1
	s_mov_b32 s16, exec_lo
	s_delay_alu instid0(VALU_DEP_1) | instskip(NEXT) | instid1(VALU_DEP_1)
	v_add3_u32 v3, v128, v3, 0x487ffff
	v_lshrrev_b32_e32 v3, 20, v3
	s_or_saveexec_b32 s17, s17
                                        ; implicit-def: $sgpr18
	s_delay_alu instid0(SALU_CYCLE_1)
	s_xor_b32 exec_lo, exec_lo, s17
	s_cbranch_execz .LBB25_4626
.LBB25_5345:
	v_add_f32_e64 v3, 0x46000000, |v128|
	s_and_not1_b32 s16, s16, exec_lo
	s_mov_b32 s18, 0
	s_delay_alu instid0(VALU_DEP_1) | instskip(NEXT) | instid1(VALU_DEP_1)
	v_and_b32_e32 v3, 0xff, v3
	v_cmp_ne_u32_e32 vcc_lo, 0, v3
	s_and_b32 s19, vcc_lo, exec_lo
	s_delay_alu instid0(SALU_CYCLE_1)
	s_or_b32 s16, s16, s19
	s_or_b32 exec_lo, exec_lo, s17
	v_mov_b32_e32 v4, s18
	s_and_saveexec_b32 s17, s16
	s_cbranch_execnz .LBB25_4627
	s_branch .LBB25_4628
.LBB25_5346:
	s_mov_b32 s23, s19
	s_mov_b32 s24, exec_lo
	v_cmpx_lt_i16_e32 25, v3
	s_xor_b32 s24, exec_lo, s24
	s_cbranch_execz .LBB25_5382
; %bb.5347:
	s_mov_b32 s25, s19
	s_mov_b32 s23, exec_lo
	v_cmpx_lt_i16_e32 28, v3
	s_xor_b32 s23, exec_lo, s23
	s_cbranch_execz .LBB25_5365
; %bb.5348:
	;; [unrolled: 6-line block ×3, first 2 shown]
	s_mov_b32 s26, 0
	s_mov_b32 s27, s19
	s_mov_b32 s0, exec_lo
	v_cmpx_lt_i16_e32 45, v3
	s_xor_b32 s0, exec_lo, s0
	s_cbranch_execz .LBB25_5353
; %bb.5350:
	s_mov_b32 s28, -1
	s_mov_b32 s27, exec_lo
	v_cmpx_eq_u16_e32 46, v3
	s_cbranch_execz .LBB25_5352
; %bb.5351:
	v_bfe_u32 v3, v113, 16, 1
	v_cmp_o_f32_e32 vcc_lo, v113, v113
	s_mov_b32 s26, exec_lo
	s_xor_b32 s28, exec_lo, -1
	s_delay_alu instid0(VALU_DEP_2) | instskip(NEXT) | instid1(VALU_DEP_1)
	v_add3_u32 v3, v113, v3, 0x7fff
	v_lshrrev_b32_e32 v3, 16, v3
	s_delay_alu instid0(VALU_DEP_1)
	v_cndmask_b32_e32 v3, 0x7fc0, v3, vcc_lo
	flat_store_b32 v[1:2], v3
.LBB25_5352:
	s_or_b32 exec_lo, exec_lo, s27
	s_delay_alu instid0(SALU_CYCLE_1)
	s_and_not1_b32 s27, s19, exec_lo
	s_and_b32 s28, s28, exec_lo
	s_and_b32 s26, s26, exec_lo
	s_or_b32 s27, s27, s28
                                        ; implicit-def: $vgpr3
                                        ; implicit-def: $vgpr1_vgpr2
                                        ; implicit-def: $vgpr113
.LBB25_5353:
	s_and_not1_saveexec_b32 s28, s0
	s_cbranch_execz .LBB25_5359
; %bb.5354:
	s_mov_b32 vcc_hi, -1
	s_mov_b32 s0, s26
	s_mov_b32 s29, exec_lo
	v_cmpx_eq_u16_e32 44, v3
	s_cbranch_execz .LBB25_5358
; %bb.5355:
	v_bfe_u32 v4, v113, 23, 8
	v_mov_b32_e32 v3, 0xff
	s_mov_b32 vcc_hi, exec_lo
	s_delay_alu instid0(VALU_DEP_2)
	v_cmpx_ne_u32_e32 0xff, v4
; %bb.5356:
	v_and_b32_e32 v3, 0x400000, v113
	v_and_or_b32 v4, 0x3fffff, v113, v4
	s_delay_alu instid0(VALU_DEP_2) | instskip(NEXT) | instid1(VALU_DEP_2)
	v_cmp_ne_u32_e32 vcc_lo, 0, v3
	v_cmp_ne_u32_e64 s0, 0, v4
	v_lshrrev_b32_e32 v3, 23, v113
	s_delay_alu instid0(VALU_DEP_2) | instskip(NEXT) | instid1(SALU_CYCLE_1)
	s_and_b32 s0, vcc_lo, s0
	v_cndmask_b32_e64 v4, 0, 1, s0
	s_delay_alu instid0(VALU_DEP_1)
	v_add_nc_u32_e32 v3, v3, v4
; %bb.5357:
	s_or_b32 exec_lo, exec_lo, vcc_hi
	s_delay_alu instid0(SALU_CYCLE_1)
	s_xor_b32 vcc_hi, exec_lo, -1
	s_or_b32 s0, s26, exec_lo
	flat_store_b8 v[1:2], v3
.LBB25_5358:
	s_or_b32 exec_lo, exec_lo, s29
	s_delay_alu instid0(SALU_CYCLE_1)
	s_and_not1_b32 s27, s27, exec_lo
	s_and_b32 s29, vcc_hi, exec_lo
	s_and_not1_b32 s26, s26, exec_lo
	s_and_b32 s0, s0, exec_lo
	s_or_b32 s27, s27, s29
	s_or_b32 s26, s26, s0
.LBB25_5359:
	s_or_b32 exec_lo, exec_lo, s28
	s_delay_alu instid0(SALU_CYCLE_1) | instskip(SKIP_1) | instid1(SALU_CYCLE_1)
	s_and_not1_b32 s0, s19, exec_lo
	s_and_b32 s27, s27, exec_lo
                                        ; implicit-def: $vgpr3
                                        ; implicit-def: $vgpr113
                                        ; implicit-def: $vgpr1_vgpr2
	s_or_b32 s27, s0, s27
	s_and_b32 s0, s26, exec_lo
.LBB25_5360:
	s_and_not1_saveexec_b32 s25, s25
	s_cbranch_execz .LBB25_5364
; %bb.5361:
	s_mov_b32 s29, -1
	s_mov_b32 s28, s0
	s_mov_b32 s26, exec_lo
	v_cmpx_eq_u16_e32 29, v3
	s_cbranch_execz .LBB25_5363
; %bb.5362:
	v_trunc_f32_e32 v3, v113
	s_xor_b32 s29, exec_lo, -1
	s_or_b32 s28, s0, exec_lo
	s_delay_alu instid0(VALU_DEP_1) | instskip(NEXT) | instid1(VALU_DEP_1)
	v_mul_f32_e32 v4, 0x2f800000, v3
	v_floor_f32_e32 v4, v4
	s_delay_alu instid0(VALU_DEP_1) | instskip(SKIP_1) | instid1(VALU_DEP_2)
	v_fmamk_f32 v3, v4, 0xcf800000, v3
	v_cvt_u32_f32_e32 v4, v4
	v_cvt_u32_f32_e32 v3, v3
	flat_store_b64 v[1:2], v[3:4]
.LBB25_5363:
	s_or_b32 exec_lo, exec_lo, s26
	s_delay_alu instid0(SALU_CYCLE_1)
	s_and_not1_b32 s26, s27, exec_lo
	s_and_b32 s27, s29, exec_lo
	s_and_not1_b32 s0, s0, exec_lo
	s_and_b32 s28, s28, exec_lo
	s_or_b32 s27, s26, s27
	s_or_b32 s0, s0, s28
.LBB25_5364:
	s_or_b32 exec_lo, exec_lo, s25
	s_delay_alu instid0(SALU_CYCLE_1)
	s_and_not1_b32 s25, s19, exec_lo
	s_and_b32 s26, s27, exec_lo
	s_and_b32 s0, s0, exec_lo
	s_or_b32 s25, s25, s26
                                        ; implicit-def: $vgpr1_vgpr2
                                        ; implicit-def: $vgpr3
                                        ; implicit-def: $vgpr113
.LBB25_5365:
	s_and_not1_saveexec_b32 s23, s23
	s_cbranch_execz .LBB25_5381
; %bb.5366:
	s_mov_b32 s26, exec_lo
	v_cmpx_lt_i16_e32 26, v3
	s_xor_b32 s26, exec_lo, s26
	s_cbranch_execz .LBB25_5372
; %bb.5367:
	s_mov_b32 s27, exec_lo
	v_cmpx_lt_i16_e32 27, v3
	s_xor_b32 s27, exec_lo, s27
	s_cbranch_execz .LBB25_5369
; %bb.5368:
	v_cvt_u32_f32_e32 v3, v113
                                        ; implicit-def: $vgpr113
	flat_store_b32 v[1:2], v3
                                        ; implicit-def: $vgpr1_vgpr2
.LBB25_5369:
	s_and_not1_saveexec_b32 s27, s27
	s_cbranch_execz .LBB25_5371
; %bb.5370:
	v_cvt_u32_f32_e32 v3, v113
	flat_store_b16 v[1:2], v3
.LBB25_5371:
	s_or_b32 exec_lo, exec_lo, s27
                                        ; implicit-def: $vgpr1_vgpr2
                                        ; implicit-def: $vgpr113
.LBB25_5372:
	s_and_not1_saveexec_b32 s26, s26
	s_cbranch_execz .LBB25_5380
; %bb.5373:
	v_and_b32_e32 v3, 0x7fffffff, v113
	v_mov_b32_e32 v4, 0x80
	s_mov_b32 s27, exec_lo
	s_delay_alu instid0(VALU_DEP_2)
	v_cmpx_gt_u32_e32 0x43800000, v3
	s_cbranch_execz .LBB25_5379
; %bb.5374:
	v_cmp_lt_u32_e32 vcc_lo, 0x3bffffff, v3
	s_mov_b32 s28, 0
                                        ; implicit-def: $vgpr3
	s_and_saveexec_b32 s29, vcc_lo
	s_delay_alu instid0(SALU_CYCLE_1)
	s_xor_b32 s29, exec_lo, s29
	s_cbranch_execnz .LBB25_6100
; %bb.5375:
	s_or_saveexec_b32 s29, s29
                                        ; implicit-def: $vcc_lo
	s_delay_alu instid0(SALU_CYCLE_1)
	s_xor_b32 exec_lo, exec_lo, s29
	s_cbranch_execnz .LBB25_6101
.LBB25_5376:
	s_or_b32 exec_lo, exec_lo, s29
	v_mov_b32_e32 v4, vcc_lo
	s_and_saveexec_b32 s29, s28
.LBB25_5377:
	v_lshrrev_b32_e32 v4, 24, v113
	s_delay_alu instid0(VALU_DEP_1)
	v_and_or_b32 v4, 0x80, v4, v3
.LBB25_5378:
	s_or_b32 exec_lo, exec_lo, s29
.LBB25_5379:
	s_delay_alu instid0(SALU_CYCLE_1)
	s_or_b32 exec_lo, exec_lo, s27
	flat_store_b8 v[1:2], v4
.LBB25_5380:
	s_or_b32 exec_lo, exec_lo, s26
	s_delay_alu instid0(SALU_CYCLE_1)
	s_or_b32 s0, s0, exec_lo
.LBB25_5381:
	s_or_b32 exec_lo, exec_lo, s23
	s_delay_alu instid0(SALU_CYCLE_1)
	s_and_not1_b32 s23, s19, exec_lo
	s_and_b32 s25, s25, exec_lo
	s_and_b32 s0, s0, exec_lo
	s_or_b32 s23, s23, s25
                                        ; implicit-def: $vgpr3
                                        ; implicit-def: $vgpr113
                                        ; implicit-def: $vgpr1_vgpr2
.LBB25_5382:
	s_and_not1_saveexec_b32 s24, s24
	s_cbranch_execz .LBB25_5426
; %bb.5383:
	s_mov_b32 s26, s0
	s_mov_b32 s25, exec_lo
	v_cmpx_lt_i16_e32 22, v3
	s_xor_b32 s25, exec_lo, s25
	s_cbranch_execz .LBB25_5415
; %bb.5384:
	s_mov_b32 s26, exec_lo
	v_cmpx_lt_i16_e32 23, v3
	s_xor_b32 s26, exec_lo, s26
	s_cbranch_execz .LBB25_5404
; %bb.5385:
	;; [unrolled: 5-line block ×3, first 2 shown]
	v_and_b32_e32 v3, 0x7fffffff, v113
	v_mov_b32_e32 v4, 0x80
	s_mov_b32 s28, exec_lo
	s_delay_alu instid0(VALU_DEP_2)
	v_cmpx_gt_u32_e32 0x47800000, v3
	s_cbranch_execz .LBB25_5392
; %bb.5387:
	v_cmp_lt_u32_e32 vcc_lo, 0x37ffffff, v3
	s_mov_b32 s29, 0
                                        ; implicit-def: $vgpr3
	s_and_saveexec_b32 vcc_hi, vcc_lo
	s_delay_alu instid0(SALU_CYCLE_1)
	s_xor_b32 vcc_lo, exec_lo, vcc_hi
	s_cbranch_execnz .LBB25_6224
; %bb.5388:
	s_or_saveexec_b32 vcc_hi, vcc_lo
                                        ; implicit-def: $vcc_lo
	s_delay_alu instid0(SALU_CYCLE_1)
	s_xor_b32 exec_lo, exec_lo, vcc_hi
	s_cbranch_execnz .LBB25_6225
.LBB25_5389:
	s_or_b32 exec_lo, exec_lo, vcc_hi
	v_mov_b32_e32 v4, vcc_lo
	s_and_saveexec_b32 vcc_lo, s29
.LBB25_5390:
	v_lshrrev_b32_e32 v4, 24, v113
	s_delay_alu instid0(VALU_DEP_1)
	v_and_or_b32 v4, 0x80, v4, v3
.LBB25_5391:
	s_or_b32 exec_lo, exec_lo, vcc_lo
.LBB25_5392:
	s_delay_alu instid0(SALU_CYCLE_1)
	s_or_b32 exec_lo, exec_lo, s28
	flat_store_b8 v[1:2], v4
                                        ; implicit-def: $vgpr113
                                        ; implicit-def: $vgpr1_vgpr2
.LBB25_5393:
	s_and_not1_saveexec_b32 s27, s27
	s_cbranch_execz .LBB25_5403
; %bb.5394:
	v_and_b32_e32 v4, 0x7fffffff, v113
	s_mov_b32 s28, exec_lo
                                        ; implicit-def: $vgpr3
	s_delay_alu instid0(VALU_DEP_1)
	v_cmpx_gt_u32_e32 0x43f00000, v4
	s_xor_b32 s28, exec_lo, s28
	s_cbranch_execz .LBB25_5400
; %bb.5395:
	s_mov_b32 s29, exec_lo
                                        ; implicit-def: $vgpr3
	v_cmpx_lt_u32_e32 0x3c7fffff, v4
	s_xor_b32 s29, exec_lo, s29
; %bb.5396:
	v_bfe_u32 v3, v113, 20, 1
	s_delay_alu instid0(VALU_DEP_1) | instskip(NEXT) | instid1(VALU_DEP_1)
	v_add3_u32 v3, v113, v3, 0x407ffff
	v_and_b32_e32 v4, 0xff00000, v3
	v_lshrrev_b32_e32 v3, 20, v3
	s_delay_alu instid0(VALU_DEP_2) | instskip(NEXT) | instid1(VALU_DEP_2)
	v_cmp_ne_u32_e32 vcc_lo, 0x7f00000, v4
	v_cndmask_b32_e32 v3, 0x7e, v3, vcc_lo
; %bb.5397:
	s_and_not1_saveexec_b32 s29, s29
; %bb.5398:
	v_add_f32_e64 v3, 0x46800000, |v113|
; %bb.5399:
	s_or_b32 exec_lo, exec_lo, s29
                                        ; implicit-def: $vgpr4
.LBB25_5400:
	s_and_not1_saveexec_b32 s28, s28
; %bb.5401:
	v_mov_b32_e32 v3, 0x7f
	v_cmp_lt_u32_e32 vcc_lo, 0x7f800000, v4
	s_delay_alu instid0(VALU_DEP_2)
	v_cndmask_b32_e32 v3, 0x7e, v3, vcc_lo
; %bb.5402:
	s_or_b32 exec_lo, exec_lo, s28
	v_lshrrev_b32_e32 v4, 24, v113
	s_delay_alu instid0(VALU_DEP_1)
	v_and_or_b32 v3, 0x80, v4, v3
	flat_store_b8 v[1:2], v3
.LBB25_5403:
	s_or_b32 exec_lo, exec_lo, s27
                                        ; implicit-def: $vgpr113
                                        ; implicit-def: $vgpr1_vgpr2
.LBB25_5404:
	s_and_not1_saveexec_b32 s26, s26
	s_cbranch_execz .LBB25_5414
; %bb.5405:
	v_and_b32_e32 v4, 0x7fffffff, v113
	s_mov_b32 s27, exec_lo
                                        ; implicit-def: $vgpr3
	s_delay_alu instid0(VALU_DEP_1)
	v_cmpx_gt_u32_e32 0x47800000, v4
	s_xor_b32 s27, exec_lo, s27
	s_cbranch_execz .LBB25_5411
; %bb.5406:
	s_mov_b32 s28, exec_lo
                                        ; implicit-def: $vgpr3
	v_cmpx_lt_u32_e32 0x387fffff, v4
	s_xor_b32 s28, exec_lo, s28
; %bb.5407:
	v_bfe_u32 v3, v113, 21, 1
	s_delay_alu instid0(VALU_DEP_1) | instskip(NEXT) | instid1(VALU_DEP_1)
	v_add3_u32 v3, v113, v3, 0x80fffff
	v_lshrrev_b32_e32 v3, 21, v3
; %bb.5408:
	s_and_not1_saveexec_b32 s28, s28
; %bb.5409:
	v_add_f32_e64 v3, 0x43000000, |v113|
; %bb.5410:
	s_or_b32 exec_lo, exec_lo, s28
                                        ; implicit-def: $vgpr4
.LBB25_5411:
	s_and_not1_saveexec_b32 s27, s27
; %bb.5412:
	v_mov_b32_e32 v3, 0x7f
	v_cmp_lt_u32_e32 vcc_lo, 0x7f800000, v4
	s_delay_alu instid0(VALU_DEP_2)
	v_cndmask_b32_e32 v3, 0x7c, v3, vcc_lo
; %bb.5413:
	s_or_b32 exec_lo, exec_lo, s27
	v_lshrrev_b32_e32 v4, 24, v113
	s_delay_alu instid0(VALU_DEP_1)
	v_and_or_b32 v3, 0x80, v4, v3
	flat_store_b8 v[1:2], v3
.LBB25_5414:
	s_or_b32 exec_lo, exec_lo, s26
	s_delay_alu instid0(SALU_CYCLE_1)
	s_or_b32 s26, s0, exec_lo
                                        ; implicit-def: $vgpr3
                                        ; implicit-def: $vgpr113
                                        ; implicit-def: $vgpr1_vgpr2
.LBB25_5415:
	s_or_saveexec_b32 s25, s25
	s_mov_b32 s27, s23
	s_xor_b32 exec_lo, exec_lo, s25
	s_cbranch_execz .LBB25_5425
; %bb.5416:
	s_mov_b32 s27, s26
	s_mov_b32 s28, s23
	s_mov_b32 s29, exec_lo
	v_cmpx_lt_i16_e32 14, v3
	s_xor_b32 s29, exec_lo, s29
	s_cbranch_execz .LBB25_5420
; %bb.5417:
	s_mov_b32 vcc_hi, -1
	s_mov_b32 s27, s26
	s_mov_b32 s28, exec_lo
	v_cmpx_eq_u16_e32 15, v3
	s_cbranch_execz .LBB25_5419
; %bb.5418:
	v_bfe_u32 v3, v113, 16, 1
	v_cmp_o_f32_e32 vcc_lo, v113, v113
	s_xor_b32 vcc_hi, exec_lo, -1
	s_or_b32 s27, s26, exec_lo
	s_delay_alu instid0(VALU_DEP_2) | instskip(NEXT) | instid1(VALU_DEP_1)
	v_add3_u32 v3, v113, v3, 0x7fff
	v_lshrrev_b32_e32 v3, 16, v3
	s_delay_alu instid0(VALU_DEP_1)
	v_cndmask_b32_e32 v3, 0x7fc0, v3, vcc_lo
	flat_store_b16 v[1:2], v3
.LBB25_5419:
	s_or_b32 exec_lo, exec_lo, s28
	s_delay_alu instid0(SALU_CYCLE_1)
	s_and_not1_b32 s28, s23, exec_lo
	s_and_b32 vcc_lo, vcc_hi, exec_lo
	s_and_not1_b32 vcc_hi, s26, exec_lo
	s_and_b32 s27, s27, exec_lo
	s_or_b32 s28, s28, vcc_lo
	s_or_b32 s27, vcc_hi, s27
                                        ; implicit-def: $vgpr3
                                        ; implicit-def: $vgpr113
                                        ; implicit-def: $vgpr1_vgpr2
.LBB25_5420:
	s_and_not1_saveexec_b32 s29, s29
	s_cbranch_execz .LBB25_5424
; %bb.5421:
	s_mov_b32 s30, -1
	s_mov_b32 vcc_hi, s27
	s_mov_b32 s31, exec_lo
	v_cmpx_eq_u16_e32 11, v3
	s_cbranch_execz .LBB25_5423
; %bb.5422:
	v_cmp_neq_f32_e32 vcc_lo, 0, v113
	s_xor_b32 s30, exec_lo, -1
	s_or_b32 vcc_hi, s27, exec_lo
	v_cndmask_b32_e64 v3, 0, 1, vcc_lo
	flat_store_b8 v[1:2], v3
.LBB25_5423:
	s_or_b32 exec_lo, exec_lo, s31
	s_delay_alu instid0(SALU_CYCLE_1)
	s_and_not1_b32 s28, s28, exec_lo
	s_and_b32 vcc_lo, s30, exec_lo
	s_and_not1_b32 s27, s27, exec_lo
	s_and_b32 vcc_hi, vcc_hi, exec_lo
	s_or_b32 s28, s28, vcc_lo
	s_or_b32 s27, s27, vcc_hi
.LBB25_5424:
	s_or_b32 exec_lo, exec_lo, s29
	s_delay_alu instid0(SALU_CYCLE_1)
	s_and_not1_b32 s29, s23, exec_lo
	s_and_b32 s28, s28, exec_lo
	s_and_not1_b32 s26, s26, exec_lo
	s_and_b32 vcc_lo, s27, exec_lo
	s_or_b32 s27, s29, s28
	s_or_b32 s26, s26, vcc_lo
.LBB25_5425:
	s_or_b32 exec_lo, exec_lo, s25
	s_delay_alu instid0(SALU_CYCLE_1)
	s_and_not1_b32 s23, s23, exec_lo
	s_and_b32 s25, s27, exec_lo
	s_and_not1_b32 s0, s0, exec_lo
	s_and_b32 s26, s26, exec_lo
	s_or_b32 s23, s23, s25
	s_or_b32 s0, s0, s26
.LBB25_5426:
	s_or_b32 exec_lo, exec_lo, s24
	s_delay_alu instid0(SALU_CYCLE_1)
	s_and_not1_b32 s24, s19, exec_lo
	s_and_b32 s23, s23, exec_lo
	s_and_b32 s0, s0, exec_lo
	s_or_b32 s23, s24, s23
                                        ; implicit-def: $vgpr3
                                        ; implicit-def: $vgpr113
                                        ; implicit-def: $vgpr1_vgpr2
	s_and_not1_saveexec_b32 s21, s21
	s_cbranch_execz .LBB25_3909
.LBB25_5427:
	s_mov_b32 s24, exec_lo
	v_cmpx_lt_i16_e32 4, v3
	s_xor_b32 s24, exec_lo, s24
	s_cbranch_execz .LBB25_5449
; %bb.5428:
	s_mov_b32 s25, exec_lo
	v_cmpx_lt_i16_e32 7, v3
	s_xor_b32 s25, exec_lo, s25
	s_cbranch_execz .LBB25_5438
; %bb.5429:
	;; [unrolled: 5-line block ×4, first 2 shown]
	v_cvt_f64_f32_e32 v[3:4], v113
	v_mov_b32_e32 v5, 0
                                        ; implicit-def: $vgpr113
	s_delay_alu instid0(VALU_DEP_1)
	v_mov_b32_e32 v6, v5
	flat_store_b128 v[1:2], v[3:6]
                                        ; implicit-def: $vgpr1_vgpr2
.LBB25_5432:
	s_and_not1_saveexec_b32 s27, s27
	s_cbranch_execz .LBB25_5434
; %bb.5433:
	v_mov_b32_e32 v114, 0
	flat_store_b64 v[1:2], v[113:114]
.LBB25_5434:
	s_or_b32 exec_lo, exec_lo, s27
                                        ; implicit-def: $vgpr113
                                        ; implicit-def: $vgpr1_vgpr2
.LBB25_5435:
	s_and_not1_saveexec_b32 s26, s26
	s_cbranch_execz .LBB25_5437
; %bb.5436:
	v_cvt_f16_f32_e32 v3, v113
	s_delay_alu instid0(VALU_DEP_1)
	v_and_b32_e32 v3, 0xffff, v3
	flat_store_b32 v[1:2], v3
.LBB25_5437:
	s_or_b32 exec_lo, exec_lo, s26
                                        ; implicit-def: $vgpr113
                                        ; implicit-def: $vgpr1_vgpr2
                                        ; implicit-def: $vgpr3
.LBB25_5438:
	s_and_not1_saveexec_b32 s25, s25
	s_cbranch_execz .LBB25_5448
; %bb.5439:
	s_mov_b32 s26, exec_lo
	v_cmpx_lt_i16_e32 5, v3
	s_xor_b32 s26, exec_lo, s26
	s_cbranch_execz .LBB25_5445
; %bb.5440:
	s_mov_b32 s27, exec_lo
	v_cmpx_lt_i16_e32 6, v3
	s_xor_b32 s27, exec_lo, s27
	s_cbranch_execz .LBB25_5442
; %bb.5441:
	v_cvt_f64_f32_e32 v[3:4], v113
                                        ; implicit-def: $vgpr113
	flat_store_b64 v[1:2], v[3:4]
                                        ; implicit-def: $vgpr1_vgpr2
.LBB25_5442:
	s_and_not1_saveexec_b32 s27, s27
	s_cbranch_execz .LBB25_5444
; %bb.5443:
	flat_store_b32 v[1:2], v113
.LBB25_5444:
	s_or_b32 exec_lo, exec_lo, s27
                                        ; implicit-def: $vgpr113
                                        ; implicit-def: $vgpr1_vgpr2
.LBB25_5445:
	s_and_not1_saveexec_b32 s26, s26
	s_cbranch_execz .LBB25_5447
; %bb.5446:
	v_cvt_f16_f32_e32 v3, v113
	flat_store_b16 v[1:2], v3
.LBB25_5447:
	s_or_b32 exec_lo, exec_lo, s26
.LBB25_5448:
	s_delay_alu instid0(SALU_CYCLE_1)
	s_or_b32 exec_lo, exec_lo, s25
                                        ; implicit-def: $vgpr3
                                        ; implicit-def: $vgpr113
                                        ; implicit-def: $vgpr1_vgpr2
.LBB25_5449:
	s_and_not1_saveexec_b32 s24, s24
	s_cbranch_execz .LBB25_5467
; %bb.5450:
	s_mov_b32 s25, exec_lo
	v_cmpx_lt_i16_e32 1, v3
	s_xor_b32 s25, exec_lo, s25
	s_cbranch_execz .LBB25_5460
; %bb.5451:
	s_mov_b32 s26, exec_lo
	v_cmpx_lt_i16_e32 2, v3
	s_xor_b32 s26, exec_lo, s26
	;; [unrolled: 5-line block ×3, first 2 shown]
	s_cbranch_execz .LBB25_5454
; %bb.5453:
	v_trunc_f32_e32 v3, v113
                                        ; implicit-def: $vgpr113
	s_delay_alu instid0(VALU_DEP_1) | instskip(SKIP_1) | instid1(VALU_DEP_2)
	v_mul_f32_e64 v4, 0x2f800000, |v3|
	v_ashrrev_i32_e32 v6, 31, v3
	v_floor_f32_e32 v4, v4
	s_delay_alu instid0(VALU_DEP_1) | instskip(SKIP_1) | instid1(VALU_DEP_2)
	v_fma_f32 v5, 0xcf800000, v4, |v3|
	v_cvt_u32_f32_e32 v4, v4
	v_cvt_u32_f32_e32 v3, v5
	s_delay_alu instid0(VALU_DEP_2) | instskip(NEXT) | instid1(VALU_DEP_2)
	v_xor_b32_e32 v4, v4, v6
	v_xor_b32_e32 v3, v3, v6
	s_delay_alu instid0(VALU_DEP_1) | instskip(NEXT) | instid1(VALU_DEP_3)
	v_sub_co_u32 v3, vcc_lo, v3, v6
	v_sub_co_ci_u32_e32 v4, vcc_lo, v4, v6, vcc_lo
	flat_store_b64 v[1:2], v[3:4]
                                        ; implicit-def: $vgpr1_vgpr2
.LBB25_5454:
	s_and_not1_saveexec_b32 s27, s27
	s_cbranch_execz .LBB25_5456
; %bb.5455:
	v_cvt_i32_f32_e32 v3, v113
	flat_store_b32 v[1:2], v3
.LBB25_5456:
	s_or_b32 exec_lo, exec_lo, s27
                                        ; implicit-def: $vgpr113
                                        ; implicit-def: $vgpr1_vgpr2
.LBB25_5457:
	s_and_not1_saveexec_b32 s26, s26
	s_cbranch_execz .LBB25_5459
; %bb.5458:
	v_cvt_i32_f32_e32 v3, v113
	flat_store_b16 v[1:2], v3
.LBB25_5459:
	s_or_b32 exec_lo, exec_lo, s26
                                        ; implicit-def: $vgpr113
                                        ; implicit-def: $vgpr1_vgpr2
                                        ; implicit-def: $vgpr3
.LBB25_5460:
	s_and_not1_saveexec_b32 s25, s25
	s_cbranch_execz .LBB25_5466
; %bb.5461:
	s_mov_b32 s26, exec_lo
	v_cmpx_lt_i16_e32 0, v3
	s_xor_b32 s26, exec_lo, s26
	s_cbranch_execz .LBB25_5463
; %bb.5462:
	v_cvt_i32_f32_e32 v3, v113
                                        ; implicit-def: $vgpr113
	flat_store_b8 v[1:2], v3
                                        ; implicit-def: $vgpr1_vgpr2
.LBB25_5463:
	s_and_not1_saveexec_b32 s26, s26
	s_cbranch_execz .LBB25_5465
; %bb.5464:
	v_trunc_f32_e32 v3, v113
	s_delay_alu instid0(VALU_DEP_1) | instskip(NEXT) | instid1(VALU_DEP_1)
	v_mul_f32_e64 v4, 0x2f800000, |v3|
	v_floor_f32_e32 v4, v4
	s_delay_alu instid0(VALU_DEP_1) | instskip(SKIP_1) | instid1(VALU_DEP_2)
	v_fma_f32 v4, 0xcf800000, v4, |v3|
	v_ashrrev_i32_e32 v3, 31, v3
	v_cvt_u32_f32_e32 v4, v4
	s_delay_alu instid0(VALU_DEP_1) | instskip(NEXT) | instid1(VALU_DEP_1)
	v_xor_b32_e32 v4, v4, v3
	v_sub_nc_u32_e32 v3, v4, v3
	flat_store_b8 v[1:2], v3
.LBB25_5465:
	s_or_b32 exec_lo, exec_lo, s26
.LBB25_5466:
	s_delay_alu instid0(SALU_CYCLE_1)
	s_or_b32 exec_lo, exec_lo, s25
.LBB25_5467:
	s_delay_alu instid0(SALU_CYCLE_1) | instskip(NEXT) | instid1(SALU_CYCLE_1)
	s_or_b32 exec_lo, exec_lo, s24
	s_or_b32 s0, s0, exec_lo
	s_or_b32 exec_lo, exec_lo, s21
	s_mov_b32 s24, 0
	s_and_saveexec_b32 s21, s0
	s_cbranch_execnz .LBB25_3910
	s_branch .LBB25_3911
.LBB25_5468:
	v_bfe_u32 v3, v128, 21, 1
	s_mov_b32 s17, exec_lo
	s_delay_alu instid0(VALU_DEP_1) | instskip(NEXT) | instid1(VALU_DEP_1)
	v_add3_u32 v3, v128, v3, 0x88fffff
	v_lshrrev_b32_e32 v3, 21, v3
	s_or_saveexec_b32 s18, s18
                                        ; implicit-def: $sgpr19
	s_delay_alu instid0(SALU_CYCLE_1)
	s_xor_b32 exec_lo, exec_lo, s18
	s_cbranch_execz .LBB25_4639
.LBB25_5469:
	v_add_f32_e64 v3, 0x42800000, |v128|
	s_and_not1_b32 s17, s17, exec_lo
	s_mov_b32 s19, 0
	s_delay_alu instid0(VALU_DEP_1) | instskip(NEXT) | instid1(VALU_DEP_1)
	v_and_b32_e32 v3, 0xff, v3
	v_cmp_ne_u32_e32 vcc_lo, 0, v3
	s_and_b32 s20, vcc_lo, exec_lo
	s_delay_alu instid0(SALU_CYCLE_1)
	s_or_b32 s17, s17, s20
	s_or_b32 exec_lo, exec_lo, s18
	v_mov_b32_e32 v4, s19
	s_and_saveexec_b32 s18, s17
	s_cbranch_execnz .LBB25_4640
	s_branch .LBB25_4641
.LBB25_5470:
	v_bfe_u32 v3, v118, 20, 1
	s_mov_b32 s18, exec_lo
	s_delay_alu instid0(VALU_DEP_1) | instskip(NEXT) | instid1(VALU_DEP_1)
	v_add3_u32 v3, v118, v3, 0x487ffff
	v_lshrrev_b32_e32 v3, 20, v3
	s_or_saveexec_b32 s19, s19
                                        ; implicit-def: $sgpr20
	s_delay_alu instid0(SALU_CYCLE_1)
	s_xor_b32 exec_lo, exec_lo, s19
	s_cbranch_execz .LBB25_4750
.LBB25_5471:
	v_add_f32_e64 v3, 0x46000000, |v118|
	s_and_not1_b32 s18, s18, exec_lo
	s_mov_b32 s20, 0
	s_delay_alu instid0(VALU_DEP_1) | instskip(NEXT) | instid1(VALU_DEP_1)
	v_and_b32_e32 v3, 0xff, v3
	v_cmp_ne_u32_e32 vcc_lo, 0, v3
	s_and_b32 s21, vcc_lo, exec_lo
	s_delay_alu instid0(SALU_CYCLE_1)
	s_or_b32 s18, s18, s21
	s_or_b32 exec_lo, exec_lo, s19
	v_mov_b32_e32 v4, s20
	s_and_saveexec_b32 s19, s18
	s_cbranch_execnz .LBB25_4751
	s_branch .LBB25_4752
.LBB25_5472:
	s_mov_b32 s25, s21
	s_mov_b32 s26, exec_lo
	v_cmpx_lt_i16_e32 25, v3
	s_xor_b32 s26, exec_lo, s26
	s_cbranch_execz .LBB25_5508
; %bb.5473:
	s_mov_b32 s27, s21
	s_mov_b32 s25, exec_lo
	v_cmpx_lt_i16_e32 28, v3
	s_xor_b32 s25, exec_lo, s25
	s_cbranch_execz .LBB25_5491
; %bb.5474:
	;; [unrolled: 6-line block ×3, first 2 shown]
	s_mov_b32 s28, 0
	s_mov_b32 s29, s21
	s_mov_b32 s0, exec_lo
	v_cmpx_lt_i16_e32 45, v3
	s_xor_b32 s0, exec_lo, s0
	s_cbranch_execz .LBB25_5479
; %bb.5476:
	s_mov_b32 vcc_hi, -1
	s_mov_b32 s29, exec_lo
	v_cmpx_eq_u16_e32 46, v3
	s_cbranch_execz .LBB25_5478
; %bb.5477:
	v_bfe_u32 v3, v112, 16, 1
	v_cmp_o_f32_e32 vcc_lo, v112, v112
	s_mov_b32 s28, exec_lo
	s_xor_b32 vcc_hi, exec_lo, -1
	s_delay_alu instid0(VALU_DEP_2) | instskip(NEXT) | instid1(VALU_DEP_1)
	v_add3_u32 v3, v112, v3, 0x7fff
	v_lshrrev_b32_e32 v3, 16, v3
	s_delay_alu instid0(VALU_DEP_1)
	v_cndmask_b32_e32 v3, 0x7fc0, v3, vcc_lo
	flat_store_b32 v[1:2], v3
.LBB25_5478:
	s_or_b32 exec_lo, exec_lo, s29
	s_delay_alu instid0(SALU_CYCLE_1)
	s_and_not1_b32 s29, s21, exec_lo
	s_and_b32 vcc_lo, vcc_hi, exec_lo
	s_and_b32 s28, s28, exec_lo
	s_or_b32 s29, s29, vcc_lo
                                        ; implicit-def: $vgpr3
                                        ; implicit-def: $vgpr1_vgpr2
                                        ; implicit-def: $vgpr112
.LBB25_5479:
	s_and_not1_saveexec_b32 vcc_hi, s0
	s_cbranch_execz .LBB25_5485
; %bb.5480:
	s_mov_b32 s31, -1
	s_mov_b32 s0, s28
	s_mov_b32 s30, exec_lo
	v_cmpx_eq_u16_e32 44, v3
	s_cbranch_execz .LBB25_5484
; %bb.5481:
	v_bfe_u32 v4, v112, 23, 8
	v_mov_b32_e32 v3, 0xff
	s_mov_b32 s31, exec_lo
	s_delay_alu instid0(VALU_DEP_2)
	v_cmpx_ne_u32_e32 0xff, v4
; %bb.5482:
	v_and_b32_e32 v3, 0x400000, v112
	v_and_or_b32 v4, 0x3fffff, v112, v4
	s_delay_alu instid0(VALU_DEP_2) | instskip(NEXT) | instid1(VALU_DEP_2)
	v_cmp_ne_u32_e32 vcc_lo, 0, v3
	v_cmp_ne_u32_e64 s0, 0, v4
	v_lshrrev_b32_e32 v3, 23, v112
	s_delay_alu instid0(VALU_DEP_2) | instskip(NEXT) | instid1(SALU_CYCLE_1)
	s_and_b32 s0, vcc_lo, s0
	v_cndmask_b32_e64 v4, 0, 1, s0
	s_delay_alu instid0(VALU_DEP_1)
	v_add_nc_u32_e32 v3, v3, v4
; %bb.5483:
	s_or_b32 exec_lo, exec_lo, s31
	s_delay_alu instid0(SALU_CYCLE_1)
	s_xor_b32 s31, exec_lo, -1
	s_or_b32 s0, s28, exec_lo
	flat_store_b8 v[1:2], v3
.LBB25_5484:
	s_or_b32 exec_lo, exec_lo, s30
	s_delay_alu instid0(SALU_CYCLE_1)
	s_and_not1_b32 s29, s29, exec_lo
	s_and_b32 vcc_lo, s31, exec_lo
	s_and_not1_b32 s28, s28, exec_lo
	s_and_b32 s0, s0, exec_lo
	s_or_b32 s29, s29, vcc_lo
	s_or_b32 s28, s28, s0
.LBB25_5485:
	s_or_b32 exec_lo, exec_lo, vcc_hi
	s_delay_alu instid0(SALU_CYCLE_1) | instskip(SKIP_1) | instid1(SALU_CYCLE_1)
	s_and_not1_b32 s0, s21, exec_lo
	s_and_b32 s29, s29, exec_lo
                                        ; implicit-def: $vgpr3
                                        ; implicit-def: $vgpr112
                                        ; implicit-def: $vgpr1_vgpr2
	s_or_b32 s29, s0, s29
	s_and_b32 s0, s28, exec_lo
.LBB25_5486:
	s_and_not1_saveexec_b32 s27, s27
	s_cbranch_execz .LBB25_5490
; %bb.5487:
	s_mov_b32 s30, -1
	s_mov_b32 vcc_hi, s0
	s_mov_b32 s28, exec_lo
	v_cmpx_eq_u16_e32 29, v3
	s_cbranch_execz .LBB25_5489
; %bb.5488:
	v_trunc_f32_e32 v3, v112
	s_xor_b32 s30, exec_lo, -1
	s_or_b32 vcc_hi, s0, exec_lo
	s_delay_alu instid0(VALU_DEP_1) | instskip(NEXT) | instid1(VALU_DEP_1)
	v_mul_f32_e32 v4, 0x2f800000, v3
	v_floor_f32_e32 v4, v4
	s_delay_alu instid0(VALU_DEP_1) | instskip(SKIP_1) | instid1(VALU_DEP_2)
	v_fmamk_f32 v3, v4, 0xcf800000, v3
	v_cvt_u32_f32_e32 v4, v4
	v_cvt_u32_f32_e32 v3, v3
	flat_store_b64 v[1:2], v[3:4]
.LBB25_5489:
	s_or_b32 exec_lo, exec_lo, s28
	s_delay_alu instid0(SALU_CYCLE_1)
	s_and_not1_b32 s28, s29, exec_lo
	s_and_b32 s29, s30, exec_lo
	s_and_not1_b32 s0, s0, exec_lo
	s_and_b32 vcc_lo, vcc_hi, exec_lo
	s_or_b32 s29, s28, s29
	s_or_b32 s0, s0, vcc_lo
.LBB25_5490:
	s_or_b32 exec_lo, exec_lo, s27
	s_delay_alu instid0(SALU_CYCLE_1)
	s_and_not1_b32 s27, s21, exec_lo
	s_and_b32 s28, s29, exec_lo
	s_and_b32 s0, s0, exec_lo
	s_or_b32 s27, s27, s28
                                        ; implicit-def: $vgpr1_vgpr2
                                        ; implicit-def: $vgpr3
                                        ; implicit-def: $vgpr112
.LBB25_5491:
	s_and_not1_saveexec_b32 s25, s25
	s_cbranch_execz .LBB25_5507
; %bb.5492:
	s_mov_b32 s28, exec_lo
	v_cmpx_lt_i16_e32 26, v3
	s_xor_b32 s28, exec_lo, s28
	s_cbranch_execz .LBB25_5498
; %bb.5493:
	v_cmp_lt_i16_e32 vcc_lo, 27, v3
	v_cvt_u32_f32_e32 v3, v112
	s_and_saveexec_b32 s29, vcc_lo
	s_delay_alu instid0(SALU_CYCLE_1)
	s_xor_b32 s29, exec_lo, s29
	s_cbranch_execz .LBB25_5495
; %bb.5494:
	flat_store_b32 v[1:2], v3
                                        ; implicit-def: $vgpr1_vgpr2
                                        ; implicit-def: $vgpr3
.LBB25_5495:
	s_and_not1_saveexec_b32 s29, s29
	s_cbranch_execz .LBB25_5497
; %bb.5496:
	flat_store_b16 v[1:2], v3
.LBB25_5497:
	s_or_b32 exec_lo, exec_lo, s29
                                        ; implicit-def: $vgpr1_vgpr2
                                        ; implicit-def: $vgpr112
.LBB25_5498:
	s_and_not1_saveexec_b32 s28, s28
	s_cbranch_execz .LBB25_5506
; %bb.5499:
	v_and_b32_e32 v3, 0x7fffffff, v112
	v_mov_b32_e32 v4, 0x80
	s_mov_b32 s29, exec_lo
	s_delay_alu instid0(VALU_DEP_2)
	v_cmpx_gt_u32_e32 0x43800000, v3
	s_cbranch_execz .LBB25_5505
; %bb.5500:
	v_cmp_lt_u32_e32 vcc_lo, 0x3bffffff, v3
	s_mov_b32 vcc_hi, 0
                                        ; implicit-def: $vgpr3
	s_and_saveexec_b32 s30, vcc_lo
	s_delay_alu instid0(SALU_CYCLE_1)
	s_xor_b32 vcc_lo, exec_lo, s30
	s_cbranch_execnz .LBB25_6226
; %bb.5501:
	s_or_saveexec_b32 s30, vcc_lo
                                        ; implicit-def: $vcc_lo
	s_delay_alu instid0(SALU_CYCLE_1)
	s_xor_b32 exec_lo, exec_lo, s30
	s_cbranch_execnz .LBB25_6227
.LBB25_5502:
	s_or_b32 exec_lo, exec_lo, s30
	v_mov_b32_e32 v4, vcc_lo
	s_and_saveexec_b32 vcc_lo, vcc_hi
.LBB25_5503:
	v_lshrrev_b32_e32 v4, 24, v112
	s_delay_alu instid0(VALU_DEP_1)
	v_and_or_b32 v4, 0x80, v4, v3
.LBB25_5504:
	s_or_b32 exec_lo, exec_lo, vcc_lo
.LBB25_5505:
	s_delay_alu instid0(SALU_CYCLE_1)
	s_or_b32 exec_lo, exec_lo, s29
	flat_store_b8 v[1:2], v4
.LBB25_5506:
	s_or_b32 exec_lo, exec_lo, s28
	s_delay_alu instid0(SALU_CYCLE_1)
	s_or_b32 s0, s0, exec_lo
.LBB25_5507:
	s_or_b32 exec_lo, exec_lo, s25
	s_delay_alu instid0(SALU_CYCLE_1)
	s_and_not1_b32 s25, s21, exec_lo
	s_and_b32 s27, s27, exec_lo
	s_and_b32 s0, s0, exec_lo
	s_or_b32 s25, s25, s27
                                        ; implicit-def: $vgpr3
                                        ; implicit-def: $vgpr112
                                        ; implicit-def: $vgpr1_vgpr2
.LBB25_5508:
	s_and_not1_saveexec_b32 s26, s26
	s_cbranch_execz .LBB25_5552
; %bb.5509:
	s_mov_b32 s28, s0
	s_mov_b32 s27, exec_lo
	v_cmpx_lt_i16_e32 22, v3
	s_xor_b32 s27, exec_lo, s27
	s_cbranch_execz .LBB25_5541
; %bb.5510:
	s_mov_b32 s28, exec_lo
	v_cmpx_lt_i16_e32 23, v3
	s_xor_b32 s28, exec_lo, s28
	s_cbranch_execz .LBB25_5530
; %bb.5511:
	;; [unrolled: 5-line block ×3, first 2 shown]
	v_and_b32_e32 v3, 0x7fffffff, v112
	v_mov_b32_e32 v4, 0x80
	s_mov_b32 vcc_hi, exec_lo
	s_delay_alu instid0(VALU_DEP_2)
	v_cmpx_gt_u32_e32 0x47800000, v3
	s_cbranch_execz .LBB25_5518
; %bb.5513:
	v_cmp_lt_u32_e32 vcc_lo, 0x37ffffff, v3
	s_mov_b32 s30, 0
                                        ; implicit-def: $vgpr3
	s_and_saveexec_b32 s31, vcc_lo
	s_delay_alu instid0(SALU_CYCLE_1)
	s_xor_b32 vcc_lo, exec_lo, s31
	s_cbranch_execnz .LBB25_6350
; %bb.5514:
	s_or_saveexec_b32 s31, vcc_lo
                                        ; implicit-def: $vcc_lo
	s_delay_alu instid0(SALU_CYCLE_1)
	s_xor_b32 exec_lo, exec_lo, s31
	s_cbranch_execnz .LBB25_6351
.LBB25_5515:
	s_or_b32 exec_lo, exec_lo, s31
	v_mov_b32_e32 v4, vcc_lo
	s_and_saveexec_b32 vcc_lo, s30
.LBB25_5516:
	v_lshrrev_b32_e32 v4, 24, v112
	s_delay_alu instid0(VALU_DEP_1)
	v_and_or_b32 v4, 0x80, v4, v3
.LBB25_5517:
	s_or_b32 exec_lo, exec_lo, vcc_lo
.LBB25_5518:
	s_delay_alu instid0(SALU_CYCLE_1)
	s_or_b32 exec_lo, exec_lo, vcc_hi
	flat_store_b8 v[1:2], v4
                                        ; implicit-def: $vgpr112
                                        ; implicit-def: $vgpr1_vgpr2
.LBB25_5519:
	s_and_not1_saveexec_b32 s29, s29
	s_cbranch_execz .LBB25_5529
; %bb.5520:
	v_and_b32_e32 v4, 0x7fffffff, v112
	s_mov_b32 vcc_hi, exec_lo
                                        ; implicit-def: $vgpr3
	s_delay_alu instid0(VALU_DEP_1)
	v_cmpx_gt_u32_e32 0x43f00000, v4
	s_xor_b32 vcc_hi, exec_lo, vcc_hi
	s_cbranch_execz .LBB25_5526
; %bb.5521:
	s_mov_b32 s30, exec_lo
                                        ; implicit-def: $vgpr3
	v_cmpx_lt_u32_e32 0x3c7fffff, v4
	s_xor_b32 s30, exec_lo, s30
; %bb.5522:
	v_bfe_u32 v3, v112, 20, 1
	s_delay_alu instid0(VALU_DEP_1) | instskip(NEXT) | instid1(VALU_DEP_1)
	v_add3_u32 v3, v112, v3, 0x407ffff
	v_and_b32_e32 v4, 0xff00000, v3
	v_lshrrev_b32_e32 v3, 20, v3
	s_delay_alu instid0(VALU_DEP_2) | instskip(NEXT) | instid1(VALU_DEP_2)
	v_cmp_ne_u32_e32 vcc_lo, 0x7f00000, v4
	v_cndmask_b32_e32 v3, 0x7e, v3, vcc_lo
; %bb.5523:
	s_and_not1_saveexec_b32 vcc_lo, s30
; %bb.5524:
	v_add_f32_e64 v3, 0x46800000, |v112|
; %bb.5525:
	s_or_b32 exec_lo, exec_lo, vcc_lo
                                        ; implicit-def: $vgpr4
.LBB25_5526:
	s_and_not1_saveexec_b32 vcc_hi, vcc_hi
; %bb.5527:
	v_mov_b32_e32 v3, 0x7f
	v_cmp_lt_u32_e32 vcc_lo, 0x7f800000, v4
	s_delay_alu instid0(VALU_DEP_2)
	v_cndmask_b32_e32 v3, 0x7e, v3, vcc_lo
; %bb.5528:
	s_or_b32 exec_lo, exec_lo, vcc_hi
	v_lshrrev_b32_e32 v4, 24, v112
	s_delay_alu instid0(VALU_DEP_1)
	v_and_or_b32 v3, 0x80, v4, v3
	flat_store_b8 v[1:2], v3
.LBB25_5529:
	s_or_b32 exec_lo, exec_lo, s29
                                        ; implicit-def: $vgpr112
                                        ; implicit-def: $vgpr1_vgpr2
.LBB25_5530:
	s_and_not1_saveexec_b32 s28, s28
	s_cbranch_execz .LBB25_5540
; %bb.5531:
	v_and_b32_e32 v4, 0x7fffffff, v112
	s_mov_b32 s29, exec_lo
                                        ; implicit-def: $vgpr3
	s_delay_alu instid0(VALU_DEP_1)
	v_cmpx_gt_u32_e32 0x47800000, v4
	s_xor_b32 s29, exec_lo, s29
	s_cbranch_execz .LBB25_5537
; %bb.5532:
	v_cmp_lt_u32_e32 vcc_lo, 0x387fffff, v4
                                        ; implicit-def: $vgpr3
	s_and_saveexec_b32 vcc_hi, vcc_lo
	s_delay_alu instid0(SALU_CYCLE_1)
	s_xor_b32 vcc_lo, exec_lo, vcc_hi
; %bb.5533:
	v_bfe_u32 v3, v112, 21, 1
	s_delay_alu instid0(VALU_DEP_1) | instskip(NEXT) | instid1(VALU_DEP_1)
	v_add3_u32 v3, v112, v3, 0x80fffff
	v_lshrrev_b32_e32 v3, 21, v3
; %bb.5534:
	s_and_not1_saveexec_b32 vcc_lo, vcc_lo
; %bb.5535:
	v_add_f32_e64 v3, 0x43000000, |v112|
; %bb.5536:
	s_or_b32 exec_lo, exec_lo, vcc_lo
                                        ; implicit-def: $vgpr4
.LBB25_5537:
	s_and_not1_saveexec_b32 s29, s29
; %bb.5538:
	v_mov_b32_e32 v3, 0x7f
	v_cmp_lt_u32_e32 vcc_lo, 0x7f800000, v4
	s_delay_alu instid0(VALU_DEP_2)
	v_cndmask_b32_e32 v3, 0x7c, v3, vcc_lo
; %bb.5539:
	s_or_b32 exec_lo, exec_lo, s29
	v_lshrrev_b32_e32 v4, 24, v112
	s_delay_alu instid0(VALU_DEP_1)
	v_and_or_b32 v3, 0x80, v4, v3
	flat_store_b8 v[1:2], v3
.LBB25_5540:
	s_or_b32 exec_lo, exec_lo, s28
	s_delay_alu instid0(SALU_CYCLE_1)
	s_or_b32 s28, s0, exec_lo
                                        ; implicit-def: $vgpr3
                                        ; implicit-def: $vgpr112
                                        ; implicit-def: $vgpr1_vgpr2
.LBB25_5541:
	s_or_saveexec_b32 s27, s27
	s_mov_b32 s29, s25
	s_xor_b32 exec_lo, exec_lo, s27
	s_cbranch_execz .LBB25_5551
; %bb.5542:
	s_mov_b32 s29, s28
	s_mov_b32 vcc_hi, s25
	s_mov_b32 s30, exec_lo
	v_cmpx_lt_i16_e32 14, v3
	s_xor_b32 s30, exec_lo, s30
	s_cbranch_execz .LBB25_5546
; %bb.5543:
	s_mov_b32 s31, -1
	s_mov_b32 s29, s28
	s_mov_b32 vcc_hi, exec_lo
	v_cmpx_eq_u16_e32 15, v3
	s_cbranch_execz .LBB25_5545
; %bb.5544:
	v_bfe_u32 v3, v112, 16, 1
	v_cmp_o_f32_e32 vcc_lo, v112, v112
	s_xor_b32 s31, exec_lo, -1
	s_or_b32 s29, s28, exec_lo
	s_delay_alu instid0(VALU_DEP_2) | instskip(NEXT) | instid1(VALU_DEP_1)
	v_add3_u32 v3, v112, v3, 0x7fff
	v_lshrrev_b32_e32 v3, 16, v3
	s_delay_alu instid0(VALU_DEP_1)
	v_cndmask_b32_e32 v3, 0x7fc0, v3, vcc_lo
	flat_store_b16 v[1:2], v3
.LBB25_5545:
	s_or_b32 exec_lo, exec_lo, vcc_hi
	s_delay_alu instid0(SALU_CYCLE_1)
	s_and_not1_b32 vcc_lo, s25, exec_lo
	s_and_b32 vcc_hi, s31, exec_lo
	s_and_not1_b32 s31, s28, exec_lo
	s_and_b32 s29, s29, exec_lo
	s_or_b32 vcc_hi, vcc_lo, vcc_hi
	s_or_b32 s29, s31, s29
                                        ; implicit-def: $vgpr3
                                        ; implicit-def: $vgpr112
                                        ; implicit-def: $vgpr1_vgpr2
.LBB25_5546:
	s_and_not1_saveexec_b32 s30, s30
	s_cbranch_execz .LBB25_5550
; %bb.5547:
	s_mov_b32 s34, -1
	s_mov_b32 s31, s29
	s_mov_b32 s35, exec_lo
	v_cmpx_eq_u16_e32 11, v3
	s_cbranch_execz .LBB25_5549
; %bb.5548:
	v_cmp_neq_f32_e32 vcc_lo, 0, v112
	s_xor_b32 s34, exec_lo, -1
	s_or_b32 s31, s29, exec_lo
	v_cndmask_b32_e64 v3, 0, 1, vcc_lo
	flat_store_b8 v[1:2], v3
.LBB25_5549:
	s_or_b32 exec_lo, exec_lo, s35
	s_delay_alu instid0(SALU_CYCLE_1)
	s_and_not1_b32 vcc_lo, vcc_hi, exec_lo
	s_and_b32 vcc_hi, s34, exec_lo
	s_and_not1_b32 s29, s29, exec_lo
	s_and_b32 s31, s31, exec_lo
	s_or_b32 vcc_hi, vcc_lo, vcc_hi
	s_or_b32 s29, s29, s31
.LBB25_5550:
	s_or_b32 exec_lo, exec_lo, s30
	s_delay_alu instid0(SALU_CYCLE_1)
	s_and_not1_b32 vcc_lo, s25, exec_lo
	s_and_b32 vcc_hi, vcc_hi, exec_lo
	s_and_not1_b32 s28, s28, exec_lo
	s_and_b32 s30, s29, exec_lo
	s_or_b32 s29, vcc_lo, vcc_hi
	s_or_b32 s28, s28, s30
.LBB25_5551:
	s_or_b32 exec_lo, exec_lo, s27
	s_delay_alu instid0(SALU_CYCLE_1)
	s_and_not1_b32 s25, s25, exec_lo
	s_and_b32 s27, s29, exec_lo
	s_and_not1_b32 s0, s0, exec_lo
	s_and_b32 s28, s28, exec_lo
	s_or_b32 s25, s25, s27
	s_or_b32 s0, s0, s28
.LBB25_5552:
	s_or_b32 exec_lo, exec_lo, s26
	s_delay_alu instid0(SALU_CYCLE_1)
	s_and_not1_b32 s26, s21, exec_lo
	s_and_b32 s25, s25, exec_lo
	s_and_b32 s0, s0, exec_lo
	s_or_b32 s25, s26, s25
                                        ; implicit-def: $vgpr3
                                        ; implicit-def: $vgpr112
                                        ; implicit-def: $vgpr1_vgpr2
	s_and_not1_saveexec_b32 s23, s23
	s_cbranch_execz .LBB25_3916
.LBB25_5553:
	s_mov_b32 s26, exec_lo
	v_cmpx_lt_i16_e32 4, v3
	s_xor_b32 s26, exec_lo, s26
	s_cbranch_execz .LBB25_5575
; %bb.5554:
	s_mov_b32 s27, exec_lo
	v_cmpx_lt_i16_e32 7, v3
	s_xor_b32 s27, exec_lo, s27
	s_cbranch_execz .LBB25_5564
; %bb.5555:
	;; [unrolled: 5-line block ×4, first 2 shown]
	v_cvt_f64_f32_e32 v[3:4], v112
	v_mov_b32_e32 v5, 0
                                        ; implicit-def: $vgpr112
	s_delay_alu instid0(VALU_DEP_1)
	v_mov_b32_e32 v6, v5
	flat_store_b128 v[1:2], v[3:6]
                                        ; implicit-def: $vgpr1_vgpr2
.LBB25_5558:
	s_and_not1_saveexec_b32 s29, s29
	s_cbranch_execz .LBB25_5560
; %bb.5559:
	v_mov_b32_e32 v113, 0
	flat_store_b64 v[1:2], v[112:113]
.LBB25_5560:
	s_or_b32 exec_lo, exec_lo, s29
                                        ; implicit-def: $vgpr112
                                        ; implicit-def: $vgpr1_vgpr2
.LBB25_5561:
	s_and_not1_saveexec_b32 s28, s28
	s_cbranch_execz .LBB25_5563
; %bb.5562:
	v_cvt_f16_f32_e32 v3, v112
	s_delay_alu instid0(VALU_DEP_1)
	v_and_b32_e32 v3, 0xffff, v3
	flat_store_b32 v[1:2], v3
.LBB25_5563:
	s_or_b32 exec_lo, exec_lo, s28
                                        ; implicit-def: $vgpr112
                                        ; implicit-def: $vgpr1_vgpr2
                                        ; implicit-def: $vgpr3
.LBB25_5564:
	s_and_not1_saveexec_b32 s27, s27
	s_cbranch_execz .LBB25_5574
; %bb.5565:
	s_mov_b32 s28, exec_lo
	v_cmpx_lt_i16_e32 5, v3
	s_xor_b32 s28, exec_lo, s28
	s_cbranch_execz .LBB25_5571
; %bb.5566:
	s_mov_b32 s29, exec_lo
	v_cmpx_lt_i16_e32 6, v3
	s_xor_b32 s29, exec_lo, s29
	s_cbranch_execz .LBB25_5568
; %bb.5567:
	v_cvt_f64_f32_e32 v[3:4], v112
                                        ; implicit-def: $vgpr112
	flat_store_b64 v[1:2], v[3:4]
                                        ; implicit-def: $vgpr1_vgpr2
.LBB25_5568:
	s_and_not1_saveexec_b32 s29, s29
	s_cbranch_execz .LBB25_5570
; %bb.5569:
	flat_store_b32 v[1:2], v112
.LBB25_5570:
	s_or_b32 exec_lo, exec_lo, s29
                                        ; implicit-def: $vgpr112
                                        ; implicit-def: $vgpr1_vgpr2
.LBB25_5571:
	s_and_not1_saveexec_b32 s28, s28
	s_cbranch_execz .LBB25_5573
; %bb.5572:
	v_cvt_f16_f32_e32 v3, v112
	flat_store_b16 v[1:2], v3
.LBB25_5573:
	s_or_b32 exec_lo, exec_lo, s28
.LBB25_5574:
	s_delay_alu instid0(SALU_CYCLE_1)
	s_or_b32 exec_lo, exec_lo, s27
                                        ; implicit-def: $vgpr3
                                        ; implicit-def: $vgpr112
                                        ; implicit-def: $vgpr1_vgpr2
.LBB25_5575:
	s_and_not1_saveexec_b32 s26, s26
	s_cbranch_execz .LBB25_5593
; %bb.5576:
	s_mov_b32 s27, exec_lo
	v_cmpx_lt_i16_e32 1, v3
	s_xor_b32 s27, exec_lo, s27
	s_cbranch_execz .LBB25_5586
; %bb.5577:
	s_mov_b32 s28, exec_lo
	v_cmpx_lt_i16_e32 2, v3
	s_xor_b32 s28, exec_lo, s28
	;; [unrolled: 5-line block ×3, first 2 shown]
	s_cbranch_execz .LBB25_5580
; %bb.5579:
	v_trunc_f32_e32 v3, v112
                                        ; implicit-def: $vgpr112
	s_delay_alu instid0(VALU_DEP_1) | instskip(SKIP_1) | instid1(VALU_DEP_2)
	v_mul_f32_e64 v4, 0x2f800000, |v3|
	v_ashrrev_i32_e32 v6, 31, v3
	v_floor_f32_e32 v4, v4
	s_delay_alu instid0(VALU_DEP_1) | instskip(SKIP_1) | instid1(VALU_DEP_2)
	v_fma_f32 v5, 0xcf800000, v4, |v3|
	v_cvt_u32_f32_e32 v4, v4
	v_cvt_u32_f32_e32 v3, v5
	s_delay_alu instid0(VALU_DEP_2) | instskip(NEXT) | instid1(VALU_DEP_2)
	v_xor_b32_e32 v4, v4, v6
	v_xor_b32_e32 v3, v3, v6
	s_delay_alu instid0(VALU_DEP_1) | instskip(NEXT) | instid1(VALU_DEP_3)
	v_sub_co_u32 v3, vcc_lo, v3, v6
	v_sub_co_ci_u32_e32 v4, vcc_lo, v4, v6, vcc_lo
	flat_store_b64 v[1:2], v[3:4]
                                        ; implicit-def: $vgpr1_vgpr2
.LBB25_5580:
	s_and_not1_saveexec_b32 s29, s29
	s_cbranch_execz .LBB25_5582
; %bb.5581:
	v_cvt_i32_f32_e32 v3, v112
	flat_store_b32 v[1:2], v3
.LBB25_5582:
	s_or_b32 exec_lo, exec_lo, s29
                                        ; implicit-def: $vgpr112
                                        ; implicit-def: $vgpr1_vgpr2
.LBB25_5583:
	s_and_not1_saveexec_b32 s28, s28
	s_cbranch_execz .LBB25_5585
; %bb.5584:
	v_cvt_i32_f32_e32 v3, v112
	flat_store_b16 v[1:2], v3
.LBB25_5585:
	s_or_b32 exec_lo, exec_lo, s28
                                        ; implicit-def: $vgpr112
                                        ; implicit-def: $vgpr1_vgpr2
                                        ; implicit-def: $vgpr3
.LBB25_5586:
	s_and_not1_saveexec_b32 s27, s27
	s_cbranch_execz .LBB25_5592
; %bb.5587:
	s_mov_b32 s28, exec_lo
	v_cmpx_lt_i16_e32 0, v3
	s_xor_b32 s28, exec_lo, s28
	s_cbranch_execz .LBB25_5589
; %bb.5588:
	v_cvt_i32_f32_e32 v3, v112
                                        ; implicit-def: $vgpr112
	flat_store_b8 v[1:2], v3
                                        ; implicit-def: $vgpr1_vgpr2
.LBB25_5589:
	s_and_not1_saveexec_b32 s28, s28
	s_cbranch_execz .LBB25_5591
; %bb.5590:
	v_trunc_f32_e32 v3, v112
	s_delay_alu instid0(VALU_DEP_1) | instskip(NEXT) | instid1(VALU_DEP_1)
	v_mul_f32_e64 v4, 0x2f800000, |v3|
	v_floor_f32_e32 v4, v4
	s_delay_alu instid0(VALU_DEP_1) | instskip(SKIP_1) | instid1(VALU_DEP_2)
	v_fma_f32 v4, 0xcf800000, v4, |v3|
	v_ashrrev_i32_e32 v3, 31, v3
	v_cvt_u32_f32_e32 v4, v4
	s_delay_alu instid0(VALU_DEP_1) | instskip(NEXT) | instid1(VALU_DEP_1)
	v_xor_b32_e32 v4, v4, v3
	v_sub_nc_u32_e32 v3, v4, v3
	flat_store_b8 v[1:2], v3
.LBB25_5591:
	s_or_b32 exec_lo, exec_lo, s28
.LBB25_5592:
	s_delay_alu instid0(SALU_CYCLE_1)
	s_or_b32 exec_lo, exec_lo, s27
.LBB25_5593:
	s_delay_alu instid0(SALU_CYCLE_1) | instskip(NEXT) | instid1(SALU_CYCLE_1)
	s_or_b32 exec_lo, exec_lo, s26
	s_or_b32 s0, s0, exec_lo
	s_or_b32 exec_lo, exec_lo, s23
	s_mov_b32 s26, 0
	s_and_saveexec_b32 s23, s0
	s_cbranch_execnz .LBB25_3917
	s_branch .LBB25_3918
.LBB25_5594:
	v_bfe_u32 v3, v118, 21, 1
	s_mov_b32 s19, exec_lo
	s_delay_alu instid0(VALU_DEP_1) | instskip(NEXT) | instid1(VALU_DEP_1)
	v_add3_u32 v3, v118, v3, 0x88fffff
	v_lshrrev_b32_e32 v3, 21, v3
	s_or_saveexec_b32 s20, s20
                                        ; implicit-def: $sgpr21
	s_delay_alu instid0(SALU_CYCLE_1)
	s_xor_b32 exec_lo, exec_lo, s20
	s_cbranch_execz .LBB25_4763
.LBB25_5595:
	v_add_f32_e64 v3, 0x42800000, |v118|
	s_and_not1_b32 s19, s19, exec_lo
	s_mov_b32 s21, 0
	s_delay_alu instid0(VALU_DEP_1) | instskip(NEXT) | instid1(VALU_DEP_1)
	v_and_b32_e32 v3, 0xff, v3
	v_cmp_ne_u32_e32 vcc_lo, 0, v3
	s_and_b32 s22, vcc_lo, exec_lo
	s_delay_alu instid0(SALU_CYCLE_1)
	s_or_b32 s19, s19, s22
	s_or_b32 exec_lo, exec_lo, s20
	v_mov_b32_e32 v4, s21
	s_and_saveexec_b32 s20, s19
	s_cbranch_execnz .LBB25_4764
	s_branch .LBB25_4765
.LBB25_5596:
	v_bfe_u32 v3, v117, 20, 1
	s_mov_b32 s20, exec_lo
	s_delay_alu instid0(VALU_DEP_1) | instskip(NEXT) | instid1(VALU_DEP_1)
	v_add3_u32 v3, v117, v3, 0x487ffff
	v_lshrrev_b32_e32 v3, 20, v3
	s_or_saveexec_b32 s21, s21
                                        ; implicit-def: $sgpr22
	s_delay_alu instid0(SALU_CYCLE_1)
	s_xor_b32 exec_lo, exec_lo, s21
	s_cbranch_execz .LBB25_4874
.LBB25_5597:
	v_add_f32_e64 v3, 0x46000000, |v117|
	s_and_not1_b32 s20, s20, exec_lo
	s_mov_b32 s22, 0
	s_delay_alu instid0(VALU_DEP_1) | instskip(NEXT) | instid1(VALU_DEP_1)
	v_and_b32_e32 v3, 0xff, v3
	v_cmp_ne_u32_e32 vcc_lo, 0, v3
	s_and_b32 s23, vcc_lo, exec_lo
	s_delay_alu instid0(SALU_CYCLE_1)
	s_or_b32 s20, s20, s23
	s_or_b32 exec_lo, exec_lo, s21
	v_mov_b32_e32 v4, s22
	s_and_saveexec_b32 s21, s20
	s_cbranch_execnz .LBB25_4875
	s_branch .LBB25_4876
.LBB25_5598:
	s_mov_b32 s27, s23
	s_mov_b32 s28, exec_lo
	v_cmpx_lt_i16_e32 25, v3
	s_xor_b32 s28, exec_lo, s28
	s_cbranch_execz .LBB25_5634
; %bb.5599:
	s_mov_b32 s29, s23
	s_mov_b32 s27, exec_lo
	v_cmpx_lt_i16_e32 28, v3
	s_xor_b32 s27, exec_lo, s27
	s_cbranch_execz .LBB25_5617
; %bb.5600:
	;; [unrolled: 6-line block ×3, first 2 shown]
	s_mov_b32 vcc_hi, 0
	s_mov_b32 s30, s23
	s_mov_b32 s0, exec_lo
	v_cmpx_lt_i16_e32 45, v3
	s_xor_b32 s0, exec_lo, s0
	s_cbranch_execz .LBB25_5605
; %bb.5602:
	s_mov_b32 s31, -1
	s_mov_b32 s30, exec_lo
	v_cmpx_eq_u16_e32 46, v3
	s_cbranch_execz .LBB25_5604
; %bb.5603:
	v_bfe_u32 v3, v102, 16, 1
	s_mov_b32 vcc_hi, exec_lo
	v_cmp_o_f32_e32 vcc_lo, v102, v102
	s_xor_b32 s31, exec_lo, -1
	s_delay_alu instid0(VALU_DEP_2) | instskip(NEXT) | instid1(VALU_DEP_1)
	v_add3_u32 v3, v102, v3, 0x7fff
	v_lshrrev_b32_e32 v3, 16, v3
	s_delay_alu instid0(VALU_DEP_1)
	v_cndmask_b32_e32 v3, 0x7fc0, v3, vcc_lo
	flat_store_b32 v[1:2], v3
.LBB25_5604:
	s_or_b32 exec_lo, exec_lo, s30
	s_delay_alu instid0(SALU_CYCLE_1)
	s_and_not1_b32 vcc_lo, s23, exec_lo
	s_and_b32 s30, s31, exec_lo
	s_and_b32 vcc_hi, vcc_hi, exec_lo
	s_or_b32 s30, vcc_lo, s30
                                        ; implicit-def: $vgpr3
                                        ; implicit-def: $vgpr1_vgpr2
                                        ; implicit-def: $vgpr102
.LBB25_5605:
	s_and_not1_saveexec_b32 s31, s0
	s_cbranch_execz .LBB25_5611
; %bb.5606:
	s_mov_b32 s35, -1
	s_mov_b32 s0, vcc_hi
	s_mov_b32 s34, exec_lo
	v_cmpx_eq_u16_e32 44, v3
	s_cbranch_execz .LBB25_5610
; %bb.5607:
	v_bfe_u32 v4, v102, 23, 8
	v_mov_b32_e32 v3, 0xff
	s_mov_b32 s35, exec_lo
	s_delay_alu instid0(VALU_DEP_2)
	v_cmpx_ne_u32_e32 0xff, v4
; %bb.5608:
	v_and_b32_e32 v3, 0x400000, v102
	v_and_or_b32 v4, 0x3fffff, v102, v4
	s_delay_alu instid0(VALU_DEP_2) | instskip(NEXT) | instid1(VALU_DEP_2)
	v_cmp_ne_u32_e32 vcc_lo, 0, v3
	v_cmp_ne_u32_e64 s0, 0, v4
	v_lshrrev_b32_e32 v3, 23, v102
	s_delay_alu instid0(VALU_DEP_2) | instskip(NEXT) | instid1(SALU_CYCLE_1)
	s_and_b32 s0, vcc_lo, s0
	v_cndmask_b32_e64 v4, 0, 1, s0
	s_delay_alu instid0(VALU_DEP_1)
	v_add_nc_u32_e32 v3, v3, v4
; %bb.5609:
	s_or_b32 exec_lo, exec_lo, s35
	s_delay_alu instid0(SALU_CYCLE_1)
	s_xor_b32 s35, exec_lo, -1
	s_or_b32 s0, vcc_hi, exec_lo
	flat_store_b8 v[1:2], v3
.LBB25_5610:
	s_or_b32 exec_lo, exec_lo, s34
	s_delay_alu instid0(SALU_CYCLE_1)
	s_and_not1_b32 vcc_lo, s30, exec_lo
	s_and_b32 s30, s35, exec_lo
	s_and_not1_b32 vcc_hi, vcc_hi, exec_lo
	s_and_b32 s0, s0, exec_lo
	s_or_b32 s30, vcc_lo, s30
	s_or_b32 vcc_hi, vcc_hi, s0
.LBB25_5611:
	s_or_b32 exec_lo, exec_lo, s31
	s_delay_alu instid0(SALU_CYCLE_1) | instskip(SKIP_1) | instid1(SALU_CYCLE_1)
	s_and_not1_b32 s0, s23, exec_lo
	s_and_b32 vcc_lo, s30, exec_lo
                                        ; implicit-def: $vgpr3
                                        ; implicit-def: $vgpr102
                                        ; implicit-def: $vgpr1_vgpr2
	s_or_b32 s30, s0, vcc_lo
	s_and_b32 s0, vcc_hi, exec_lo
.LBB25_5612:
	s_and_not1_saveexec_b32 s29, s29
	s_cbranch_execz .LBB25_5616
; %bb.5613:
	s_mov_b32 s34, -1
	s_mov_b32 s31, s0
	s_mov_b32 vcc_hi, exec_lo
	v_cmpx_eq_u16_e32 29, v3
	s_cbranch_execz .LBB25_5615
; %bb.5614:
	v_trunc_f32_e32 v3, v102
	s_xor_b32 s34, exec_lo, -1
	s_or_b32 s31, s0, exec_lo
	s_delay_alu instid0(VALU_DEP_1) | instskip(NEXT) | instid1(VALU_DEP_1)
	v_mul_f32_e32 v4, 0x2f800000, v3
	v_floor_f32_e32 v4, v4
	s_delay_alu instid0(VALU_DEP_1) | instskip(SKIP_1) | instid1(VALU_DEP_2)
	v_fmamk_f32 v3, v4, 0xcf800000, v3
	v_cvt_u32_f32_e32 v4, v4
	v_cvt_u32_f32_e32 v3, v3
	flat_store_b64 v[1:2], v[3:4]
.LBB25_5615:
	s_or_b32 exec_lo, exec_lo, vcc_hi
	s_delay_alu instid0(SALU_CYCLE_1)
	s_and_not1_b32 vcc_lo, s30, exec_lo
	s_and_b32 vcc_hi, s34, exec_lo
	s_and_not1_b32 s0, s0, exec_lo
	s_and_b32 s31, s31, exec_lo
	s_or_b32 s30, vcc_lo, vcc_hi
	s_or_b32 s0, s0, s31
.LBB25_5616:
	s_or_b32 exec_lo, exec_lo, s29
	s_delay_alu instid0(SALU_CYCLE_1)
	s_and_not1_b32 s29, s23, exec_lo
	s_and_b32 vcc_lo, s30, exec_lo
	s_and_b32 s0, s0, exec_lo
	s_or_b32 s29, s29, vcc_lo
                                        ; implicit-def: $vgpr1_vgpr2
                                        ; implicit-def: $vgpr3
                                        ; implicit-def: $vgpr102
.LBB25_5617:
	s_and_not1_saveexec_b32 s27, s27
	s_cbranch_execz .LBB25_5633
; %bb.5618:
	s_mov_b32 vcc_hi, exec_lo
	v_cmpx_lt_i16_e32 26, v3
	s_xor_b32 vcc_hi, exec_lo, vcc_hi
	s_cbranch_execz .LBB25_5624
; %bb.5619:
	v_cmp_lt_i16_e32 vcc_lo, 27, v3
	v_cvt_u32_f32_e32 v3, v102
	s_and_saveexec_b32 s30, vcc_lo
	s_delay_alu instid0(SALU_CYCLE_1)
	s_xor_b32 vcc_lo, exec_lo, s30
	s_cbranch_execz .LBB25_5621
; %bb.5620:
	flat_store_b32 v[1:2], v3
                                        ; implicit-def: $vgpr1_vgpr2
                                        ; implicit-def: $vgpr3
.LBB25_5621:
	s_and_not1_saveexec_b32 vcc_lo, vcc_lo
	s_cbranch_execz .LBB25_5623
; %bb.5622:
	flat_store_b16 v[1:2], v3
.LBB25_5623:
	s_or_b32 exec_lo, exec_lo, vcc_lo
                                        ; implicit-def: $vgpr1_vgpr2
                                        ; implicit-def: $vgpr102
.LBB25_5624:
	s_and_not1_saveexec_b32 vcc_hi, vcc_hi
	s_cbranch_execz .LBB25_5632
; %bb.5625:
	v_and_b32_e32 v3, 0x7fffffff, v102
	v_mov_b32_e32 v4, 0x80
	s_mov_b32 s30, exec_lo
	s_delay_alu instid0(VALU_DEP_2)
	v_cmpx_gt_u32_e32 0x43800000, v3
	s_cbranch_execz .LBB25_5631
; %bb.5626:
	v_cmp_lt_u32_e32 vcc_lo, 0x3bffffff, v3
	s_mov_b32 s31, 0
                                        ; implicit-def: $vgpr3
	s_and_saveexec_b32 s34, vcc_lo
	s_delay_alu instid0(SALU_CYCLE_1)
	s_xor_b32 vcc_lo, exec_lo, s34
	s_cbranch_execnz .LBB25_6352
; %bb.5627:
	s_or_saveexec_b32 s34, vcc_lo
                                        ; implicit-def: $vcc_lo
	s_delay_alu instid0(SALU_CYCLE_1)
	s_xor_b32 exec_lo, exec_lo, s34
	s_cbranch_execnz .LBB25_6353
.LBB25_5628:
	s_or_b32 exec_lo, exec_lo, s34
	v_mov_b32_e32 v4, vcc_lo
	s_and_saveexec_b32 vcc_lo, s31
.LBB25_5629:
	v_lshrrev_b32_e32 v4, 24, v102
	s_delay_alu instid0(VALU_DEP_1)
	v_and_or_b32 v4, 0x80, v4, v3
.LBB25_5630:
	s_or_b32 exec_lo, exec_lo, vcc_lo
.LBB25_5631:
	s_delay_alu instid0(SALU_CYCLE_1)
	s_or_b32 exec_lo, exec_lo, s30
	flat_store_b8 v[1:2], v4
.LBB25_5632:
	s_or_b32 exec_lo, exec_lo, vcc_hi
	s_delay_alu instid0(SALU_CYCLE_1)
	s_or_b32 s0, s0, exec_lo
.LBB25_5633:
	s_or_b32 exec_lo, exec_lo, s27
	s_delay_alu instid0(SALU_CYCLE_1)
	s_and_not1_b32 s27, s23, exec_lo
	s_and_b32 s29, s29, exec_lo
	s_and_b32 s0, s0, exec_lo
	s_or_b32 s27, s27, s29
                                        ; implicit-def: $vgpr3
                                        ; implicit-def: $vgpr102
                                        ; implicit-def: $vgpr1_vgpr2
.LBB25_5634:
	s_and_not1_saveexec_b32 s28, s28
	s_cbranch_execz .LBB25_5678
; %bb.5635:
	s_mov_b32 vcc_hi, s0
	s_mov_b32 s29, exec_lo
	v_cmpx_lt_i16_e32 22, v3
	s_xor_b32 s29, exec_lo, s29
	s_cbranch_execz .LBB25_5667
; %bb.5636:
	s_mov_b32 vcc_hi, exec_lo
	v_cmpx_lt_i16_e32 23, v3
	s_xor_b32 vcc_hi, exec_lo, vcc_hi
	s_cbranch_execz .LBB25_5656
; %bb.5637:
	s_mov_b32 s30, exec_lo
	v_cmpx_lt_i16_e32 24, v3
	s_xor_b32 s30, exec_lo, s30
	s_cbranch_execz .LBB25_5645
; %bb.5638:
	v_and_b32_e32 v3, 0x7fffffff, v102
	v_mov_b32_e32 v4, 0x80
	s_mov_b32 s31, exec_lo
	s_delay_alu instid0(VALU_DEP_2)
	v_cmpx_gt_u32_e32 0x47800000, v3
	s_cbranch_execz .LBB25_5644
; %bb.5639:
	v_cmp_lt_u32_e32 vcc_lo, 0x37ffffff, v3
	s_mov_b32 s34, 0
                                        ; implicit-def: $vgpr3
	s_and_saveexec_b32 s35, vcc_lo
	s_delay_alu instid0(SALU_CYCLE_1)
	s_xor_b32 vcc_lo, exec_lo, s35
	s_cbranch_execnz .LBB25_6476
; %bb.5640:
	s_or_saveexec_b32 s35, vcc_lo
                                        ; implicit-def: $vcc_lo
	s_delay_alu instid0(SALU_CYCLE_1)
	s_xor_b32 exec_lo, exec_lo, s35
	s_cbranch_execnz .LBB25_6477
.LBB25_5641:
	s_or_b32 exec_lo, exec_lo, s35
	v_mov_b32_e32 v4, vcc_lo
	s_and_saveexec_b32 vcc_lo, s34
.LBB25_5642:
	v_lshrrev_b32_e32 v4, 24, v102
	s_delay_alu instid0(VALU_DEP_1)
	v_and_or_b32 v4, 0x80, v4, v3
.LBB25_5643:
	s_or_b32 exec_lo, exec_lo, vcc_lo
.LBB25_5644:
	s_delay_alu instid0(SALU_CYCLE_1)
	s_or_b32 exec_lo, exec_lo, s31
	flat_store_b8 v[1:2], v4
                                        ; implicit-def: $vgpr102
                                        ; implicit-def: $vgpr1_vgpr2
.LBB25_5645:
	s_and_not1_saveexec_b32 s30, s30
	s_cbranch_execz .LBB25_5655
; %bb.5646:
	v_and_b32_e32 v4, 0x7fffffff, v102
	s_mov_b32 s31, exec_lo
                                        ; implicit-def: $vgpr3
	s_delay_alu instid0(VALU_DEP_1)
	v_cmpx_gt_u32_e32 0x43f00000, v4
	s_xor_b32 s31, exec_lo, s31
	s_cbranch_execz .LBB25_5652
; %bb.5647:
	s_mov_b32 s34, exec_lo
                                        ; implicit-def: $vgpr3
	v_cmpx_lt_u32_e32 0x3c7fffff, v4
	s_xor_b32 s34, exec_lo, s34
; %bb.5648:
	v_bfe_u32 v3, v102, 20, 1
	s_delay_alu instid0(VALU_DEP_1) | instskip(NEXT) | instid1(VALU_DEP_1)
	v_add3_u32 v3, v102, v3, 0x407ffff
	v_and_b32_e32 v4, 0xff00000, v3
	v_lshrrev_b32_e32 v3, 20, v3
	s_delay_alu instid0(VALU_DEP_2) | instskip(NEXT) | instid1(VALU_DEP_2)
	v_cmp_ne_u32_e32 vcc_lo, 0x7f00000, v4
	v_cndmask_b32_e32 v3, 0x7e, v3, vcc_lo
; %bb.5649:
	s_and_not1_saveexec_b32 vcc_lo, s34
; %bb.5650:
	v_add_f32_e64 v3, 0x46800000, |v102|
; %bb.5651:
	s_or_b32 exec_lo, exec_lo, vcc_lo
                                        ; implicit-def: $vgpr4
.LBB25_5652:
	s_and_not1_saveexec_b32 s31, s31
; %bb.5653:
	v_mov_b32_e32 v3, 0x7f
	v_cmp_lt_u32_e32 vcc_lo, 0x7f800000, v4
	s_delay_alu instid0(VALU_DEP_2)
	v_cndmask_b32_e32 v3, 0x7e, v3, vcc_lo
; %bb.5654:
	s_or_b32 exec_lo, exec_lo, s31
	v_lshrrev_b32_e32 v4, 24, v102
	s_delay_alu instid0(VALU_DEP_1)
	v_and_or_b32 v3, 0x80, v4, v3
	flat_store_b8 v[1:2], v3
.LBB25_5655:
	s_or_b32 exec_lo, exec_lo, s30
                                        ; implicit-def: $vgpr102
                                        ; implicit-def: $vgpr1_vgpr2
.LBB25_5656:
	s_and_not1_saveexec_b32 vcc_hi, vcc_hi
	s_cbranch_execz .LBB25_5666
; %bb.5657:
	v_and_b32_e32 v4, 0x7fffffff, v102
	s_mov_b32 s30, exec_lo
                                        ; implicit-def: $vgpr3
	s_delay_alu instid0(VALU_DEP_1)
	v_cmpx_gt_u32_e32 0x47800000, v4
	s_xor_b32 s30, exec_lo, s30
	s_cbranch_execz .LBB25_5663
; %bb.5658:
	v_cmp_lt_u32_e32 vcc_lo, 0x387fffff, v4
                                        ; implicit-def: $vgpr3
	s_and_saveexec_b32 s31, vcc_lo
	s_delay_alu instid0(SALU_CYCLE_1)
	s_xor_b32 vcc_lo, exec_lo, s31
; %bb.5659:
	v_bfe_u32 v3, v102, 21, 1
	s_delay_alu instid0(VALU_DEP_1) | instskip(NEXT) | instid1(VALU_DEP_1)
	v_add3_u32 v3, v102, v3, 0x80fffff
	v_lshrrev_b32_e32 v3, 21, v3
; %bb.5660:
	s_and_not1_saveexec_b32 vcc_lo, vcc_lo
; %bb.5661:
	v_add_f32_e64 v3, 0x43000000, |v102|
; %bb.5662:
	s_or_b32 exec_lo, exec_lo, vcc_lo
                                        ; implicit-def: $vgpr4
.LBB25_5663:
	s_and_not1_saveexec_b32 s30, s30
; %bb.5664:
	v_mov_b32_e32 v3, 0x7f
	v_cmp_lt_u32_e32 vcc_lo, 0x7f800000, v4
	s_delay_alu instid0(VALU_DEP_2)
	v_cndmask_b32_e32 v3, 0x7c, v3, vcc_lo
; %bb.5665:
	s_or_b32 exec_lo, exec_lo, s30
	v_lshrrev_b32_e32 v4, 24, v102
	s_delay_alu instid0(VALU_DEP_1)
	v_and_or_b32 v3, 0x80, v4, v3
	flat_store_b8 v[1:2], v3
.LBB25_5666:
	s_or_b32 exec_lo, exec_lo, vcc_hi
	s_delay_alu instid0(SALU_CYCLE_1)
	s_or_b32 vcc_hi, s0, exec_lo
                                        ; implicit-def: $vgpr3
                                        ; implicit-def: $vgpr102
                                        ; implicit-def: $vgpr1_vgpr2
.LBB25_5667:
	s_or_saveexec_b32 s29, s29
	s_mov_b32 vcc_lo, s27
	s_xor_b32 exec_lo, exec_lo, s29
	s_cbranch_execz .LBB25_5677
; %bb.5668:
	s_mov_b32 s30, vcc_hi
	s_mov_b32 s31, s27
	s_mov_b32 s34, exec_lo
	v_cmpx_lt_i16_e32 14, v3
	s_xor_b32 s34, exec_lo, s34
	s_cbranch_execz .LBB25_5672
; %bb.5669:
	s_mov_b32 s35, -1
	s_mov_b32 s30, vcc_hi
	s_mov_b32 s31, exec_lo
	v_cmpx_eq_u16_e32 15, v3
	s_cbranch_execz .LBB25_5671
; %bb.5670:
	v_bfe_u32 v3, v102, 16, 1
	v_cmp_o_f32_e32 vcc_lo, v102, v102
	s_xor_b32 s35, exec_lo, -1
	s_delay_alu instid0(VALU_DEP_2) | instskip(SKIP_1) | instid1(VALU_DEP_1)
	v_add3_u32 v3, v102, v3, 0x7fff
	s_or_b32 s30, vcc_hi, exec_lo
	v_lshrrev_b32_e32 v3, 16, v3
	s_delay_alu instid0(VALU_DEP_1)
	v_cndmask_b32_e32 v3, 0x7fc0, v3, vcc_lo
	flat_store_b16 v[1:2], v3
.LBB25_5671:
	s_or_b32 exec_lo, exec_lo, s31
	s_delay_alu instid0(SALU_CYCLE_1)
	s_and_not1_b32 vcc_lo, s27, exec_lo
	s_and_b32 s31, s35, exec_lo
	s_and_not1_b32 s35, vcc_hi, exec_lo
	s_and_b32 s30, s30, exec_lo
	s_or_b32 s31, vcc_lo, s31
	s_or_b32 s30, s35, s30
                                        ; implicit-def: $vgpr3
                                        ; implicit-def: $vgpr102
                                        ; implicit-def: $vgpr1_vgpr2
.LBB25_5672:
	s_and_not1_saveexec_b32 s34, s34
	s_cbranch_execz .LBB25_5676
; %bb.5673:
	s_mov_b32 s36, -1
	s_mov_b32 s35, s30
	s_mov_b32 s37, exec_lo
	v_cmpx_eq_u16_e32 11, v3
	s_cbranch_execz .LBB25_5675
; %bb.5674:
	v_cmp_neq_f32_e32 vcc_lo, 0, v102
	s_xor_b32 s36, exec_lo, -1
	s_or_b32 s35, s30, exec_lo
	v_cndmask_b32_e64 v3, 0, 1, vcc_lo
	flat_store_b8 v[1:2], v3
.LBB25_5675:
	s_or_b32 exec_lo, exec_lo, s37
	s_delay_alu instid0(SALU_CYCLE_1)
	s_and_not1_b32 vcc_lo, s31, exec_lo
	s_and_b32 s31, s36, exec_lo
	s_and_not1_b32 s30, s30, exec_lo
	s_and_b32 s35, s35, exec_lo
	s_or_b32 s31, vcc_lo, s31
	s_or_b32 s30, s30, s35
.LBB25_5676:
	s_or_b32 exec_lo, exec_lo, s34
	s_delay_alu instid0(SALU_CYCLE_1)
	s_and_not1_b32 vcc_lo, s27, exec_lo
	s_and_b32 s31, s31, exec_lo
	s_and_not1_b32 vcc_hi, vcc_hi, exec_lo
	s_and_b32 s30, s30, exec_lo
	s_or_b32 vcc_lo, vcc_lo, s31
	s_or_b32 vcc_hi, vcc_hi, s30
.LBB25_5677:
	s_or_b32 exec_lo, exec_lo, s29
	s_delay_alu instid0(SALU_CYCLE_1)
	s_and_not1_b32 s27, s27, exec_lo
	s_and_b32 s29, vcc_lo, exec_lo
	s_and_not1_b32 s0, s0, exec_lo
	s_and_b32 vcc_lo, vcc_hi, exec_lo
	s_or_b32 s27, s27, s29
	s_or_b32 s0, s0, vcc_lo
.LBB25_5678:
	s_or_b32 exec_lo, exec_lo, s28
	s_delay_alu instid0(SALU_CYCLE_1)
	s_and_not1_b32 s28, s23, exec_lo
	s_and_b32 s27, s27, exec_lo
	s_and_b32 s0, s0, exec_lo
	s_or_b32 s27, s28, s27
                                        ; implicit-def: $vgpr3
                                        ; implicit-def: $vgpr102
                                        ; implicit-def: $vgpr1_vgpr2
	s_and_not1_saveexec_b32 s25, s25
	s_cbranch_execz .LBB25_3923
.LBB25_5679:
	s_mov_b32 s28, exec_lo
	v_cmpx_lt_i16_e32 4, v3
	s_xor_b32 s28, exec_lo, s28
	s_cbranch_execz .LBB25_5701
; %bb.5680:
	s_mov_b32 s29, exec_lo
	v_cmpx_lt_i16_e32 7, v3
	s_xor_b32 s29, exec_lo, s29
	s_cbranch_execz .LBB25_5690
; %bb.5681:
	s_mov_b32 vcc_hi, exec_lo
	v_cmpx_lt_i16_e32 8, v3
	s_xor_b32 vcc_hi, exec_lo, vcc_hi
	s_cbranch_execz .LBB25_5687
; %bb.5682:
	v_cmp_lt_i16_e32 vcc_lo, 9, v3
	s_and_saveexec_b32 s30, vcc_lo
	s_delay_alu instid0(SALU_CYCLE_1)
	s_xor_b32 vcc_lo, exec_lo, s30
	s_cbranch_execz .LBB25_5684
; %bb.5683:
	v_cvt_f64_f32_e32 v[3:4], v102
	v_mov_b32_e32 v5, 0
                                        ; implicit-def: $vgpr102
	s_delay_alu instid0(VALU_DEP_1)
	v_mov_b32_e32 v6, v5
	flat_store_b128 v[1:2], v[3:6]
                                        ; implicit-def: $vgpr1_vgpr2
.LBB25_5684:
	s_and_not1_saveexec_b32 vcc_lo, vcc_lo
	s_cbranch_execz .LBB25_5686
; %bb.5685:
	v_mov_b32_e32 v103, 0
	flat_store_b64 v[1:2], v[102:103]
.LBB25_5686:
	s_or_b32 exec_lo, exec_lo, vcc_lo
                                        ; implicit-def: $vgpr102
                                        ; implicit-def: $vgpr1_vgpr2
.LBB25_5687:
	s_and_not1_saveexec_b32 vcc_lo, vcc_hi
	s_cbranch_execz .LBB25_5689
; %bb.5688:
	v_cvt_f16_f32_e32 v3, v102
	s_delay_alu instid0(VALU_DEP_1)
	v_and_b32_e32 v3, 0xffff, v3
	flat_store_b32 v[1:2], v3
.LBB25_5689:
	s_or_b32 exec_lo, exec_lo, vcc_lo
                                        ; implicit-def: $vgpr102
                                        ; implicit-def: $vgpr1_vgpr2
                                        ; implicit-def: $vgpr3
.LBB25_5690:
	s_and_not1_saveexec_b32 s29, s29
	s_cbranch_execz .LBB25_5700
; %bb.5691:
	s_mov_b32 vcc_hi, exec_lo
	v_cmpx_lt_i16_e32 5, v3
	s_xor_b32 vcc_hi, exec_lo, vcc_hi
	s_cbranch_execz .LBB25_5697
; %bb.5692:
	v_cmp_lt_i16_e32 vcc_lo, 6, v3
	s_and_saveexec_b32 s30, vcc_lo
	s_delay_alu instid0(SALU_CYCLE_1)
	s_xor_b32 vcc_lo, exec_lo, s30
	s_cbranch_execz .LBB25_5694
; %bb.5693:
	v_cvt_f64_f32_e32 v[3:4], v102
                                        ; implicit-def: $vgpr102
	flat_store_b64 v[1:2], v[3:4]
                                        ; implicit-def: $vgpr1_vgpr2
.LBB25_5694:
	s_and_not1_saveexec_b32 vcc_lo, vcc_lo
	s_cbranch_execz .LBB25_5696
; %bb.5695:
	flat_store_b32 v[1:2], v102
.LBB25_5696:
	s_or_b32 exec_lo, exec_lo, vcc_lo
                                        ; implicit-def: $vgpr102
                                        ; implicit-def: $vgpr1_vgpr2
.LBB25_5697:
	s_and_not1_saveexec_b32 vcc_lo, vcc_hi
	s_cbranch_execz .LBB25_5699
; %bb.5698:
	v_cvt_f16_f32_e32 v3, v102
	flat_store_b16 v[1:2], v3
.LBB25_5699:
	s_or_b32 exec_lo, exec_lo, vcc_lo
.LBB25_5700:
	s_delay_alu instid0(SALU_CYCLE_1)
	s_or_b32 exec_lo, exec_lo, s29
                                        ; implicit-def: $vgpr3
                                        ; implicit-def: $vgpr102
                                        ; implicit-def: $vgpr1_vgpr2
.LBB25_5701:
	s_and_not1_saveexec_b32 s28, s28
	s_cbranch_execz .LBB25_5719
; %bb.5702:
	s_mov_b32 s29, exec_lo
	v_cmpx_lt_i16_e32 1, v3
	s_xor_b32 s29, exec_lo, s29
	s_cbranch_execz .LBB25_5712
; %bb.5703:
	s_mov_b32 vcc_hi, exec_lo
	v_cmpx_lt_i16_e32 2, v3
	s_xor_b32 vcc_hi, exec_lo, vcc_hi
	s_cbranch_execz .LBB25_5709
; %bb.5704:
	s_mov_b32 s30, exec_lo
	v_cmpx_lt_i16_e32 3, v3
	s_xor_b32 s30, exec_lo, s30
	s_cbranch_execz .LBB25_5706
; %bb.5705:
	v_trunc_f32_e32 v3, v102
                                        ; implicit-def: $vgpr102
	s_delay_alu instid0(VALU_DEP_1) | instskip(SKIP_1) | instid1(VALU_DEP_2)
	v_mul_f32_e64 v4, 0x2f800000, |v3|
	v_ashrrev_i32_e32 v6, 31, v3
	v_floor_f32_e32 v4, v4
	s_delay_alu instid0(VALU_DEP_1) | instskip(SKIP_1) | instid1(VALU_DEP_2)
	v_fma_f32 v5, 0xcf800000, v4, |v3|
	v_cvt_u32_f32_e32 v4, v4
	v_cvt_u32_f32_e32 v3, v5
	s_delay_alu instid0(VALU_DEP_2) | instskip(NEXT) | instid1(VALU_DEP_2)
	v_xor_b32_e32 v4, v4, v6
	v_xor_b32_e32 v3, v3, v6
	s_delay_alu instid0(VALU_DEP_1) | instskip(NEXT) | instid1(VALU_DEP_3)
	v_sub_co_u32 v3, vcc_lo, v3, v6
	v_sub_co_ci_u32_e32 v4, vcc_lo, v4, v6, vcc_lo
	flat_store_b64 v[1:2], v[3:4]
                                        ; implicit-def: $vgpr1_vgpr2
.LBB25_5706:
	s_and_not1_saveexec_b32 vcc_lo, s30
	s_cbranch_execz .LBB25_5708
; %bb.5707:
	v_cvt_i32_f32_e32 v3, v102
	flat_store_b32 v[1:2], v3
.LBB25_5708:
	s_or_b32 exec_lo, exec_lo, vcc_lo
                                        ; implicit-def: $vgpr102
                                        ; implicit-def: $vgpr1_vgpr2
.LBB25_5709:
	s_and_not1_saveexec_b32 vcc_lo, vcc_hi
	s_cbranch_execz .LBB25_5711
; %bb.5710:
	v_cvt_i32_f32_e32 v3, v102
	flat_store_b16 v[1:2], v3
.LBB25_5711:
	s_or_b32 exec_lo, exec_lo, vcc_lo
                                        ; implicit-def: $vgpr102
                                        ; implicit-def: $vgpr1_vgpr2
                                        ; implicit-def: $vgpr3
.LBB25_5712:
	s_and_not1_saveexec_b32 s29, s29
	s_cbranch_execz .LBB25_5718
; %bb.5713:
	v_cmp_lt_i16_e32 vcc_lo, 0, v3
	s_and_saveexec_b32 vcc_hi, vcc_lo
	s_delay_alu instid0(SALU_CYCLE_1)
	s_xor_b32 vcc_lo, exec_lo, vcc_hi
	s_cbranch_execz .LBB25_5715
; %bb.5714:
	v_cvt_i32_f32_e32 v3, v102
                                        ; implicit-def: $vgpr102
	flat_store_b8 v[1:2], v3
                                        ; implicit-def: $vgpr1_vgpr2
.LBB25_5715:
	s_and_not1_saveexec_b32 vcc_lo, vcc_lo
	s_cbranch_execz .LBB25_5717
; %bb.5716:
	v_trunc_f32_e32 v3, v102
	s_delay_alu instid0(VALU_DEP_1) | instskip(NEXT) | instid1(VALU_DEP_1)
	v_mul_f32_e64 v4, 0x2f800000, |v3|
	v_floor_f32_e32 v4, v4
	s_delay_alu instid0(VALU_DEP_1) | instskip(SKIP_1) | instid1(VALU_DEP_2)
	v_fma_f32 v4, 0xcf800000, v4, |v3|
	v_ashrrev_i32_e32 v3, 31, v3
	v_cvt_u32_f32_e32 v4, v4
	s_delay_alu instid0(VALU_DEP_1) | instskip(NEXT) | instid1(VALU_DEP_1)
	v_xor_b32_e32 v4, v4, v3
	v_sub_nc_u32_e32 v3, v4, v3
	flat_store_b8 v[1:2], v3
.LBB25_5717:
	s_or_b32 exec_lo, exec_lo, vcc_lo
.LBB25_5718:
	s_delay_alu instid0(SALU_CYCLE_1)
	s_or_b32 exec_lo, exec_lo, s29
.LBB25_5719:
	s_delay_alu instid0(SALU_CYCLE_1) | instskip(NEXT) | instid1(SALU_CYCLE_1)
	s_or_b32 exec_lo, exec_lo, s28
	s_or_b32 s0, s0, exec_lo
	s_or_b32 exec_lo, exec_lo, s25
	s_mov_b32 s28, 0
	s_and_saveexec_b32 s25, s0
	s_cbranch_execnz .LBB25_3924
	s_branch .LBB25_3925
.LBB25_5720:
	v_bfe_u32 v3, v117, 21, 1
	s_mov_b32 s21, exec_lo
	s_delay_alu instid0(VALU_DEP_1) | instskip(NEXT) | instid1(VALU_DEP_1)
	v_add3_u32 v3, v117, v3, 0x88fffff
	v_lshrrev_b32_e32 v3, 21, v3
	s_or_saveexec_b32 s22, s22
                                        ; implicit-def: $sgpr23
	s_delay_alu instid0(SALU_CYCLE_1)
	s_xor_b32 exec_lo, exec_lo, s22
	s_cbranch_execz .LBB25_4887
.LBB25_5721:
	v_add_f32_e64 v3, 0x42800000, |v117|
	s_and_not1_b32 s21, s21, exec_lo
	s_mov_b32 s23, 0
	s_delay_alu instid0(VALU_DEP_1) | instskip(NEXT) | instid1(VALU_DEP_1)
	v_and_b32_e32 v3, 0xff, v3
	v_cmp_ne_u32_e32 vcc_lo, 0, v3
	s_and_b32 s24, vcc_lo, exec_lo
	s_delay_alu instid0(SALU_CYCLE_1)
	s_or_b32 s21, s21, s24
	s_or_b32 exec_lo, exec_lo, s22
	v_mov_b32_e32 v4, s23
	s_and_saveexec_b32 s22, s21
	s_cbranch_execnz .LBB25_4888
	s_branch .LBB25_4889
.LBB25_5722:
	v_bfe_u32 v3, v116, 20, 1
	s_mov_b32 s22, exec_lo
	s_delay_alu instid0(VALU_DEP_1) | instskip(NEXT) | instid1(VALU_DEP_1)
	v_add3_u32 v3, v116, v3, 0x487ffff
	v_lshrrev_b32_e32 v3, 20, v3
	s_or_saveexec_b32 s23, s23
                                        ; implicit-def: $sgpr24
	s_delay_alu instid0(SALU_CYCLE_1)
	s_xor_b32 exec_lo, exec_lo, s23
	s_cbranch_execz .LBB25_4998
.LBB25_5723:
	v_add_f32_e64 v3, 0x46000000, |v116|
	s_and_not1_b32 s22, s22, exec_lo
	s_mov_b32 s24, 0
	s_delay_alu instid0(VALU_DEP_1) | instskip(NEXT) | instid1(VALU_DEP_1)
	v_and_b32_e32 v3, 0xff, v3
	v_cmp_ne_u32_e32 vcc_lo, 0, v3
	s_and_b32 s25, vcc_lo, exec_lo
	s_delay_alu instid0(SALU_CYCLE_1)
	s_or_b32 s22, s22, s25
	s_or_b32 exec_lo, exec_lo, s23
	v_mov_b32_e32 v4, s24
	s_and_saveexec_b32 s23, s22
	s_cbranch_execnz .LBB25_4999
	s_branch .LBB25_5000
.LBB25_5724:
	s_mov_b32 s29, s25
	s_mov_b32 vcc_hi, exec_lo
	v_cmpx_lt_i16_e32 25, v3
	s_xor_b32 vcc_hi, exec_lo, vcc_hi
	s_cbranch_execz .LBB25_5760
; %bb.5725:
	s_mov_b32 s30, s25
	s_mov_b32 s29, exec_lo
	v_cmpx_lt_i16_e32 28, v3
	s_xor_b32 s29, exec_lo, s29
	s_cbranch_execz .LBB25_5743
; %bb.5726:
	s_mov_b32 s34, s25
	s_mov_b32 s30, exec_lo
	v_cmpx_lt_i16_e32 43, v3
	s_xor_b32 s30, exec_lo, s30
	s_cbranch_execz .LBB25_5738
; %bb.5727:
	s_mov_b32 s31, 0
	s_mov_b32 s34, s25
	s_mov_b32 s0, exec_lo
	v_cmpx_lt_i16_e32 45, v3
	s_xor_b32 s0, exec_lo, s0
	s_cbranch_execz .LBB25_5731
; %bb.5728:
	s_mov_b32 s35, -1
	s_mov_b32 s34, exec_lo
	v_cmpx_eq_u16_e32 46, v3
	s_cbranch_execz .LBB25_5730
; %bb.5729:
	v_bfe_u32 v3, v101, 16, 1
	v_cmp_o_f32_e32 vcc_lo, v101, v101
	s_mov_b32 s31, exec_lo
	s_xor_b32 s35, exec_lo, -1
	s_delay_alu instid0(VALU_DEP_2) | instskip(NEXT) | instid1(VALU_DEP_1)
	v_add3_u32 v3, v101, v3, 0x7fff
	v_lshrrev_b32_e32 v3, 16, v3
	s_delay_alu instid0(VALU_DEP_1)
	v_cndmask_b32_e32 v3, 0x7fc0, v3, vcc_lo
	flat_store_b32 v[1:2], v3
.LBB25_5730:
	s_or_b32 exec_lo, exec_lo, s34
	s_delay_alu instid0(SALU_CYCLE_1)
	s_and_not1_b32 vcc_lo, s25, exec_lo
	s_and_b32 s34, s35, exec_lo
	s_and_b32 s31, s31, exec_lo
	s_or_b32 s34, vcc_lo, s34
                                        ; implicit-def: $vgpr3
                                        ; implicit-def: $vgpr1_vgpr2
                                        ; implicit-def: $vgpr101
.LBB25_5731:
	s_and_not1_saveexec_b32 s35, s0
	s_cbranch_execz .LBB25_5737
; %bb.5732:
	s_mov_b32 s37, -1
	s_mov_b32 s0, s31
	s_mov_b32 s36, exec_lo
	v_cmpx_eq_u16_e32 44, v3
	s_cbranch_execz .LBB25_5736
; %bb.5733:
	v_bfe_u32 v4, v101, 23, 8
	v_mov_b32_e32 v3, 0xff
	s_mov_b32 s37, exec_lo
	s_delay_alu instid0(VALU_DEP_2)
	v_cmpx_ne_u32_e32 0xff, v4
; %bb.5734:
	v_and_b32_e32 v3, 0x400000, v101
	v_and_or_b32 v4, 0x3fffff, v101, v4
	s_delay_alu instid0(VALU_DEP_2) | instskip(NEXT) | instid1(VALU_DEP_2)
	v_cmp_ne_u32_e32 vcc_lo, 0, v3
	v_cmp_ne_u32_e64 s0, 0, v4
	v_lshrrev_b32_e32 v3, 23, v101
	s_delay_alu instid0(VALU_DEP_2) | instskip(NEXT) | instid1(SALU_CYCLE_1)
	s_and_b32 s0, vcc_lo, s0
	v_cndmask_b32_e64 v4, 0, 1, s0
	s_delay_alu instid0(VALU_DEP_1)
	v_add_nc_u32_e32 v3, v3, v4
; %bb.5735:
	s_or_b32 exec_lo, exec_lo, s37
	s_delay_alu instid0(SALU_CYCLE_1)
	s_xor_b32 s37, exec_lo, -1
	s_or_b32 s0, s31, exec_lo
	flat_store_b8 v[1:2], v3
.LBB25_5736:
	s_or_b32 exec_lo, exec_lo, s36
	s_delay_alu instid0(SALU_CYCLE_1)
	s_and_not1_b32 vcc_lo, s34, exec_lo
	s_and_b32 s34, s37, exec_lo
	s_and_not1_b32 s31, s31, exec_lo
	s_and_b32 s0, s0, exec_lo
	s_or_b32 s34, vcc_lo, s34
	s_or_b32 s31, s31, s0
.LBB25_5737:
	s_or_b32 exec_lo, exec_lo, s35
	s_delay_alu instid0(SALU_CYCLE_1) | instskip(SKIP_1) | instid1(SALU_CYCLE_1)
	s_and_not1_b32 s0, s25, exec_lo
	s_and_b32 vcc_lo, s34, exec_lo
                                        ; implicit-def: $vgpr3
                                        ; implicit-def: $vgpr101
                                        ; implicit-def: $vgpr1_vgpr2
	s_or_b32 s34, s0, vcc_lo
	s_and_b32 s0, s31, exec_lo
.LBB25_5738:
	s_and_not1_saveexec_b32 s30, s30
	s_cbranch_execz .LBB25_5742
; %bb.5739:
	s_mov_b32 s36, -1
	s_mov_b32 s35, s0
	s_mov_b32 s31, exec_lo
	v_cmpx_eq_u16_e32 29, v3
	s_cbranch_execz .LBB25_5741
; %bb.5740:
	v_trunc_f32_e32 v3, v101
	s_xor_b32 s36, exec_lo, -1
	s_or_b32 s35, s0, exec_lo
	s_delay_alu instid0(VALU_DEP_1) | instskip(NEXT) | instid1(VALU_DEP_1)
	v_mul_f32_e32 v4, 0x2f800000, v3
	v_floor_f32_e32 v4, v4
	s_delay_alu instid0(VALU_DEP_1) | instskip(SKIP_1) | instid1(VALU_DEP_2)
	v_fmamk_f32 v3, v4, 0xcf800000, v3
	v_cvt_u32_f32_e32 v4, v4
	v_cvt_u32_f32_e32 v3, v3
	flat_store_b64 v[1:2], v[3:4]
.LBB25_5741:
	s_or_b32 exec_lo, exec_lo, s31
	s_delay_alu instid0(SALU_CYCLE_1)
	s_and_not1_b32 vcc_lo, s34, exec_lo
	s_and_b32 s31, s36, exec_lo
	s_and_not1_b32 s0, s0, exec_lo
	s_and_b32 s35, s35, exec_lo
	s_or_b32 s34, vcc_lo, s31
	s_or_b32 s0, s0, s35
.LBB25_5742:
	s_or_b32 exec_lo, exec_lo, s30
	s_delay_alu instid0(SALU_CYCLE_1)
	s_and_not1_b32 vcc_lo, s25, exec_lo
	s_and_b32 s30, s34, exec_lo
	s_and_b32 s0, s0, exec_lo
	s_or_b32 s30, vcc_lo, s30
                                        ; implicit-def: $vgpr1_vgpr2
                                        ; implicit-def: $vgpr3
                                        ; implicit-def: $vgpr101
.LBB25_5743:
	s_and_not1_saveexec_b32 s29, s29
	s_cbranch_execz .LBB25_5759
; %bb.5744:
	s_mov_b32 s31, exec_lo
	v_cmpx_lt_i16_e32 26, v3
	s_xor_b32 s31, exec_lo, s31
	s_cbranch_execz .LBB25_5750
; %bb.5745:
	v_cmp_lt_i16_e32 vcc_lo, 27, v3
	s_and_saveexec_b32 s34, vcc_lo
	s_delay_alu instid0(SALU_CYCLE_1)
	s_xor_b32 vcc_lo, exec_lo, s34
	s_cbranch_execz .LBB25_5747
; %bb.5746:
	v_cvt_u32_f32_e32 v3, v101
                                        ; implicit-def: $vgpr101
	flat_store_b32 v[1:2], v3
                                        ; implicit-def: $vgpr1_vgpr2
.LBB25_5747:
	s_and_not1_saveexec_b32 vcc_lo, vcc_lo
	s_cbranch_execz .LBB25_5749
; %bb.5748:
	v_cvt_u32_f32_e32 v3, v101
	flat_store_b16 v[1:2], v3
.LBB25_5749:
	s_or_b32 exec_lo, exec_lo, vcc_lo
                                        ; implicit-def: $vgpr1_vgpr2
                                        ; implicit-def: $vgpr101
.LBB25_5750:
	s_and_not1_saveexec_b32 s31, s31
	s_cbranch_execz .LBB25_5758
; %bb.5751:
	v_and_b32_e32 v3, 0x7fffffff, v101
	v_mov_b32_e32 v4, 0x80
	s_mov_b32 s34, exec_lo
	s_delay_alu instid0(VALU_DEP_2)
	v_cmpx_gt_u32_e32 0x43800000, v3
	s_cbranch_execz .LBB25_5757
; %bb.5752:
	v_cmp_lt_u32_e32 vcc_lo, 0x3bffffff, v3
	s_mov_b32 s35, 0
                                        ; implicit-def: $vgpr3
	s_and_saveexec_b32 s36, vcc_lo
	s_delay_alu instid0(SALU_CYCLE_1)
	s_xor_b32 vcc_lo, exec_lo, s36
	s_cbranch_execnz .LBB25_6478
; %bb.5753:
	s_or_saveexec_b32 s36, vcc_lo
                                        ; implicit-def: $vcc_lo
	s_delay_alu instid0(SALU_CYCLE_1)
	s_xor_b32 exec_lo, exec_lo, s36
	s_cbranch_execnz .LBB25_6479
.LBB25_5754:
	s_or_b32 exec_lo, exec_lo, s36
	v_mov_b32_e32 v4, vcc_lo
	s_and_saveexec_b32 vcc_lo, s35
.LBB25_5755:
	v_lshrrev_b32_e32 v4, 24, v101
	s_delay_alu instid0(VALU_DEP_1)
	v_and_or_b32 v4, 0x80, v4, v3
.LBB25_5756:
	s_or_b32 exec_lo, exec_lo, vcc_lo
.LBB25_5757:
	s_delay_alu instid0(SALU_CYCLE_1)
	s_or_b32 exec_lo, exec_lo, s34
	flat_store_b8 v[1:2], v4
.LBB25_5758:
	s_or_b32 exec_lo, exec_lo, s31
	s_delay_alu instid0(SALU_CYCLE_1)
	s_or_b32 s0, s0, exec_lo
.LBB25_5759:
	s_or_b32 exec_lo, exec_lo, s29
	s_delay_alu instid0(SALU_CYCLE_1)
	s_and_not1_b32 s29, s25, exec_lo
	s_and_b32 vcc_lo, s30, exec_lo
	s_and_b32 s0, s0, exec_lo
	s_or_b32 s29, s29, vcc_lo
                                        ; implicit-def: $vgpr3
                                        ; implicit-def: $vgpr101
                                        ; implicit-def: $vgpr1_vgpr2
.LBB25_5760:
	s_and_not1_saveexec_b32 vcc_hi, vcc_hi
	s_cbranch_execz .LBB25_5804
; %bb.5761:
	s_mov_b32 s31, s0
	s_mov_b32 s30, exec_lo
	v_cmpx_lt_i16_e32 22, v3
	s_xor_b32 s30, exec_lo, s30
	s_cbranch_execz .LBB25_5793
; %bb.5762:
	s_mov_b32 s31, exec_lo
	v_cmpx_lt_i16_e32 23, v3
	s_xor_b32 s31, exec_lo, s31
	s_cbranch_execz .LBB25_5782
; %bb.5763:
	s_mov_b32 s34, exec_lo
	v_cmpx_lt_i16_e32 24, v3
	s_xor_b32 s34, exec_lo, s34
	s_cbranch_execz .LBB25_5771
; %bb.5764:
	v_and_b32_e32 v3, 0x7fffffff, v101
	v_mov_b32_e32 v4, 0x80
	s_mov_b32 s35, exec_lo
	s_delay_alu instid0(VALU_DEP_2)
	v_cmpx_gt_u32_e32 0x47800000, v3
	s_cbranch_execz .LBB25_5770
; %bb.5765:
	v_cmp_lt_u32_e32 vcc_lo, 0x37ffffff, v3
	s_mov_b32 s36, 0
                                        ; implicit-def: $vgpr3
	s_and_saveexec_b32 s37, vcc_lo
	s_delay_alu instid0(SALU_CYCLE_1)
	s_xor_b32 vcc_lo, exec_lo, s37
	s_cbranch_execnz .LBB25_6602
; %bb.5766:
	s_or_saveexec_b32 s37, vcc_lo
                                        ; implicit-def: $vcc_lo
	s_delay_alu instid0(SALU_CYCLE_1)
	s_xor_b32 exec_lo, exec_lo, s37
	s_cbranch_execnz .LBB25_6603
.LBB25_5767:
	s_or_b32 exec_lo, exec_lo, s37
	v_mov_b32_e32 v4, vcc_lo
	s_and_saveexec_b32 vcc_lo, s36
.LBB25_5768:
	v_lshrrev_b32_e32 v4, 24, v101
	s_delay_alu instid0(VALU_DEP_1)
	v_and_or_b32 v4, 0x80, v4, v3
.LBB25_5769:
	s_or_b32 exec_lo, exec_lo, vcc_lo
.LBB25_5770:
	s_delay_alu instid0(SALU_CYCLE_1)
	s_or_b32 exec_lo, exec_lo, s35
	flat_store_b8 v[1:2], v4
                                        ; implicit-def: $vgpr101
                                        ; implicit-def: $vgpr1_vgpr2
.LBB25_5771:
	s_and_not1_saveexec_b32 s34, s34
	s_cbranch_execz .LBB25_5781
; %bb.5772:
	v_and_b32_e32 v4, 0x7fffffff, v101
	s_mov_b32 s35, exec_lo
                                        ; implicit-def: $vgpr3
	s_delay_alu instid0(VALU_DEP_1)
	v_cmpx_gt_u32_e32 0x43f00000, v4
	s_xor_b32 s35, exec_lo, s35
	s_cbranch_execz .LBB25_5778
; %bb.5773:
	s_mov_b32 s36, exec_lo
                                        ; implicit-def: $vgpr3
	v_cmpx_lt_u32_e32 0x3c7fffff, v4
	s_xor_b32 s36, exec_lo, s36
; %bb.5774:
	v_bfe_u32 v3, v101, 20, 1
	s_delay_alu instid0(VALU_DEP_1) | instskip(NEXT) | instid1(VALU_DEP_1)
	v_add3_u32 v3, v101, v3, 0x407ffff
	v_and_b32_e32 v4, 0xff00000, v3
	v_lshrrev_b32_e32 v3, 20, v3
	s_delay_alu instid0(VALU_DEP_2) | instskip(NEXT) | instid1(VALU_DEP_2)
	v_cmp_ne_u32_e32 vcc_lo, 0x7f00000, v4
	v_cndmask_b32_e32 v3, 0x7e, v3, vcc_lo
; %bb.5775:
	s_and_not1_saveexec_b32 vcc_lo, s36
; %bb.5776:
	v_add_f32_e64 v3, 0x46800000, |v101|
; %bb.5777:
	s_or_b32 exec_lo, exec_lo, vcc_lo
                                        ; implicit-def: $vgpr4
.LBB25_5778:
	s_and_not1_saveexec_b32 s35, s35
; %bb.5779:
	v_mov_b32_e32 v3, 0x7f
	v_cmp_lt_u32_e32 vcc_lo, 0x7f800000, v4
	s_delay_alu instid0(VALU_DEP_2)
	v_cndmask_b32_e32 v3, 0x7e, v3, vcc_lo
; %bb.5780:
	s_or_b32 exec_lo, exec_lo, s35
	v_lshrrev_b32_e32 v4, 24, v101
	s_delay_alu instid0(VALU_DEP_1)
	v_and_or_b32 v3, 0x80, v4, v3
	flat_store_b8 v[1:2], v3
.LBB25_5781:
	s_or_b32 exec_lo, exec_lo, s34
                                        ; implicit-def: $vgpr101
                                        ; implicit-def: $vgpr1_vgpr2
.LBB25_5782:
	s_and_not1_saveexec_b32 s31, s31
	s_cbranch_execz .LBB25_5792
; %bb.5783:
	v_and_b32_e32 v4, 0x7fffffff, v101
	s_mov_b32 s34, exec_lo
                                        ; implicit-def: $vgpr3
	s_delay_alu instid0(VALU_DEP_1)
	v_cmpx_gt_u32_e32 0x47800000, v4
	s_xor_b32 s34, exec_lo, s34
	s_cbranch_execz .LBB25_5789
; %bb.5784:
	v_cmp_lt_u32_e32 vcc_lo, 0x387fffff, v4
                                        ; implicit-def: $vgpr3
	s_and_saveexec_b32 s35, vcc_lo
	s_delay_alu instid0(SALU_CYCLE_1)
	s_xor_b32 vcc_lo, exec_lo, s35
; %bb.5785:
	v_bfe_u32 v3, v101, 21, 1
	s_delay_alu instid0(VALU_DEP_1) | instskip(NEXT) | instid1(VALU_DEP_1)
	v_add3_u32 v3, v101, v3, 0x80fffff
	v_lshrrev_b32_e32 v3, 21, v3
; %bb.5786:
	s_and_not1_saveexec_b32 vcc_lo, vcc_lo
; %bb.5787:
	v_add_f32_e64 v3, 0x43000000, |v101|
; %bb.5788:
	s_or_b32 exec_lo, exec_lo, vcc_lo
                                        ; implicit-def: $vgpr4
.LBB25_5789:
	s_and_not1_saveexec_b32 s34, s34
; %bb.5790:
	v_mov_b32_e32 v3, 0x7f
	v_cmp_lt_u32_e32 vcc_lo, 0x7f800000, v4
	s_delay_alu instid0(VALU_DEP_2)
	v_cndmask_b32_e32 v3, 0x7c, v3, vcc_lo
; %bb.5791:
	s_or_b32 exec_lo, exec_lo, s34
	v_lshrrev_b32_e32 v4, 24, v101
	s_delay_alu instid0(VALU_DEP_1)
	v_and_or_b32 v3, 0x80, v4, v3
	flat_store_b8 v[1:2], v3
.LBB25_5792:
	s_or_b32 exec_lo, exec_lo, s31
	s_delay_alu instid0(SALU_CYCLE_1)
	s_or_b32 s31, s0, exec_lo
                                        ; implicit-def: $vgpr3
                                        ; implicit-def: $vgpr101
                                        ; implicit-def: $vgpr1_vgpr2
.LBB25_5793:
	s_or_saveexec_b32 s30, s30
	s_mov_b32 vcc_lo, s29
	s_xor_b32 exec_lo, exec_lo, s30
	s_cbranch_execz .LBB25_5803
; %bb.5794:
	s_mov_b32 s34, s31
	s_mov_b32 s35, s29
	s_mov_b32 s36, exec_lo
	v_cmpx_lt_i16_e32 14, v3
	s_xor_b32 s36, exec_lo, s36
	s_cbranch_execz .LBB25_5798
; %bb.5795:
	s_mov_b32 s37, -1
	s_mov_b32 s34, s31
	s_mov_b32 s35, exec_lo
	v_cmpx_eq_u16_e32 15, v3
	s_cbranch_execz .LBB25_5797
; %bb.5796:
	v_bfe_u32 v3, v101, 16, 1
	v_cmp_o_f32_e32 vcc_lo, v101, v101
	s_xor_b32 s37, exec_lo, -1
	s_or_b32 s34, s31, exec_lo
	s_delay_alu instid0(VALU_DEP_2) | instskip(NEXT) | instid1(VALU_DEP_1)
	v_add3_u32 v3, v101, v3, 0x7fff
	v_lshrrev_b32_e32 v3, 16, v3
	s_delay_alu instid0(VALU_DEP_1)
	v_cndmask_b32_e32 v3, 0x7fc0, v3, vcc_lo
	flat_store_b16 v[1:2], v3
.LBB25_5797:
	s_or_b32 exec_lo, exec_lo, s35
	s_delay_alu instid0(SALU_CYCLE_1)
	s_and_not1_b32 vcc_lo, s29, exec_lo
	s_and_b32 s35, s37, exec_lo
	s_and_not1_b32 s37, s31, exec_lo
	s_and_b32 s34, s34, exec_lo
	s_or_b32 s35, vcc_lo, s35
	s_or_b32 s34, s37, s34
                                        ; implicit-def: $vgpr3
                                        ; implicit-def: $vgpr101
                                        ; implicit-def: $vgpr1_vgpr2
.LBB25_5798:
	s_and_not1_saveexec_b32 s36, s36
	s_cbranch_execz .LBB25_5802
; %bb.5799:
	s_mov_b32 s41, -1
	s_mov_b32 s37, s34
	s_mov_b32 s42, exec_lo
	v_cmpx_eq_u16_e32 11, v3
	s_cbranch_execz .LBB25_5801
; %bb.5800:
	v_cmp_neq_f32_e32 vcc_lo, 0, v101
	s_xor_b32 s41, exec_lo, -1
	s_or_b32 s37, s34, exec_lo
	v_cndmask_b32_e64 v3, 0, 1, vcc_lo
	flat_store_b8 v[1:2], v3
.LBB25_5801:
	s_or_b32 exec_lo, exec_lo, s42
	s_delay_alu instid0(SALU_CYCLE_1)
	s_and_not1_b32 vcc_lo, s35, exec_lo
	s_and_b32 s35, s41, exec_lo
	s_and_not1_b32 s34, s34, exec_lo
	s_and_b32 s37, s37, exec_lo
	s_or_b32 s35, vcc_lo, s35
	s_or_b32 s34, s34, s37
.LBB25_5802:
	s_or_b32 exec_lo, exec_lo, s36
	s_delay_alu instid0(SALU_CYCLE_1)
	s_and_not1_b32 vcc_lo, s29, exec_lo
	s_and_b32 s35, s35, exec_lo
	s_and_not1_b32 s31, s31, exec_lo
	s_and_b32 s34, s34, exec_lo
	s_or_b32 vcc_lo, vcc_lo, s35
	s_or_b32 s31, s31, s34
.LBB25_5803:
	s_or_b32 exec_lo, exec_lo, s30
	s_delay_alu instid0(SALU_CYCLE_1)
	s_and_not1_b32 s29, s29, exec_lo
	s_and_b32 vcc_lo, vcc_lo, exec_lo
	s_and_not1_b32 s0, s0, exec_lo
	s_and_b32 s30, s31, exec_lo
	s_or_b32 s29, s29, vcc_lo
	s_or_b32 s0, s0, s30
.LBB25_5804:
	s_or_b32 exec_lo, exec_lo, vcc_hi
	s_delay_alu instid0(SALU_CYCLE_1)
	s_and_not1_b32 vcc_lo, s25, exec_lo
	s_and_b32 s29, s29, exec_lo
	s_and_b32 s0, s0, exec_lo
	s_or_b32 s29, vcc_lo, s29
                                        ; implicit-def: $vgpr3
                                        ; implicit-def: $vgpr101
                                        ; implicit-def: $vgpr1_vgpr2
	s_and_not1_saveexec_b32 s27, s27
	s_cbranch_execz .LBB25_3930
.LBB25_5805:
	s_mov_b32 vcc_hi, exec_lo
	v_cmpx_lt_i16_e32 4, v3
	s_xor_b32 vcc_hi, exec_lo, vcc_hi
	s_cbranch_execz .LBB25_5827
; %bb.5806:
	s_mov_b32 s30, exec_lo
	v_cmpx_lt_i16_e32 7, v3
	s_xor_b32 s30, exec_lo, s30
	s_cbranch_execz .LBB25_5816
; %bb.5807:
	s_mov_b32 s31, exec_lo
	v_cmpx_lt_i16_e32 8, v3
	s_xor_b32 s31, exec_lo, s31
	s_cbranch_execz .LBB25_5813
; %bb.5808:
	v_cmp_lt_i16_e32 vcc_lo, 9, v3
	s_and_saveexec_b32 s34, vcc_lo
	s_delay_alu instid0(SALU_CYCLE_1)
	s_xor_b32 vcc_lo, exec_lo, s34
	s_cbranch_execz .LBB25_5810
; %bb.5809:
	v_cvt_f64_f32_e32 v[3:4], v101
	v_mov_b32_e32 v5, 0
                                        ; implicit-def: $vgpr101
	s_delay_alu instid0(VALU_DEP_1)
	v_mov_b32_e32 v6, v5
	flat_store_b128 v[1:2], v[3:6]
                                        ; implicit-def: $vgpr1_vgpr2
.LBB25_5810:
	s_and_not1_saveexec_b32 vcc_lo, vcc_lo
	s_cbranch_execz .LBB25_5812
; %bb.5811:
	v_mov_b32_e32 v102, 0
	flat_store_b64 v[1:2], v[101:102]
.LBB25_5812:
	s_or_b32 exec_lo, exec_lo, vcc_lo
                                        ; implicit-def: $vgpr101
                                        ; implicit-def: $vgpr1_vgpr2
.LBB25_5813:
	s_and_not1_saveexec_b32 vcc_lo, s31
	s_cbranch_execz .LBB25_5815
; %bb.5814:
	v_cvt_f16_f32_e32 v3, v101
	s_delay_alu instid0(VALU_DEP_1)
	v_and_b32_e32 v3, 0xffff, v3
	flat_store_b32 v[1:2], v3
.LBB25_5815:
	s_or_b32 exec_lo, exec_lo, vcc_lo
                                        ; implicit-def: $vgpr101
                                        ; implicit-def: $vgpr1_vgpr2
                                        ; implicit-def: $vgpr3
.LBB25_5816:
	s_and_not1_saveexec_b32 s30, s30
	s_cbranch_execz .LBB25_5826
; %bb.5817:
	s_mov_b32 s31, exec_lo
	v_cmpx_lt_i16_e32 5, v3
	s_xor_b32 s31, exec_lo, s31
	s_cbranch_execz .LBB25_5823
; %bb.5818:
	v_cmp_lt_i16_e32 vcc_lo, 6, v3
	s_and_saveexec_b32 s34, vcc_lo
	s_delay_alu instid0(SALU_CYCLE_1)
	s_xor_b32 vcc_lo, exec_lo, s34
	s_cbranch_execz .LBB25_5820
; %bb.5819:
	v_cvt_f64_f32_e32 v[3:4], v101
                                        ; implicit-def: $vgpr101
	flat_store_b64 v[1:2], v[3:4]
                                        ; implicit-def: $vgpr1_vgpr2
.LBB25_5820:
	s_and_not1_saveexec_b32 vcc_lo, vcc_lo
	s_cbranch_execz .LBB25_5822
; %bb.5821:
	flat_store_b32 v[1:2], v101
.LBB25_5822:
	s_or_b32 exec_lo, exec_lo, vcc_lo
                                        ; implicit-def: $vgpr101
                                        ; implicit-def: $vgpr1_vgpr2
.LBB25_5823:
	s_and_not1_saveexec_b32 vcc_lo, s31
	s_cbranch_execz .LBB25_5825
; %bb.5824:
	v_cvt_f16_f32_e32 v3, v101
	flat_store_b16 v[1:2], v3
.LBB25_5825:
	s_or_b32 exec_lo, exec_lo, vcc_lo
.LBB25_5826:
	s_delay_alu instid0(SALU_CYCLE_1)
	s_or_b32 exec_lo, exec_lo, s30
                                        ; implicit-def: $vgpr3
                                        ; implicit-def: $vgpr101
                                        ; implicit-def: $vgpr1_vgpr2
.LBB25_5827:
	s_and_not1_saveexec_b32 vcc_hi, vcc_hi
	s_cbranch_execz .LBB25_5845
; %bb.5828:
	s_mov_b32 s30, exec_lo
	v_cmpx_lt_i16_e32 1, v3
	s_xor_b32 s30, exec_lo, s30
	s_cbranch_execz .LBB25_5838
; %bb.5829:
	s_mov_b32 s31, exec_lo
	v_cmpx_lt_i16_e32 2, v3
	s_xor_b32 s31, exec_lo, s31
	;; [unrolled: 5-line block ×3, first 2 shown]
	s_cbranch_execz .LBB25_5832
; %bb.5831:
	v_trunc_f32_e32 v3, v101
                                        ; implicit-def: $vgpr101
	s_delay_alu instid0(VALU_DEP_1) | instskip(SKIP_1) | instid1(VALU_DEP_2)
	v_mul_f32_e64 v4, 0x2f800000, |v3|
	v_ashrrev_i32_e32 v6, 31, v3
	v_floor_f32_e32 v4, v4
	s_delay_alu instid0(VALU_DEP_1) | instskip(SKIP_1) | instid1(VALU_DEP_2)
	v_fma_f32 v5, 0xcf800000, v4, |v3|
	v_cvt_u32_f32_e32 v4, v4
	v_cvt_u32_f32_e32 v3, v5
	s_delay_alu instid0(VALU_DEP_2) | instskip(NEXT) | instid1(VALU_DEP_2)
	v_xor_b32_e32 v4, v4, v6
	v_xor_b32_e32 v3, v3, v6
	s_delay_alu instid0(VALU_DEP_1) | instskip(NEXT) | instid1(VALU_DEP_3)
	v_sub_co_u32 v3, vcc_lo, v3, v6
	v_sub_co_ci_u32_e32 v4, vcc_lo, v4, v6, vcc_lo
	flat_store_b64 v[1:2], v[3:4]
                                        ; implicit-def: $vgpr1_vgpr2
.LBB25_5832:
	s_and_not1_saveexec_b32 vcc_lo, s34
	s_cbranch_execz .LBB25_5834
; %bb.5833:
	v_cvt_i32_f32_e32 v3, v101
	flat_store_b32 v[1:2], v3
.LBB25_5834:
	s_or_b32 exec_lo, exec_lo, vcc_lo
                                        ; implicit-def: $vgpr101
                                        ; implicit-def: $vgpr1_vgpr2
.LBB25_5835:
	s_and_not1_saveexec_b32 vcc_lo, s31
	s_cbranch_execz .LBB25_5837
; %bb.5836:
	v_cvt_i32_f32_e32 v3, v101
	flat_store_b16 v[1:2], v3
.LBB25_5837:
	s_or_b32 exec_lo, exec_lo, vcc_lo
                                        ; implicit-def: $vgpr101
                                        ; implicit-def: $vgpr1_vgpr2
                                        ; implicit-def: $vgpr3
.LBB25_5838:
	s_and_not1_saveexec_b32 s30, s30
	s_cbranch_execz .LBB25_5844
; %bb.5839:
	v_cmp_lt_i16_e32 vcc_lo, 0, v3
	s_and_saveexec_b32 s31, vcc_lo
	s_delay_alu instid0(SALU_CYCLE_1)
	s_xor_b32 vcc_lo, exec_lo, s31
	s_cbranch_execz .LBB25_5841
; %bb.5840:
	v_cvt_i32_f32_e32 v3, v101
                                        ; implicit-def: $vgpr101
	flat_store_b8 v[1:2], v3
                                        ; implicit-def: $vgpr1_vgpr2
.LBB25_5841:
	s_and_not1_saveexec_b32 vcc_lo, vcc_lo
	s_cbranch_execz .LBB25_5843
; %bb.5842:
	v_trunc_f32_e32 v3, v101
	s_delay_alu instid0(VALU_DEP_1) | instskip(NEXT) | instid1(VALU_DEP_1)
	v_mul_f32_e64 v4, 0x2f800000, |v3|
	v_floor_f32_e32 v4, v4
	s_delay_alu instid0(VALU_DEP_1) | instskip(SKIP_1) | instid1(VALU_DEP_2)
	v_fma_f32 v4, 0xcf800000, v4, |v3|
	v_ashrrev_i32_e32 v3, 31, v3
	v_cvt_u32_f32_e32 v4, v4
	s_delay_alu instid0(VALU_DEP_1) | instskip(NEXT) | instid1(VALU_DEP_1)
	v_xor_b32_e32 v4, v4, v3
	v_sub_nc_u32_e32 v3, v4, v3
	flat_store_b8 v[1:2], v3
.LBB25_5843:
	s_or_b32 exec_lo, exec_lo, vcc_lo
.LBB25_5844:
	s_delay_alu instid0(SALU_CYCLE_1)
	s_or_b32 exec_lo, exec_lo, s30
.LBB25_5845:
	s_delay_alu instid0(SALU_CYCLE_1) | instskip(NEXT) | instid1(SALU_CYCLE_1)
	s_or_b32 exec_lo, exec_lo, vcc_hi
	s_or_b32 s0, s0, exec_lo
	s_or_b32 exec_lo, exec_lo, s27
	s_mov_b32 vcc_lo, 0
	s_and_saveexec_b32 s27, s0
	s_cbranch_execnz .LBB25_3931
	s_branch .LBB25_3932
.LBB25_5846:
	v_bfe_u32 v3, v116, 21, 1
	s_mov_b32 s23, exec_lo
	s_delay_alu instid0(VALU_DEP_1) | instskip(NEXT) | instid1(VALU_DEP_1)
	v_add3_u32 v3, v116, v3, 0x88fffff
	v_lshrrev_b32_e32 v3, 21, v3
	s_or_saveexec_b32 s24, s24
                                        ; implicit-def: $sgpr25
	s_delay_alu instid0(SALU_CYCLE_1)
	s_xor_b32 exec_lo, exec_lo, s24
	s_cbranch_execz .LBB25_5011
.LBB25_5847:
	v_add_f32_e64 v3, 0x42800000, |v116|
	s_and_not1_b32 s23, s23, exec_lo
	s_mov_b32 s25, 0
	s_delay_alu instid0(VALU_DEP_1) | instskip(NEXT) | instid1(VALU_DEP_1)
	v_and_b32_e32 v3, 0xff, v3
	v_cmp_ne_u32_e32 vcc_lo, 0, v3
	s_and_b32 s26, vcc_lo, exec_lo
	s_delay_alu instid0(SALU_CYCLE_1)
	s_or_b32 s23, s23, s26
	s_or_b32 exec_lo, exec_lo, s24
	v_mov_b32_e32 v4, s25
	s_and_saveexec_b32 s24, s23
	s_cbranch_execnz .LBB25_5012
	s_branch .LBB25_5013
.LBB25_5848:
	v_bfe_u32 v3, v115, 20, 1
	s_mov_b32 s24, exec_lo
	s_delay_alu instid0(VALU_DEP_1) | instskip(NEXT) | instid1(VALU_DEP_1)
	v_add3_u32 v3, v115, v3, 0x487ffff
	v_lshrrev_b32_e32 v3, 20, v3
	s_or_saveexec_b32 s25, s25
                                        ; implicit-def: $sgpr26
	s_delay_alu instid0(SALU_CYCLE_1)
	s_xor_b32 exec_lo, exec_lo, s25
	s_cbranch_execz .LBB25_5124
.LBB25_5849:
	v_add_f32_e64 v3, 0x46000000, |v115|
	s_and_not1_b32 s24, s24, exec_lo
	s_mov_b32 s26, 0
	s_delay_alu instid0(VALU_DEP_1) | instskip(NEXT) | instid1(VALU_DEP_1)
	v_and_b32_e32 v3, 0xff, v3
	v_cmp_ne_u32_e32 vcc_lo, 0, v3
	s_and_b32 s27, vcc_lo, exec_lo
	s_delay_alu instid0(SALU_CYCLE_1)
	s_or_b32 s24, s24, s27
	s_or_b32 exec_lo, exec_lo, s25
	v_mov_b32_e32 v4, s26
	s_and_saveexec_b32 s25, s24
	s_cbranch_execnz .LBB25_5125
	s_branch .LBB25_5126
.LBB25_5850:
	s_mov_b32 s30, s27
	s_mov_b32 s31, exec_lo
	v_cmpx_lt_i16_e32 25, v3
	s_xor_b32 s31, exec_lo, s31
	s_cbranch_execz .LBB25_5886
; %bb.5851:
	s_mov_b32 s34, s27
	s_mov_b32 s30, exec_lo
	v_cmpx_lt_i16_e32 28, v3
	s_xor_b32 s30, exec_lo, s30
	s_cbranch_execz .LBB25_5869
; %bb.5852:
	;; [unrolled: 6-line block ×3, first 2 shown]
	s_mov_b32 s35, 0
	s_mov_b32 s36, s27
	s_mov_b32 s0, exec_lo
	v_cmpx_lt_i16_e32 45, v3
	s_xor_b32 s0, exec_lo, s0
	s_cbranch_execz .LBB25_5857
; %bb.5854:
	s_mov_b32 s37, -1
	s_mov_b32 s36, exec_lo
	v_cmpx_eq_u16_e32 46, v3
	s_cbranch_execz .LBB25_5856
; %bb.5855:
	v_bfe_u32 v3, v100, 16, 1
	v_cmp_o_f32_e32 vcc_lo, v100, v100
	s_mov_b32 s35, exec_lo
	s_xor_b32 s37, exec_lo, -1
	s_delay_alu instid0(VALU_DEP_2) | instskip(NEXT) | instid1(VALU_DEP_1)
	v_add3_u32 v3, v100, v3, 0x7fff
	v_lshrrev_b32_e32 v3, 16, v3
	s_delay_alu instid0(VALU_DEP_1)
	v_cndmask_b32_e32 v3, 0x7fc0, v3, vcc_lo
	flat_store_b32 v[1:2], v3
.LBB25_5856:
	s_or_b32 exec_lo, exec_lo, s36
	s_delay_alu instid0(SALU_CYCLE_1)
	s_and_not1_b32 vcc_lo, s27, exec_lo
	s_and_b32 s36, s37, exec_lo
	s_and_b32 s35, s35, exec_lo
	s_or_b32 s36, vcc_lo, s36
                                        ; implicit-def: $vgpr3
                                        ; implicit-def: $vgpr1_vgpr2
                                        ; implicit-def: $vgpr100
.LBB25_5857:
	s_and_not1_saveexec_b32 s37, s0
	s_cbranch_execz .LBB25_5863
; %bb.5858:
	s_mov_b32 s42, -1
	s_mov_b32 s0, s35
	s_mov_b32 s41, exec_lo
	v_cmpx_eq_u16_e32 44, v3
	s_cbranch_execz .LBB25_5862
; %bb.5859:
	v_bfe_u32 v4, v100, 23, 8
	v_mov_b32_e32 v3, 0xff
	s_mov_b32 s42, exec_lo
	s_delay_alu instid0(VALU_DEP_2)
	v_cmpx_ne_u32_e32 0xff, v4
; %bb.5860:
	v_and_b32_e32 v3, 0x400000, v100
	v_and_or_b32 v4, 0x3fffff, v100, v4
	s_delay_alu instid0(VALU_DEP_2) | instskip(NEXT) | instid1(VALU_DEP_2)
	v_cmp_ne_u32_e32 vcc_lo, 0, v3
	v_cmp_ne_u32_e64 s0, 0, v4
	v_lshrrev_b32_e32 v3, 23, v100
	s_delay_alu instid0(VALU_DEP_2) | instskip(NEXT) | instid1(SALU_CYCLE_1)
	s_and_b32 s0, vcc_lo, s0
	v_cndmask_b32_e64 v4, 0, 1, s0
	s_delay_alu instid0(VALU_DEP_1)
	v_add_nc_u32_e32 v3, v3, v4
; %bb.5861:
	s_or_b32 exec_lo, exec_lo, s42
	s_delay_alu instid0(SALU_CYCLE_1)
	s_xor_b32 s42, exec_lo, -1
	s_or_b32 s0, s35, exec_lo
	flat_store_b8 v[1:2], v3
.LBB25_5862:
	s_or_b32 exec_lo, exec_lo, s41
	s_delay_alu instid0(SALU_CYCLE_1)
	s_and_not1_b32 vcc_lo, s36, exec_lo
	s_and_b32 s36, s42, exec_lo
	s_and_not1_b32 s35, s35, exec_lo
	s_and_b32 s0, s0, exec_lo
	s_or_b32 s36, vcc_lo, s36
	s_or_b32 s35, s35, s0
.LBB25_5863:
	s_or_b32 exec_lo, exec_lo, s37
	s_delay_alu instid0(SALU_CYCLE_1) | instskip(SKIP_1) | instid1(SALU_CYCLE_1)
	s_and_not1_b32 s0, s27, exec_lo
	s_and_b32 vcc_lo, s36, exec_lo
                                        ; implicit-def: $vgpr3
                                        ; implicit-def: $vgpr100
                                        ; implicit-def: $vgpr1_vgpr2
	s_or_b32 s36, s0, vcc_lo
	s_and_b32 s0, s35, exec_lo
.LBB25_5864:
	s_and_not1_saveexec_b32 s34, s34
	s_cbranch_execz .LBB25_5868
; %bb.5865:
	s_mov_b32 s41, -1
	s_mov_b32 s37, s0
	s_mov_b32 s35, exec_lo
	v_cmpx_eq_u16_e32 29, v3
	s_cbranch_execz .LBB25_5867
; %bb.5866:
	v_trunc_f32_e32 v3, v100
	s_xor_b32 s41, exec_lo, -1
	s_or_b32 s37, s0, exec_lo
	s_delay_alu instid0(VALU_DEP_1) | instskip(NEXT) | instid1(VALU_DEP_1)
	v_mul_f32_e32 v4, 0x2f800000, v3
	v_floor_f32_e32 v4, v4
	s_delay_alu instid0(VALU_DEP_1) | instskip(SKIP_1) | instid1(VALU_DEP_2)
	v_fmamk_f32 v3, v4, 0xcf800000, v3
	v_cvt_u32_f32_e32 v4, v4
	v_cvt_u32_f32_e32 v3, v3
	flat_store_b64 v[1:2], v[3:4]
.LBB25_5867:
	s_or_b32 exec_lo, exec_lo, s35
	s_delay_alu instid0(SALU_CYCLE_1)
	s_and_not1_b32 vcc_lo, s36, exec_lo
	s_and_b32 s35, s41, exec_lo
	s_and_not1_b32 s0, s0, exec_lo
	s_and_b32 s37, s37, exec_lo
	s_or_b32 s36, vcc_lo, s35
	s_or_b32 s0, s0, s37
.LBB25_5868:
	s_or_b32 exec_lo, exec_lo, s34
	s_delay_alu instid0(SALU_CYCLE_1)
	s_and_not1_b32 vcc_lo, s27, exec_lo
	s_and_b32 s34, s36, exec_lo
	s_and_b32 s0, s0, exec_lo
	s_or_b32 s34, vcc_lo, s34
                                        ; implicit-def: $vgpr1_vgpr2
                                        ; implicit-def: $vgpr3
                                        ; implicit-def: $vgpr100
.LBB25_5869:
	s_and_not1_saveexec_b32 s30, s30
	s_cbranch_execz .LBB25_5885
; %bb.5870:
	s_mov_b32 s35, exec_lo
	v_cmpx_lt_i16_e32 26, v3
	s_xor_b32 s35, exec_lo, s35
	s_cbranch_execz .LBB25_5876
; %bb.5871:
	v_cmp_lt_i16_e32 vcc_lo, 27, v3
	s_and_saveexec_b32 s36, vcc_lo
	s_delay_alu instid0(SALU_CYCLE_1)
	s_xor_b32 vcc_lo, exec_lo, s36
	s_cbranch_execz .LBB25_5873
; %bb.5872:
	v_cvt_u32_f32_e32 v3, v100
                                        ; implicit-def: $vgpr100
	flat_store_b32 v[1:2], v3
                                        ; implicit-def: $vgpr1_vgpr2
.LBB25_5873:
	s_and_not1_saveexec_b32 vcc_lo, vcc_lo
	s_cbranch_execz .LBB25_5875
; %bb.5874:
	v_cvt_u32_f32_e32 v3, v100
	flat_store_b16 v[1:2], v3
.LBB25_5875:
	s_or_b32 exec_lo, exec_lo, vcc_lo
                                        ; implicit-def: $vgpr1_vgpr2
                                        ; implicit-def: $vgpr100
.LBB25_5876:
	s_and_not1_saveexec_b32 s35, s35
	s_cbranch_execz .LBB25_5884
; %bb.5877:
	v_and_b32_e32 v3, 0x7fffffff, v100
	v_mov_b32_e32 v4, 0x80
	s_mov_b32 s36, exec_lo
	s_delay_alu instid0(VALU_DEP_2)
	v_cmpx_gt_u32_e32 0x43800000, v3
	s_cbranch_execz .LBB25_5883
; %bb.5878:
	v_cmp_lt_u32_e32 vcc_lo, 0x3bffffff, v3
	s_mov_b32 s37, 0
                                        ; implicit-def: $vgpr3
	s_and_saveexec_b32 s41, vcc_lo
	s_delay_alu instid0(SALU_CYCLE_1)
	s_xor_b32 vcc_lo, exec_lo, s41
	s_cbranch_execnz .LBB25_6604
; %bb.5879:
	s_or_saveexec_b32 s41, vcc_lo
                                        ; implicit-def: $vcc_lo
	s_delay_alu instid0(SALU_CYCLE_1)
	s_xor_b32 exec_lo, exec_lo, s41
	s_cbranch_execnz .LBB25_6605
.LBB25_5880:
	s_or_b32 exec_lo, exec_lo, s41
	v_mov_b32_e32 v4, vcc_lo
	s_and_saveexec_b32 vcc_lo, s37
.LBB25_5881:
	v_lshrrev_b32_e32 v4, 24, v100
	s_delay_alu instid0(VALU_DEP_1)
	v_and_or_b32 v4, 0x80, v4, v3
.LBB25_5882:
	s_or_b32 exec_lo, exec_lo, vcc_lo
.LBB25_5883:
	s_delay_alu instid0(SALU_CYCLE_1)
	s_or_b32 exec_lo, exec_lo, s36
	flat_store_b8 v[1:2], v4
.LBB25_5884:
	s_or_b32 exec_lo, exec_lo, s35
	s_delay_alu instid0(SALU_CYCLE_1)
	s_or_b32 s0, s0, exec_lo
.LBB25_5885:
	s_or_b32 exec_lo, exec_lo, s30
	s_delay_alu instid0(SALU_CYCLE_1)
	s_and_not1_b32 vcc_lo, s27, exec_lo
	s_and_b32 s30, s34, exec_lo
	s_and_b32 s0, s0, exec_lo
	s_or_b32 s30, vcc_lo, s30
                                        ; implicit-def: $vgpr3
                                        ; implicit-def: $vgpr100
                                        ; implicit-def: $vgpr1_vgpr2
.LBB25_5886:
	s_and_not1_saveexec_b32 s31, s31
	s_cbranch_execz .LBB25_5930
; %bb.5887:
	s_mov_b32 s35, s0
	s_mov_b32 s34, exec_lo
	v_cmpx_lt_i16_e32 22, v3
	s_xor_b32 s34, exec_lo, s34
	s_cbranch_execz .LBB25_5919
; %bb.5888:
	s_mov_b32 s35, exec_lo
	v_cmpx_lt_i16_e32 23, v3
	s_xor_b32 s35, exec_lo, s35
	s_cbranch_execz .LBB25_5908
; %bb.5889:
	;; [unrolled: 5-line block ×3, first 2 shown]
	v_and_b32_e32 v3, 0x7fffffff, v100
	v_mov_b32_e32 v4, 0x80
	s_mov_b32 s37, exec_lo
	s_delay_alu instid0(VALU_DEP_2)
	v_cmpx_gt_u32_e32 0x47800000, v3
	s_cbranch_execz .LBB25_5896
; %bb.5891:
	v_cmp_lt_u32_e32 vcc_lo, 0x37ffffff, v3
	s_mov_b32 s41, 0
                                        ; implicit-def: $vgpr3
	s_and_saveexec_b32 s42, vcc_lo
	s_delay_alu instid0(SALU_CYCLE_1)
	s_xor_b32 vcc_lo, exec_lo, s42
	s_cbranch_execnz .LBB25_6728
; %bb.5892:
	s_or_saveexec_b32 s42, vcc_lo
                                        ; implicit-def: $vcc_lo
	s_delay_alu instid0(SALU_CYCLE_1)
	s_xor_b32 exec_lo, exec_lo, s42
	s_cbranch_execnz .LBB25_6729
.LBB25_5893:
	s_or_b32 exec_lo, exec_lo, s42
	v_mov_b32_e32 v4, vcc_lo
	s_and_saveexec_b32 vcc_lo, s41
.LBB25_5894:
	v_lshrrev_b32_e32 v4, 24, v100
	s_delay_alu instid0(VALU_DEP_1)
	v_and_or_b32 v4, 0x80, v4, v3
.LBB25_5895:
	s_or_b32 exec_lo, exec_lo, vcc_lo
.LBB25_5896:
	s_delay_alu instid0(SALU_CYCLE_1)
	s_or_b32 exec_lo, exec_lo, s37
	flat_store_b8 v[1:2], v4
                                        ; implicit-def: $vgpr100
                                        ; implicit-def: $vgpr1_vgpr2
.LBB25_5897:
	s_and_not1_saveexec_b32 s36, s36
	s_cbranch_execz .LBB25_5907
; %bb.5898:
	v_and_b32_e32 v4, 0x7fffffff, v100
	s_mov_b32 s37, exec_lo
                                        ; implicit-def: $vgpr3
	s_delay_alu instid0(VALU_DEP_1)
	v_cmpx_gt_u32_e32 0x43f00000, v4
	s_xor_b32 s37, exec_lo, s37
	s_cbranch_execz .LBB25_5904
; %bb.5899:
	s_mov_b32 s41, exec_lo
                                        ; implicit-def: $vgpr3
	v_cmpx_lt_u32_e32 0x3c7fffff, v4
	s_xor_b32 s41, exec_lo, s41
; %bb.5900:
	v_bfe_u32 v3, v100, 20, 1
	s_delay_alu instid0(VALU_DEP_1) | instskip(NEXT) | instid1(VALU_DEP_1)
	v_add3_u32 v3, v100, v3, 0x407ffff
	v_and_b32_e32 v4, 0xff00000, v3
	v_lshrrev_b32_e32 v3, 20, v3
	s_delay_alu instid0(VALU_DEP_2) | instskip(NEXT) | instid1(VALU_DEP_2)
	v_cmp_ne_u32_e32 vcc_lo, 0x7f00000, v4
	v_cndmask_b32_e32 v3, 0x7e, v3, vcc_lo
; %bb.5901:
	s_and_not1_saveexec_b32 vcc_lo, s41
; %bb.5902:
	v_add_f32_e64 v3, 0x46800000, |v100|
; %bb.5903:
	s_or_b32 exec_lo, exec_lo, vcc_lo
                                        ; implicit-def: $vgpr4
.LBB25_5904:
	s_and_not1_saveexec_b32 s37, s37
; %bb.5905:
	v_mov_b32_e32 v3, 0x7f
	v_cmp_lt_u32_e32 vcc_lo, 0x7f800000, v4
	s_delay_alu instid0(VALU_DEP_2)
	v_cndmask_b32_e32 v3, 0x7e, v3, vcc_lo
; %bb.5906:
	s_or_b32 exec_lo, exec_lo, s37
	v_lshrrev_b32_e32 v4, 24, v100
	s_delay_alu instid0(VALU_DEP_1)
	v_and_or_b32 v3, 0x80, v4, v3
	flat_store_b8 v[1:2], v3
.LBB25_5907:
	s_or_b32 exec_lo, exec_lo, s36
                                        ; implicit-def: $vgpr100
                                        ; implicit-def: $vgpr1_vgpr2
.LBB25_5908:
	s_and_not1_saveexec_b32 s35, s35
	s_cbranch_execz .LBB25_5918
; %bb.5909:
	v_and_b32_e32 v4, 0x7fffffff, v100
	s_mov_b32 s36, exec_lo
                                        ; implicit-def: $vgpr3
	s_delay_alu instid0(VALU_DEP_1)
	v_cmpx_gt_u32_e32 0x47800000, v4
	s_xor_b32 s36, exec_lo, s36
	s_cbranch_execz .LBB25_5915
; %bb.5910:
	v_cmp_lt_u32_e32 vcc_lo, 0x387fffff, v4
                                        ; implicit-def: $vgpr3
	s_and_saveexec_b32 s37, vcc_lo
	s_delay_alu instid0(SALU_CYCLE_1)
	s_xor_b32 vcc_lo, exec_lo, s37
; %bb.5911:
	v_bfe_u32 v3, v100, 21, 1
	s_delay_alu instid0(VALU_DEP_1) | instskip(NEXT) | instid1(VALU_DEP_1)
	v_add3_u32 v3, v100, v3, 0x80fffff
	v_lshrrev_b32_e32 v3, 21, v3
; %bb.5912:
	s_and_not1_saveexec_b32 vcc_lo, vcc_lo
; %bb.5913:
	v_add_f32_e64 v3, 0x43000000, |v100|
; %bb.5914:
	s_or_b32 exec_lo, exec_lo, vcc_lo
                                        ; implicit-def: $vgpr4
.LBB25_5915:
	s_and_not1_saveexec_b32 s36, s36
; %bb.5916:
	v_mov_b32_e32 v3, 0x7f
	v_cmp_lt_u32_e32 vcc_lo, 0x7f800000, v4
	s_delay_alu instid0(VALU_DEP_2)
	v_cndmask_b32_e32 v3, 0x7c, v3, vcc_lo
; %bb.5917:
	s_or_b32 exec_lo, exec_lo, s36
	v_lshrrev_b32_e32 v4, 24, v100
	s_delay_alu instid0(VALU_DEP_1)
	v_and_or_b32 v3, 0x80, v4, v3
	flat_store_b8 v[1:2], v3
.LBB25_5918:
	s_or_b32 exec_lo, exec_lo, s35
	s_delay_alu instid0(SALU_CYCLE_1)
	s_or_b32 s35, s0, exec_lo
                                        ; implicit-def: $vgpr3
                                        ; implicit-def: $vgpr100
                                        ; implicit-def: $vgpr1_vgpr2
.LBB25_5919:
	s_or_saveexec_b32 s34, s34
	s_mov_b32 vcc_lo, s30
	s_xor_b32 exec_lo, exec_lo, s34
	s_cbranch_execz .LBB25_5929
; %bb.5920:
	s_mov_b32 s36, s35
	s_mov_b32 s37, s30
	s_mov_b32 s41, exec_lo
	v_cmpx_lt_i16_e32 14, v3
	s_xor_b32 s41, exec_lo, s41
	s_cbranch_execz .LBB25_5924
; %bb.5921:
	s_mov_b32 s42, -1
	s_mov_b32 s36, s35
	s_mov_b32 s37, exec_lo
	v_cmpx_eq_u16_e32 15, v3
	s_cbranch_execz .LBB25_5923
; %bb.5922:
	v_bfe_u32 v3, v100, 16, 1
	v_cmp_o_f32_e32 vcc_lo, v100, v100
	s_xor_b32 s42, exec_lo, -1
	s_or_b32 s36, s35, exec_lo
	s_delay_alu instid0(VALU_DEP_2) | instskip(NEXT) | instid1(VALU_DEP_1)
	v_add3_u32 v3, v100, v3, 0x7fff
	v_lshrrev_b32_e32 v3, 16, v3
	s_delay_alu instid0(VALU_DEP_1)
	v_cndmask_b32_e32 v3, 0x7fc0, v3, vcc_lo
	flat_store_b16 v[1:2], v3
.LBB25_5923:
	s_or_b32 exec_lo, exec_lo, s37
	s_delay_alu instid0(SALU_CYCLE_1)
	s_and_not1_b32 vcc_lo, s30, exec_lo
	s_and_b32 s37, s42, exec_lo
	s_and_not1_b32 s42, s35, exec_lo
	s_and_b32 s36, s36, exec_lo
	s_or_b32 s37, vcc_lo, s37
	s_or_b32 s36, s42, s36
                                        ; implicit-def: $vgpr3
                                        ; implicit-def: $vgpr100
                                        ; implicit-def: $vgpr1_vgpr2
.LBB25_5924:
	s_and_not1_saveexec_b32 s41, s41
	s_cbranch_execz .LBB25_5928
; %bb.5925:
	s_mov_b32 s43, -1
	s_mov_b32 s42, s36
	s_mov_b32 s44, exec_lo
	v_cmpx_eq_u16_e32 11, v3
	s_cbranch_execz .LBB25_5927
; %bb.5926:
	v_cmp_neq_f32_e32 vcc_lo, 0, v100
	s_xor_b32 s43, exec_lo, -1
	s_or_b32 s42, s36, exec_lo
	v_cndmask_b32_e64 v3, 0, 1, vcc_lo
	flat_store_b8 v[1:2], v3
.LBB25_5927:
	s_or_b32 exec_lo, exec_lo, s44
	s_delay_alu instid0(SALU_CYCLE_1)
	s_and_not1_b32 vcc_lo, s37, exec_lo
	s_and_b32 s37, s43, exec_lo
	s_and_not1_b32 s36, s36, exec_lo
	s_and_b32 s42, s42, exec_lo
	s_or_b32 s37, vcc_lo, s37
	s_or_b32 s36, s36, s42
.LBB25_5928:
	s_or_b32 exec_lo, exec_lo, s41
	s_delay_alu instid0(SALU_CYCLE_1)
	s_and_not1_b32 vcc_lo, s30, exec_lo
	s_and_b32 s37, s37, exec_lo
	s_and_not1_b32 s35, s35, exec_lo
	s_and_b32 s36, s36, exec_lo
	s_or_b32 vcc_lo, vcc_lo, s37
	s_or_b32 s35, s35, s36
.LBB25_5929:
	s_or_b32 exec_lo, exec_lo, s34
	s_delay_alu instid0(SALU_CYCLE_1)
	s_and_not1_b32 s30, s30, exec_lo
	s_and_b32 vcc_lo, vcc_lo, exec_lo
	s_and_not1_b32 s0, s0, exec_lo
	s_and_b32 s34, s35, exec_lo
	s_or_b32 s30, s30, vcc_lo
	s_or_b32 s0, s0, s34
.LBB25_5930:
	s_or_b32 exec_lo, exec_lo, s31
	s_delay_alu instid0(SALU_CYCLE_1)
	s_and_not1_b32 vcc_lo, s27, exec_lo
	s_and_b32 s30, s30, exec_lo
	s_and_b32 s0, s0, exec_lo
	s_or_b32 s30, vcc_lo, s30
                                        ; implicit-def: $vgpr3
                                        ; implicit-def: $vgpr100
                                        ; implicit-def: $vgpr1_vgpr2
	s_and_not1_saveexec_b32 s29, s29
	s_cbranch_execz .LBB25_3937
.LBB25_5931:
	s_mov_b32 s31, exec_lo
	v_cmpx_lt_i16_e32 4, v3
	s_xor_b32 s31, exec_lo, s31
	s_cbranch_execz .LBB25_5953
; %bb.5932:
	s_mov_b32 s34, exec_lo
	v_cmpx_lt_i16_e32 7, v3
	s_xor_b32 s34, exec_lo, s34
	s_cbranch_execz .LBB25_5942
; %bb.5933:
	;; [unrolled: 5-line block ×3, first 2 shown]
	v_cmp_lt_i16_e32 vcc_lo, 9, v3
	s_and_saveexec_b32 s36, vcc_lo
	s_delay_alu instid0(SALU_CYCLE_1)
	s_xor_b32 vcc_lo, exec_lo, s36
	s_cbranch_execz .LBB25_5936
; %bb.5935:
	v_cvt_f64_f32_e32 v[3:4], v100
	v_mov_b32_e32 v5, 0
                                        ; implicit-def: $vgpr100
	s_delay_alu instid0(VALU_DEP_1)
	v_mov_b32_e32 v6, v5
	flat_store_b128 v[1:2], v[3:6]
                                        ; implicit-def: $vgpr1_vgpr2
.LBB25_5936:
	s_and_not1_saveexec_b32 vcc_lo, vcc_lo
	s_cbranch_execz .LBB25_5938
; %bb.5937:
	v_mov_b32_e32 v101, 0
	flat_store_b64 v[1:2], v[100:101]
.LBB25_5938:
	s_or_b32 exec_lo, exec_lo, vcc_lo
                                        ; implicit-def: $vgpr100
                                        ; implicit-def: $vgpr1_vgpr2
.LBB25_5939:
	s_and_not1_saveexec_b32 vcc_lo, s35
	s_cbranch_execz .LBB25_5941
; %bb.5940:
	v_cvt_f16_f32_e32 v3, v100
	s_delay_alu instid0(VALU_DEP_1)
	v_and_b32_e32 v3, 0xffff, v3
	flat_store_b32 v[1:2], v3
.LBB25_5941:
	s_or_b32 exec_lo, exec_lo, vcc_lo
                                        ; implicit-def: $vgpr100
                                        ; implicit-def: $vgpr1_vgpr2
                                        ; implicit-def: $vgpr3
.LBB25_5942:
	s_and_not1_saveexec_b32 s34, s34
	s_cbranch_execz .LBB25_5952
; %bb.5943:
	s_mov_b32 s35, exec_lo
	v_cmpx_lt_i16_e32 5, v3
	s_xor_b32 s35, exec_lo, s35
	s_cbranch_execz .LBB25_5949
; %bb.5944:
	v_cmp_lt_i16_e32 vcc_lo, 6, v3
	s_and_saveexec_b32 s36, vcc_lo
	s_delay_alu instid0(SALU_CYCLE_1)
	s_xor_b32 vcc_lo, exec_lo, s36
	s_cbranch_execz .LBB25_5946
; %bb.5945:
	v_cvt_f64_f32_e32 v[3:4], v100
                                        ; implicit-def: $vgpr100
	flat_store_b64 v[1:2], v[3:4]
                                        ; implicit-def: $vgpr1_vgpr2
.LBB25_5946:
	s_and_not1_saveexec_b32 vcc_lo, vcc_lo
	s_cbranch_execz .LBB25_5948
; %bb.5947:
	flat_store_b32 v[1:2], v100
.LBB25_5948:
	s_or_b32 exec_lo, exec_lo, vcc_lo
                                        ; implicit-def: $vgpr100
                                        ; implicit-def: $vgpr1_vgpr2
.LBB25_5949:
	s_and_not1_saveexec_b32 vcc_lo, s35
	s_cbranch_execz .LBB25_5951
; %bb.5950:
	v_cvt_f16_f32_e32 v3, v100
	flat_store_b16 v[1:2], v3
.LBB25_5951:
	s_or_b32 exec_lo, exec_lo, vcc_lo
.LBB25_5952:
	s_delay_alu instid0(SALU_CYCLE_1)
	s_or_b32 exec_lo, exec_lo, s34
                                        ; implicit-def: $vgpr3
                                        ; implicit-def: $vgpr100
                                        ; implicit-def: $vgpr1_vgpr2
.LBB25_5953:
	s_and_not1_saveexec_b32 s31, s31
	s_cbranch_execz .LBB25_5971
; %bb.5954:
	s_mov_b32 s34, exec_lo
	v_cmpx_lt_i16_e32 1, v3
	s_xor_b32 s34, exec_lo, s34
	s_cbranch_execz .LBB25_5964
; %bb.5955:
	s_mov_b32 s35, exec_lo
	v_cmpx_lt_i16_e32 2, v3
	s_xor_b32 s35, exec_lo, s35
	s_cbranch_execz .LBB25_5961
; %bb.5956:
	s_mov_b32 s36, exec_lo
	v_cmpx_lt_i16_e32 3, v3
	s_xor_b32 s36, exec_lo, s36
	s_cbranch_execz .LBB25_5958
; %bb.5957:
	v_trunc_f32_e32 v3, v100
                                        ; implicit-def: $vgpr100
	s_delay_alu instid0(VALU_DEP_1) | instskip(SKIP_1) | instid1(VALU_DEP_2)
	v_mul_f32_e64 v4, 0x2f800000, |v3|
	v_ashrrev_i32_e32 v6, 31, v3
	v_floor_f32_e32 v4, v4
	s_delay_alu instid0(VALU_DEP_1) | instskip(SKIP_1) | instid1(VALU_DEP_2)
	v_fma_f32 v5, 0xcf800000, v4, |v3|
	v_cvt_u32_f32_e32 v4, v4
	v_cvt_u32_f32_e32 v3, v5
	s_delay_alu instid0(VALU_DEP_2) | instskip(NEXT) | instid1(VALU_DEP_2)
	v_xor_b32_e32 v4, v4, v6
	v_xor_b32_e32 v3, v3, v6
	s_delay_alu instid0(VALU_DEP_1) | instskip(NEXT) | instid1(VALU_DEP_3)
	v_sub_co_u32 v3, vcc_lo, v3, v6
	v_sub_co_ci_u32_e32 v4, vcc_lo, v4, v6, vcc_lo
	flat_store_b64 v[1:2], v[3:4]
                                        ; implicit-def: $vgpr1_vgpr2
.LBB25_5958:
	s_and_not1_saveexec_b32 vcc_lo, s36
	s_cbranch_execz .LBB25_5960
; %bb.5959:
	v_cvt_i32_f32_e32 v3, v100
	flat_store_b32 v[1:2], v3
.LBB25_5960:
	s_or_b32 exec_lo, exec_lo, vcc_lo
                                        ; implicit-def: $vgpr100
                                        ; implicit-def: $vgpr1_vgpr2
.LBB25_5961:
	s_and_not1_saveexec_b32 vcc_lo, s35
	s_cbranch_execz .LBB25_5963
; %bb.5962:
	v_cvt_i32_f32_e32 v3, v100
	flat_store_b16 v[1:2], v3
.LBB25_5963:
	s_or_b32 exec_lo, exec_lo, vcc_lo
                                        ; implicit-def: $vgpr100
                                        ; implicit-def: $vgpr1_vgpr2
                                        ; implicit-def: $vgpr3
.LBB25_5964:
	s_and_not1_saveexec_b32 s34, s34
	s_cbranch_execz .LBB25_5970
; %bb.5965:
	v_cmp_lt_i16_e32 vcc_lo, 0, v3
	s_and_saveexec_b32 s35, vcc_lo
	s_delay_alu instid0(SALU_CYCLE_1)
	s_xor_b32 vcc_lo, exec_lo, s35
	s_cbranch_execz .LBB25_5967
; %bb.5966:
	v_cvt_i32_f32_e32 v3, v100
                                        ; implicit-def: $vgpr100
	flat_store_b8 v[1:2], v3
                                        ; implicit-def: $vgpr1_vgpr2
.LBB25_5967:
	s_and_not1_saveexec_b32 vcc_lo, vcc_lo
	s_cbranch_execz .LBB25_5969
; %bb.5968:
	v_trunc_f32_e32 v3, v100
	s_delay_alu instid0(VALU_DEP_1) | instskip(NEXT) | instid1(VALU_DEP_1)
	v_mul_f32_e64 v4, 0x2f800000, |v3|
	v_floor_f32_e32 v4, v4
	s_delay_alu instid0(VALU_DEP_1) | instskip(SKIP_1) | instid1(VALU_DEP_2)
	v_fma_f32 v4, 0xcf800000, v4, |v3|
	v_ashrrev_i32_e32 v3, 31, v3
	v_cvt_u32_f32_e32 v4, v4
	s_delay_alu instid0(VALU_DEP_1) | instskip(NEXT) | instid1(VALU_DEP_1)
	v_xor_b32_e32 v4, v4, v3
	v_sub_nc_u32_e32 v3, v4, v3
	flat_store_b8 v[1:2], v3
.LBB25_5969:
	s_or_b32 exec_lo, exec_lo, vcc_lo
.LBB25_5970:
	s_delay_alu instid0(SALU_CYCLE_1)
	s_or_b32 exec_lo, exec_lo, s34
.LBB25_5971:
	s_delay_alu instid0(SALU_CYCLE_1) | instskip(NEXT) | instid1(SALU_CYCLE_1)
	s_or_b32 exec_lo, exec_lo, s31
	s_or_b32 s0, s0, exec_lo
	s_or_b32 exec_lo, exec_lo, s29
	s_mov_b32 vcc_lo, 0
	s_and_saveexec_b32 s29, s0
	s_cbranch_execnz .LBB25_3938
	s_branch .LBB25_3939
.LBB25_5972:
	v_bfe_u32 v3, v115, 21, 1
	s_mov_b32 s25, exec_lo
	s_delay_alu instid0(VALU_DEP_1) | instskip(NEXT) | instid1(VALU_DEP_1)
	v_add3_u32 v3, v115, v3, 0x88fffff
	v_lshrrev_b32_e32 v3, 21, v3
	s_or_saveexec_b32 s26, s26
                                        ; implicit-def: $sgpr27
	s_delay_alu instid0(SALU_CYCLE_1)
	s_xor_b32 exec_lo, exec_lo, s26
	s_cbranch_execz .LBB25_5137
.LBB25_5973:
	v_add_f32_e64 v3, 0x42800000, |v115|
	s_and_not1_b32 s25, s25, exec_lo
	s_mov_b32 s27, 0
	s_delay_alu instid0(VALU_DEP_1) | instskip(NEXT) | instid1(VALU_DEP_1)
	v_and_b32_e32 v3, 0xff, v3
	v_cmp_ne_u32_e32 vcc_lo, 0, v3
	s_and_b32 s28, vcc_lo, exec_lo
	s_delay_alu instid0(SALU_CYCLE_1)
	s_or_b32 s25, s25, s28
	s_or_b32 exec_lo, exec_lo, s26
	v_mov_b32_e32 v4, s27
	s_and_saveexec_b32 s26, s25
	s_cbranch_execnz .LBB25_5138
	s_branch .LBB25_5139
.LBB25_5974:
	v_bfe_u32 v3, v114, 20, 1
	s_mov_b32 s26, exec_lo
	s_delay_alu instid0(VALU_DEP_1) | instskip(NEXT) | instid1(VALU_DEP_1)
	v_add3_u32 v3, v114, v3, 0x487ffff
	v_lshrrev_b32_e32 v3, 20, v3
	s_or_saveexec_b32 s27, s27
                                        ; implicit-def: $sgpr28
	s_delay_alu instid0(SALU_CYCLE_1)
	s_xor_b32 exec_lo, exec_lo, s27
	s_cbranch_execz .LBB25_5250
.LBB25_5975:
	v_add_f32_e64 v3, 0x46000000, |v114|
	s_and_not1_b32 s26, s26, exec_lo
	s_mov_b32 s28, 0
	s_delay_alu instid0(VALU_DEP_1) | instskip(NEXT) | instid1(VALU_DEP_1)
	v_and_b32_e32 v3, 0xff, v3
	v_cmp_ne_u32_e32 vcc_lo, 0, v3
	s_and_b32 s29, vcc_lo, exec_lo
	s_delay_alu instid0(SALU_CYCLE_1)
	s_or_b32 s26, s26, s29
	s_or_b32 exec_lo, exec_lo, s27
	v_mov_b32_e32 v4, s28
	s_and_saveexec_b32 s27, s26
	s_cbranch_execnz .LBB25_5251
	s_branch .LBB25_5252
.LBB25_5976:
	s_mov_b32 s34, s29
	s_mov_b32 s35, exec_lo
	v_cmpx_lt_i16_e32 25, v3
	s_xor_b32 s35, exec_lo, s35
	s_cbranch_execz .LBB25_6012
; %bb.5977:
	s_mov_b32 s36, s29
	s_mov_b32 s34, exec_lo
	v_cmpx_lt_i16_e32 28, v3
	s_xor_b32 s34, exec_lo, s34
	s_cbranch_execz .LBB25_5995
; %bb.5978:
	;; [unrolled: 6-line block ×3, first 2 shown]
	s_mov_b32 s37, 0
	s_mov_b32 s41, s29
	s_mov_b32 s0, exec_lo
	v_cmpx_lt_i16_e32 45, v3
	s_xor_b32 s0, exec_lo, s0
	s_cbranch_execz .LBB25_5983
; %bb.5980:
	s_mov_b32 s42, -1
	s_mov_b32 s41, exec_lo
	v_cmpx_eq_u16_e32 46, v3
	s_cbranch_execz .LBB25_5982
; %bb.5981:
	v_bfe_u32 v3, v99, 16, 1
	v_cmp_o_f32_e32 vcc_lo, v99, v99
	s_mov_b32 s37, exec_lo
	s_xor_b32 s42, exec_lo, -1
	s_delay_alu instid0(VALU_DEP_2) | instskip(NEXT) | instid1(VALU_DEP_1)
	v_add3_u32 v3, v99, v3, 0x7fff
	v_lshrrev_b32_e32 v3, 16, v3
	s_delay_alu instid0(VALU_DEP_1)
	v_cndmask_b32_e32 v3, 0x7fc0, v3, vcc_lo
	flat_store_b32 v[1:2], v3
.LBB25_5982:
	s_or_b32 exec_lo, exec_lo, s41
	s_delay_alu instid0(SALU_CYCLE_1)
	s_and_not1_b32 vcc_lo, s29, exec_lo
	s_and_b32 s41, s42, exec_lo
	s_and_b32 s37, s37, exec_lo
	s_or_b32 s41, vcc_lo, s41
                                        ; implicit-def: $vgpr3
                                        ; implicit-def: $vgpr1_vgpr2
                                        ; implicit-def: $vgpr99
.LBB25_5983:
	s_and_not1_saveexec_b32 s42, s0
	s_cbranch_execz .LBB25_5989
; %bb.5984:
	s_mov_b32 s44, -1
	s_mov_b32 s0, s37
	s_mov_b32 s43, exec_lo
	v_cmpx_eq_u16_e32 44, v3
	s_cbranch_execz .LBB25_5988
; %bb.5985:
	v_bfe_u32 v4, v99, 23, 8
	v_mov_b32_e32 v3, 0xff
	s_mov_b32 s44, exec_lo
	s_delay_alu instid0(VALU_DEP_2)
	v_cmpx_ne_u32_e32 0xff, v4
; %bb.5986:
	v_and_b32_e32 v3, 0x400000, v99
	v_and_or_b32 v4, 0x3fffff, v99, v4
	s_delay_alu instid0(VALU_DEP_2) | instskip(NEXT) | instid1(VALU_DEP_2)
	v_cmp_ne_u32_e32 vcc_lo, 0, v3
	v_cmp_ne_u32_e64 s0, 0, v4
	v_lshrrev_b32_e32 v3, 23, v99
	s_delay_alu instid0(VALU_DEP_2) | instskip(NEXT) | instid1(SALU_CYCLE_1)
	s_and_b32 s0, vcc_lo, s0
	v_cndmask_b32_e64 v4, 0, 1, s0
	s_delay_alu instid0(VALU_DEP_1)
	v_add_nc_u32_e32 v3, v3, v4
; %bb.5987:
	s_or_b32 exec_lo, exec_lo, s44
	s_delay_alu instid0(SALU_CYCLE_1)
	s_xor_b32 s44, exec_lo, -1
	s_or_b32 s0, s37, exec_lo
	flat_store_b8 v[1:2], v3
.LBB25_5988:
	s_or_b32 exec_lo, exec_lo, s43
	s_delay_alu instid0(SALU_CYCLE_1)
	s_and_not1_b32 vcc_lo, s41, exec_lo
	s_and_b32 s41, s44, exec_lo
	s_and_not1_b32 s37, s37, exec_lo
	s_and_b32 s0, s0, exec_lo
	s_or_b32 s41, vcc_lo, s41
	s_or_b32 s37, s37, s0
.LBB25_5989:
	s_or_b32 exec_lo, exec_lo, s42
	s_delay_alu instid0(SALU_CYCLE_1) | instskip(SKIP_1) | instid1(SALU_CYCLE_1)
	s_and_not1_b32 s0, s29, exec_lo
	s_and_b32 vcc_lo, s41, exec_lo
                                        ; implicit-def: $vgpr3
                                        ; implicit-def: $vgpr99
                                        ; implicit-def: $vgpr1_vgpr2
	s_or_b32 s41, s0, vcc_lo
	s_and_b32 s0, s37, exec_lo
.LBB25_5990:
	s_and_not1_saveexec_b32 s36, s36
	s_cbranch_execz .LBB25_5994
; %bb.5991:
	s_mov_b32 s43, -1
	s_mov_b32 s42, s0
	s_mov_b32 s37, exec_lo
	v_cmpx_eq_u16_e32 29, v3
	s_cbranch_execz .LBB25_5993
; %bb.5992:
	v_trunc_f32_e32 v3, v99
	s_xor_b32 s43, exec_lo, -1
	s_or_b32 s42, s0, exec_lo
	s_delay_alu instid0(VALU_DEP_1) | instskip(NEXT) | instid1(VALU_DEP_1)
	v_mul_f32_e32 v4, 0x2f800000, v3
	v_floor_f32_e32 v4, v4
	s_delay_alu instid0(VALU_DEP_1) | instskip(SKIP_1) | instid1(VALU_DEP_2)
	v_fmamk_f32 v3, v4, 0xcf800000, v3
	v_cvt_u32_f32_e32 v4, v4
	v_cvt_u32_f32_e32 v3, v3
	flat_store_b64 v[1:2], v[3:4]
.LBB25_5993:
	s_or_b32 exec_lo, exec_lo, s37
	s_delay_alu instid0(SALU_CYCLE_1)
	s_and_not1_b32 vcc_lo, s41, exec_lo
	s_and_b32 s37, s43, exec_lo
	s_and_not1_b32 s0, s0, exec_lo
	s_and_b32 s42, s42, exec_lo
	s_or_b32 s41, vcc_lo, s37
	s_or_b32 s0, s0, s42
.LBB25_5994:
	s_or_b32 exec_lo, exec_lo, s36
	s_delay_alu instid0(SALU_CYCLE_1)
	s_and_not1_b32 vcc_lo, s29, exec_lo
	s_and_b32 s36, s41, exec_lo
	s_and_b32 s0, s0, exec_lo
	s_or_b32 s36, vcc_lo, s36
                                        ; implicit-def: $vgpr1_vgpr2
                                        ; implicit-def: $vgpr3
                                        ; implicit-def: $vgpr99
.LBB25_5995:
	s_and_not1_saveexec_b32 s34, s34
	s_cbranch_execz .LBB25_6011
; %bb.5996:
	s_mov_b32 s37, exec_lo
	v_cmpx_lt_i16_e32 26, v3
	s_xor_b32 s37, exec_lo, s37
	s_cbranch_execz .LBB25_6002
; %bb.5997:
	v_cmp_lt_i16_e32 vcc_lo, 27, v3
	v_cvt_u32_f32_e32 v3, v99
	s_and_saveexec_b32 s41, vcc_lo
	s_delay_alu instid0(SALU_CYCLE_1)
	s_xor_b32 vcc_lo, exec_lo, s41
	s_cbranch_execz .LBB25_5999
; %bb.5998:
	flat_store_b32 v[1:2], v3
                                        ; implicit-def: $vgpr1_vgpr2
                                        ; implicit-def: $vgpr3
.LBB25_5999:
	s_and_not1_saveexec_b32 vcc_lo, vcc_lo
	s_cbranch_execz .LBB25_6001
; %bb.6000:
	flat_store_b16 v[1:2], v3
.LBB25_6001:
	s_or_b32 exec_lo, exec_lo, vcc_lo
                                        ; implicit-def: $vgpr1_vgpr2
                                        ; implicit-def: $vgpr99
.LBB25_6002:
	s_and_not1_saveexec_b32 s37, s37
	s_cbranch_execz .LBB25_6010
; %bb.6003:
	v_and_b32_e32 v3, 0x7fffffff, v99
	v_mov_b32_e32 v4, 0x80
	s_mov_b32 s41, exec_lo
	s_delay_alu instid0(VALU_DEP_2)
	v_cmpx_gt_u32_e32 0x43800000, v3
	s_cbranch_execz .LBB25_6009
; %bb.6004:
	v_cmp_lt_u32_e32 vcc_lo, 0x3bffffff, v3
	s_mov_b32 s42, 0
                                        ; implicit-def: $vgpr3
	s_and_saveexec_b32 s43, vcc_lo
	s_delay_alu instid0(SALU_CYCLE_1)
	s_xor_b32 vcc_lo, exec_lo, s43
	s_cbranch_execnz .LBB25_6730
; %bb.6005:
	s_or_saveexec_b32 s43, vcc_lo
                                        ; implicit-def: $vcc_lo
	s_delay_alu instid0(SALU_CYCLE_1)
	s_xor_b32 exec_lo, exec_lo, s43
	s_cbranch_execnz .LBB25_6731
.LBB25_6006:
	s_or_b32 exec_lo, exec_lo, s43
	v_mov_b32_e32 v4, vcc_lo
	s_and_saveexec_b32 vcc_lo, s42
.LBB25_6007:
	v_lshrrev_b32_e32 v4, 24, v99
	s_delay_alu instid0(VALU_DEP_1)
	v_and_or_b32 v4, 0x80, v4, v3
.LBB25_6008:
	s_or_b32 exec_lo, exec_lo, vcc_lo
.LBB25_6009:
	s_delay_alu instid0(SALU_CYCLE_1)
	s_or_b32 exec_lo, exec_lo, s41
	flat_store_b8 v[1:2], v4
.LBB25_6010:
	s_or_b32 exec_lo, exec_lo, s37
	s_delay_alu instid0(SALU_CYCLE_1)
	s_or_b32 s0, s0, exec_lo
.LBB25_6011:
	s_or_b32 exec_lo, exec_lo, s34
	s_delay_alu instid0(SALU_CYCLE_1)
	s_and_not1_b32 vcc_lo, s29, exec_lo
	s_and_b32 s34, s36, exec_lo
	s_and_b32 s0, s0, exec_lo
	s_or_b32 s34, vcc_lo, s34
                                        ; implicit-def: $vgpr3
                                        ; implicit-def: $vgpr99
                                        ; implicit-def: $vgpr1_vgpr2
.LBB25_6012:
	s_and_not1_saveexec_b32 s35, s35
	s_cbranch_execz .LBB25_6056
; %bb.6013:
	s_mov_b32 s37, s0
	s_mov_b32 s36, exec_lo
	v_cmpx_lt_i16_e32 22, v3
	s_xor_b32 s36, exec_lo, s36
	s_cbranch_execz .LBB25_6045
; %bb.6014:
	s_mov_b32 s37, exec_lo
	v_cmpx_lt_i16_e32 23, v3
	s_xor_b32 s37, exec_lo, s37
	s_cbranch_execz .LBB25_6034
; %bb.6015:
	;; [unrolled: 5-line block ×3, first 2 shown]
	v_and_b32_e32 v3, 0x7fffffff, v99
	v_mov_b32_e32 v4, 0x80
	s_mov_b32 s42, exec_lo
	s_delay_alu instid0(VALU_DEP_2)
	v_cmpx_gt_u32_e32 0x47800000, v3
	s_cbranch_execz .LBB25_6022
; %bb.6017:
	v_cmp_lt_u32_e32 vcc_lo, 0x37ffffff, v3
	s_mov_b32 s43, 0
                                        ; implicit-def: $vgpr3
	s_and_saveexec_b32 s44, vcc_lo
	s_delay_alu instid0(SALU_CYCLE_1)
	s_xor_b32 vcc_lo, exec_lo, s44
	s_cbranch_execnz .LBB25_6854
; %bb.6018:
	s_or_saveexec_b32 s44, vcc_lo
                                        ; implicit-def: $vcc_lo
	s_delay_alu instid0(SALU_CYCLE_1)
	s_xor_b32 exec_lo, exec_lo, s44
	s_cbranch_execnz .LBB25_6855
.LBB25_6019:
	s_or_b32 exec_lo, exec_lo, s44
	v_mov_b32_e32 v4, vcc_lo
	s_and_saveexec_b32 vcc_lo, s43
.LBB25_6020:
	v_lshrrev_b32_e32 v4, 24, v99
	s_delay_alu instid0(VALU_DEP_1)
	v_and_or_b32 v4, 0x80, v4, v3
.LBB25_6021:
	s_or_b32 exec_lo, exec_lo, vcc_lo
.LBB25_6022:
	s_delay_alu instid0(SALU_CYCLE_1)
	s_or_b32 exec_lo, exec_lo, s42
	flat_store_b8 v[1:2], v4
                                        ; implicit-def: $vgpr99
                                        ; implicit-def: $vgpr1_vgpr2
.LBB25_6023:
	s_and_not1_saveexec_b32 s41, s41
	s_cbranch_execz .LBB25_6033
; %bb.6024:
	v_and_b32_e32 v4, 0x7fffffff, v99
	s_mov_b32 s42, exec_lo
                                        ; implicit-def: $vgpr3
	s_delay_alu instid0(VALU_DEP_1)
	v_cmpx_gt_u32_e32 0x43f00000, v4
	s_xor_b32 s42, exec_lo, s42
	s_cbranch_execz .LBB25_6030
; %bb.6025:
	s_mov_b32 s43, exec_lo
                                        ; implicit-def: $vgpr3
	v_cmpx_lt_u32_e32 0x3c7fffff, v4
	s_xor_b32 s43, exec_lo, s43
; %bb.6026:
	v_bfe_u32 v3, v99, 20, 1
	s_delay_alu instid0(VALU_DEP_1) | instskip(NEXT) | instid1(VALU_DEP_1)
	v_add3_u32 v3, v99, v3, 0x407ffff
	v_and_b32_e32 v4, 0xff00000, v3
	v_lshrrev_b32_e32 v3, 20, v3
	s_delay_alu instid0(VALU_DEP_2) | instskip(NEXT) | instid1(VALU_DEP_2)
	v_cmp_ne_u32_e32 vcc_lo, 0x7f00000, v4
	v_cndmask_b32_e32 v3, 0x7e, v3, vcc_lo
; %bb.6027:
	s_and_not1_saveexec_b32 vcc_lo, s43
; %bb.6028:
	v_add_f32_e64 v3, 0x46800000, |v99|
; %bb.6029:
	s_or_b32 exec_lo, exec_lo, vcc_lo
                                        ; implicit-def: $vgpr4
.LBB25_6030:
	s_and_not1_saveexec_b32 s42, s42
; %bb.6031:
	v_mov_b32_e32 v3, 0x7f
	v_cmp_lt_u32_e32 vcc_lo, 0x7f800000, v4
	s_delay_alu instid0(VALU_DEP_2)
	v_cndmask_b32_e32 v3, 0x7e, v3, vcc_lo
; %bb.6032:
	s_or_b32 exec_lo, exec_lo, s42
	v_lshrrev_b32_e32 v4, 24, v99
	s_delay_alu instid0(VALU_DEP_1)
	v_and_or_b32 v3, 0x80, v4, v3
	flat_store_b8 v[1:2], v3
.LBB25_6033:
	s_or_b32 exec_lo, exec_lo, s41
                                        ; implicit-def: $vgpr99
                                        ; implicit-def: $vgpr1_vgpr2
.LBB25_6034:
	s_and_not1_saveexec_b32 s37, s37
	s_cbranch_execz .LBB25_6044
; %bb.6035:
	v_and_b32_e32 v4, 0x7fffffff, v99
	s_mov_b32 s41, exec_lo
                                        ; implicit-def: $vgpr3
	s_delay_alu instid0(VALU_DEP_1)
	v_cmpx_gt_u32_e32 0x47800000, v4
	s_xor_b32 s41, exec_lo, s41
	s_cbranch_execz .LBB25_6041
; %bb.6036:
	v_cmp_lt_u32_e32 vcc_lo, 0x387fffff, v4
                                        ; implicit-def: $vgpr3
	s_and_saveexec_b32 s42, vcc_lo
	s_delay_alu instid0(SALU_CYCLE_1)
	s_xor_b32 vcc_lo, exec_lo, s42
; %bb.6037:
	v_bfe_u32 v3, v99, 21, 1
	s_delay_alu instid0(VALU_DEP_1) | instskip(NEXT) | instid1(VALU_DEP_1)
	v_add3_u32 v3, v99, v3, 0x80fffff
	v_lshrrev_b32_e32 v3, 21, v3
; %bb.6038:
	s_and_not1_saveexec_b32 vcc_lo, vcc_lo
; %bb.6039:
	v_add_f32_e64 v3, 0x43000000, |v99|
; %bb.6040:
	s_or_b32 exec_lo, exec_lo, vcc_lo
                                        ; implicit-def: $vgpr4
.LBB25_6041:
	s_and_not1_saveexec_b32 s41, s41
; %bb.6042:
	v_mov_b32_e32 v3, 0x7f
	v_cmp_lt_u32_e32 vcc_lo, 0x7f800000, v4
	s_delay_alu instid0(VALU_DEP_2)
	v_cndmask_b32_e32 v3, 0x7c, v3, vcc_lo
; %bb.6043:
	s_or_b32 exec_lo, exec_lo, s41
	v_lshrrev_b32_e32 v4, 24, v99
	s_delay_alu instid0(VALU_DEP_1)
	v_and_or_b32 v3, 0x80, v4, v3
	flat_store_b8 v[1:2], v3
.LBB25_6044:
	s_or_b32 exec_lo, exec_lo, s37
	s_delay_alu instid0(SALU_CYCLE_1)
	s_or_b32 s37, s0, exec_lo
                                        ; implicit-def: $vgpr3
                                        ; implicit-def: $vgpr99
                                        ; implicit-def: $vgpr1_vgpr2
.LBB25_6045:
	s_or_saveexec_b32 s36, s36
	s_mov_b32 vcc_lo, s34
	s_xor_b32 exec_lo, exec_lo, s36
	s_cbranch_execz .LBB25_6055
; %bb.6046:
	s_mov_b32 s41, s37
	s_mov_b32 s42, s34
	s_mov_b32 s43, exec_lo
	v_cmpx_lt_i16_e32 14, v3
	s_xor_b32 s43, exec_lo, s43
	s_cbranch_execz .LBB25_6050
; %bb.6047:
	s_mov_b32 s44, -1
	s_mov_b32 s41, s37
	s_mov_b32 s42, exec_lo
	v_cmpx_eq_u16_e32 15, v3
	s_cbranch_execz .LBB25_6049
; %bb.6048:
	v_bfe_u32 v3, v99, 16, 1
	v_cmp_o_f32_e32 vcc_lo, v99, v99
	s_xor_b32 s44, exec_lo, -1
	s_or_b32 s41, s37, exec_lo
	s_delay_alu instid0(VALU_DEP_2) | instskip(NEXT) | instid1(VALU_DEP_1)
	v_add3_u32 v3, v99, v3, 0x7fff
	v_lshrrev_b32_e32 v3, 16, v3
	s_delay_alu instid0(VALU_DEP_1)
	v_cndmask_b32_e32 v3, 0x7fc0, v3, vcc_lo
	flat_store_b16 v[1:2], v3
.LBB25_6049:
	s_or_b32 exec_lo, exec_lo, s42
	s_delay_alu instid0(SALU_CYCLE_1)
	s_and_not1_b32 vcc_lo, s34, exec_lo
	s_and_b32 s42, s44, exec_lo
	s_and_not1_b32 s44, s37, exec_lo
	s_and_b32 s41, s41, exec_lo
	s_or_b32 s42, vcc_lo, s42
	s_or_b32 s41, s44, s41
                                        ; implicit-def: $vgpr3
                                        ; implicit-def: $vgpr99
                                        ; implicit-def: $vgpr1_vgpr2
.LBB25_6050:
	s_and_not1_saveexec_b32 s43, s43
	s_cbranch_execz .LBB25_6054
; %bb.6051:
	s_mov_b32 s45, -1
	s_mov_b32 s44, s41
	s_mov_b32 s46, exec_lo
	v_cmpx_eq_u16_e32 11, v3
	s_cbranch_execz .LBB25_6053
; %bb.6052:
	v_cmp_neq_f32_e32 vcc_lo, 0, v99
	s_xor_b32 s45, exec_lo, -1
	s_or_b32 s44, s41, exec_lo
	v_cndmask_b32_e64 v3, 0, 1, vcc_lo
	flat_store_b8 v[1:2], v3
.LBB25_6053:
	s_or_b32 exec_lo, exec_lo, s46
	s_delay_alu instid0(SALU_CYCLE_1)
	s_and_not1_b32 vcc_lo, s42, exec_lo
	s_and_b32 s42, s45, exec_lo
	s_and_not1_b32 s41, s41, exec_lo
	s_and_b32 s44, s44, exec_lo
	s_or_b32 s42, vcc_lo, s42
	s_or_b32 s41, s41, s44
.LBB25_6054:
	s_or_b32 exec_lo, exec_lo, s43
	s_delay_alu instid0(SALU_CYCLE_1)
	s_and_not1_b32 vcc_lo, s34, exec_lo
	s_and_b32 s42, s42, exec_lo
	s_and_not1_b32 s37, s37, exec_lo
	s_and_b32 s41, s41, exec_lo
	s_or_b32 vcc_lo, vcc_lo, s42
	s_or_b32 s37, s37, s41
.LBB25_6055:
	s_or_b32 exec_lo, exec_lo, s36
	s_delay_alu instid0(SALU_CYCLE_1)
	s_and_not1_b32 s34, s34, exec_lo
	s_and_b32 vcc_lo, vcc_lo, exec_lo
	s_and_not1_b32 s0, s0, exec_lo
	s_and_b32 s36, s37, exec_lo
	s_or_b32 s34, s34, vcc_lo
	s_or_b32 s0, s0, s36
.LBB25_6056:
	s_or_b32 exec_lo, exec_lo, s35
	s_delay_alu instid0(SALU_CYCLE_1)
	s_and_not1_b32 vcc_lo, s29, exec_lo
	s_and_b32 s34, s34, exec_lo
	s_and_b32 s0, s0, exec_lo
	s_or_b32 s34, vcc_lo, s34
                                        ; implicit-def: $vgpr3
                                        ; implicit-def: $vgpr99
                                        ; implicit-def: $vgpr1_vgpr2
	s_and_not1_saveexec_b32 s30, s30
	s_cbranch_execz .LBB25_3944
.LBB25_6057:
	s_mov_b32 s35, exec_lo
	v_cmpx_lt_i16_e32 4, v3
	s_xor_b32 s35, exec_lo, s35
	s_cbranch_execz .LBB25_6079
; %bb.6058:
	s_mov_b32 s36, exec_lo
	v_cmpx_lt_i16_e32 7, v3
	s_xor_b32 s36, exec_lo, s36
	s_cbranch_execz .LBB25_6068
; %bb.6059:
	;; [unrolled: 5-line block ×3, first 2 shown]
	v_cmp_lt_i16_e32 vcc_lo, 9, v3
	s_and_saveexec_b32 s41, vcc_lo
	s_delay_alu instid0(SALU_CYCLE_1)
	s_xor_b32 vcc_lo, exec_lo, s41
	s_cbranch_execz .LBB25_6062
; %bb.6061:
	v_cvt_f64_f32_e32 v[3:4], v99
	v_mov_b32_e32 v5, 0
                                        ; implicit-def: $vgpr99
	s_delay_alu instid0(VALU_DEP_1)
	v_mov_b32_e32 v6, v5
	flat_store_b128 v[1:2], v[3:6]
                                        ; implicit-def: $vgpr1_vgpr2
.LBB25_6062:
	s_and_not1_saveexec_b32 vcc_lo, vcc_lo
	s_cbranch_execz .LBB25_6064
; %bb.6063:
	v_mov_b32_e32 v100, 0
	flat_store_b64 v[1:2], v[99:100]
.LBB25_6064:
	s_or_b32 exec_lo, exec_lo, vcc_lo
                                        ; implicit-def: $vgpr99
                                        ; implicit-def: $vgpr1_vgpr2
.LBB25_6065:
	s_and_not1_saveexec_b32 vcc_lo, s37
	s_cbranch_execz .LBB25_6067
; %bb.6066:
	v_cvt_f16_f32_e32 v3, v99
	s_delay_alu instid0(VALU_DEP_1)
	v_and_b32_e32 v3, 0xffff, v3
	flat_store_b32 v[1:2], v3
.LBB25_6067:
	s_or_b32 exec_lo, exec_lo, vcc_lo
                                        ; implicit-def: $vgpr99
                                        ; implicit-def: $vgpr1_vgpr2
                                        ; implicit-def: $vgpr3
.LBB25_6068:
	s_and_not1_saveexec_b32 s36, s36
	s_cbranch_execz .LBB25_6078
; %bb.6069:
	s_mov_b32 s37, exec_lo
	v_cmpx_lt_i16_e32 5, v3
	s_xor_b32 s37, exec_lo, s37
	s_cbranch_execz .LBB25_6075
; %bb.6070:
	v_cmp_lt_i16_e32 vcc_lo, 6, v3
	s_and_saveexec_b32 s41, vcc_lo
	s_delay_alu instid0(SALU_CYCLE_1)
	s_xor_b32 vcc_lo, exec_lo, s41
	s_cbranch_execz .LBB25_6072
; %bb.6071:
	v_cvt_f64_f32_e32 v[3:4], v99
                                        ; implicit-def: $vgpr99
	flat_store_b64 v[1:2], v[3:4]
                                        ; implicit-def: $vgpr1_vgpr2
.LBB25_6072:
	s_and_not1_saveexec_b32 vcc_lo, vcc_lo
	s_cbranch_execz .LBB25_6074
; %bb.6073:
	flat_store_b32 v[1:2], v99
.LBB25_6074:
	s_or_b32 exec_lo, exec_lo, vcc_lo
                                        ; implicit-def: $vgpr99
                                        ; implicit-def: $vgpr1_vgpr2
.LBB25_6075:
	s_and_not1_saveexec_b32 vcc_lo, s37
	s_cbranch_execz .LBB25_6077
; %bb.6076:
	v_cvt_f16_f32_e32 v3, v99
	flat_store_b16 v[1:2], v3
.LBB25_6077:
	s_or_b32 exec_lo, exec_lo, vcc_lo
.LBB25_6078:
	s_delay_alu instid0(SALU_CYCLE_1)
	s_or_b32 exec_lo, exec_lo, s36
                                        ; implicit-def: $vgpr3
                                        ; implicit-def: $vgpr99
                                        ; implicit-def: $vgpr1_vgpr2
.LBB25_6079:
	s_and_not1_saveexec_b32 s35, s35
	s_cbranch_execz .LBB25_6097
; %bb.6080:
	s_mov_b32 s36, exec_lo
	v_cmpx_lt_i16_e32 1, v3
	s_xor_b32 s36, exec_lo, s36
	s_cbranch_execz .LBB25_6090
; %bb.6081:
	s_mov_b32 s37, exec_lo
	v_cmpx_lt_i16_e32 2, v3
	s_xor_b32 s37, exec_lo, s37
	;; [unrolled: 5-line block ×3, first 2 shown]
	s_cbranch_execz .LBB25_6084
; %bb.6083:
	v_trunc_f32_e32 v3, v99
                                        ; implicit-def: $vgpr99
	s_delay_alu instid0(VALU_DEP_1) | instskip(SKIP_1) | instid1(VALU_DEP_2)
	v_mul_f32_e64 v4, 0x2f800000, |v3|
	v_ashrrev_i32_e32 v6, 31, v3
	v_floor_f32_e32 v4, v4
	s_delay_alu instid0(VALU_DEP_1) | instskip(SKIP_1) | instid1(VALU_DEP_2)
	v_fma_f32 v5, 0xcf800000, v4, |v3|
	v_cvt_u32_f32_e32 v4, v4
	v_cvt_u32_f32_e32 v3, v5
	s_delay_alu instid0(VALU_DEP_2) | instskip(NEXT) | instid1(VALU_DEP_2)
	v_xor_b32_e32 v4, v4, v6
	v_xor_b32_e32 v3, v3, v6
	s_delay_alu instid0(VALU_DEP_1) | instskip(NEXT) | instid1(VALU_DEP_3)
	v_sub_co_u32 v3, vcc_lo, v3, v6
	v_sub_co_ci_u32_e32 v4, vcc_lo, v4, v6, vcc_lo
	flat_store_b64 v[1:2], v[3:4]
                                        ; implicit-def: $vgpr1_vgpr2
.LBB25_6084:
	s_and_not1_saveexec_b32 vcc_lo, s41
	s_cbranch_execz .LBB25_6086
; %bb.6085:
	v_cvt_i32_f32_e32 v3, v99
	flat_store_b32 v[1:2], v3
.LBB25_6086:
	s_or_b32 exec_lo, exec_lo, vcc_lo
                                        ; implicit-def: $vgpr99
                                        ; implicit-def: $vgpr1_vgpr2
.LBB25_6087:
	s_and_not1_saveexec_b32 vcc_lo, s37
	s_cbranch_execz .LBB25_6089
; %bb.6088:
	v_cvt_i32_f32_e32 v3, v99
	flat_store_b16 v[1:2], v3
.LBB25_6089:
	s_or_b32 exec_lo, exec_lo, vcc_lo
                                        ; implicit-def: $vgpr99
                                        ; implicit-def: $vgpr1_vgpr2
                                        ; implicit-def: $vgpr3
.LBB25_6090:
	s_and_not1_saveexec_b32 s36, s36
	s_cbranch_execz .LBB25_6096
; %bb.6091:
	v_cmp_lt_i16_e32 vcc_lo, 0, v3
	s_and_saveexec_b32 s37, vcc_lo
	s_delay_alu instid0(SALU_CYCLE_1)
	s_xor_b32 vcc_lo, exec_lo, s37
	s_cbranch_execz .LBB25_6093
; %bb.6092:
	v_cvt_i32_f32_e32 v3, v99
                                        ; implicit-def: $vgpr99
	flat_store_b8 v[1:2], v3
                                        ; implicit-def: $vgpr1_vgpr2
.LBB25_6093:
	s_and_not1_saveexec_b32 vcc_lo, vcc_lo
	s_cbranch_execz .LBB25_6095
; %bb.6094:
	v_trunc_f32_e32 v3, v99
	s_delay_alu instid0(VALU_DEP_1) | instskip(NEXT) | instid1(VALU_DEP_1)
	v_mul_f32_e64 v4, 0x2f800000, |v3|
	v_floor_f32_e32 v4, v4
	s_delay_alu instid0(VALU_DEP_1) | instskip(SKIP_1) | instid1(VALU_DEP_2)
	v_fma_f32 v4, 0xcf800000, v4, |v3|
	v_ashrrev_i32_e32 v3, 31, v3
	v_cvt_u32_f32_e32 v4, v4
	s_delay_alu instid0(VALU_DEP_1) | instskip(NEXT) | instid1(VALU_DEP_1)
	v_xor_b32_e32 v4, v4, v3
	v_sub_nc_u32_e32 v3, v4, v3
	flat_store_b8 v[1:2], v3
.LBB25_6095:
	s_or_b32 exec_lo, exec_lo, vcc_lo
.LBB25_6096:
	s_delay_alu instid0(SALU_CYCLE_1)
	s_or_b32 exec_lo, exec_lo, s36
.LBB25_6097:
	s_delay_alu instid0(SALU_CYCLE_1) | instskip(NEXT) | instid1(SALU_CYCLE_1)
	s_or_b32 exec_lo, exec_lo, s35
	s_or_b32 s0, s0, exec_lo
	s_or_b32 exec_lo, exec_lo, s30
	s_mov_b32 vcc_lo, 0
	s_and_saveexec_b32 s30, s0
	s_cbranch_execnz .LBB25_3945
	s_branch .LBB25_3946
.LBB25_6098:
	v_bfe_u32 v3, v114, 21, 1
	s_mov_b32 s27, exec_lo
	s_delay_alu instid0(VALU_DEP_1) | instskip(NEXT) | instid1(VALU_DEP_1)
	v_add3_u32 v3, v114, v3, 0x88fffff
	v_lshrrev_b32_e32 v3, 21, v3
	s_or_saveexec_b32 s28, s28
                                        ; implicit-def: $sgpr29
	s_delay_alu instid0(SALU_CYCLE_1)
	s_xor_b32 exec_lo, exec_lo, s28
	s_cbranch_execz .LBB25_5263
.LBB25_6099:
	v_add_f32_e64 v3, 0x42800000, |v114|
	s_and_not1_b32 s27, s27, exec_lo
	s_mov_b32 s29, 0
	s_delay_alu instid0(VALU_DEP_1) | instskip(NEXT) | instid1(VALU_DEP_1)
	v_and_b32_e32 v3, 0xff, v3
	v_cmp_ne_u32_e32 vcc_lo, 0, v3
	s_and_b32 vcc_lo, vcc_lo, exec_lo
	s_delay_alu instid0(SALU_CYCLE_1)
	s_or_b32 s27, s27, vcc_lo
	s_or_b32 exec_lo, exec_lo, s28
	v_mov_b32_e32 v4, s29
	s_and_saveexec_b32 s28, s27
	s_cbranch_execnz .LBB25_5264
	s_branch .LBB25_5265
.LBB25_6100:
	v_bfe_u32 v3, v113, 20, 1
	s_mov_b32 s28, exec_lo
	s_delay_alu instid0(VALU_DEP_1) | instskip(NEXT) | instid1(VALU_DEP_1)
	v_add3_u32 v3, v113, v3, 0x487ffff
	v_lshrrev_b32_e32 v3, 20, v3
	s_or_saveexec_b32 s29, s29
                                        ; implicit-def: $vcc_lo
	s_delay_alu instid0(SALU_CYCLE_1)
	s_xor_b32 exec_lo, exec_lo, s29
	s_cbranch_execz .LBB25_5376
.LBB25_6101:
	v_add_f32_e64 v3, 0x46000000, |v113|
	s_and_not1_b32 s28, s28, exec_lo
	s_delay_alu instid0(VALU_DEP_1) | instskip(NEXT) | instid1(VALU_DEP_1)
	v_and_b32_e32 v3, 0xff, v3
	v_cmp_ne_u32_e32 vcc_lo, 0, v3
	s_and_b32 vcc_hi, vcc_lo, exec_lo
	s_mov_b32 vcc_lo, 0
	s_or_b32 s28, s28, vcc_hi
	s_or_b32 exec_lo, exec_lo, s29
	v_mov_b32_e32 v4, vcc_lo
	s_and_saveexec_b32 s29, s28
	s_cbranch_execnz .LBB25_5377
	s_branch .LBB25_5378
.LBB25_6102:
	s_mov_b32 s36, s30
	s_mov_b32 s37, exec_lo
	v_cmpx_lt_i16_e32 25, v3
	s_xor_b32 s37, exec_lo, s37
	s_cbranch_execz .LBB25_6138
; %bb.6103:
	s_mov_b32 s41, s30
	s_mov_b32 s36, exec_lo
	v_cmpx_lt_i16_e32 28, v3
	s_xor_b32 s36, exec_lo, s36
	s_cbranch_execz .LBB25_6121
; %bb.6104:
	;; [unrolled: 6-line block ×3, first 2 shown]
	s_mov_b32 s42, 0
	s_mov_b32 s43, s30
	s_mov_b32 s0, exec_lo
	v_cmpx_lt_i16_e32 45, v3
	s_xor_b32 s0, exec_lo, s0
	s_cbranch_execz .LBB25_6109
; %bb.6106:
	s_mov_b32 s44, -1
	s_mov_b32 s43, exec_lo
	v_cmpx_eq_u16_e32 46, v3
	s_cbranch_execz .LBB25_6108
; %bb.6107:
	v_bfe_u32 v3, v98, 16, 1
	v_cmp_o_f32_e32 vcc_lo, v98, v98
	s_mov_b32 s42, exec_lo
	s_xor_b32 s44, exec_lo, -1
	s_delay_alu instid0(VALU_DEP_2) | instskip(NEXT) | instid1(VALU_DEP_1)
	v_add3_u32 v3, v98, v3, 0x7fff
	v_lshrrev_b32_e32 v3, 16, v3
	s_delay_alu instid0(VALU_DEP_1)
	v_cndmask_b32_e32 v3, 0x7fc0, v3, vcc_lo
	flat_store_b32 v[1:2], v3
.LBB25_6108:
	s_or_b32 exec_lo, exec_lo, s43
	s_delay_alu instid0(SALU_CYCLE_1)
	s_and_not1_b32 vcc_lo, s30, exec_lo
	s_and_b32 s43, s44, exec_lo
	s_and_b32 s42, s42, exec_lo
	s_or_b32 s43, vcc_lo, s43
                                        ; implicit-def: $vgpr3
                                        ; implicit-def: $vgpr1_vgpr2
                                        ; implicit-def: $vgpr98
.LBB25_6109:
	s_and_not1_saveexec_b32 s44, s0
	s_cbranch_execz .LBB25_6115
; %bb.6110:
	s_mov_b32 s46, -1
	s_mov_b32 s0, s42
	s_mov_b32 s45, exec_lo
	v_cmpx_eq_u16_e32 44, v3
	s_cbranch_execz .LBB25_6114
; %bb.6111:
	v_bfe_u32 v4, v98, 23, 8
	v_mov_b32_e32 v3, 0xff
	s_mov_b32 s46, exec_lo
	s_delay_alu instid0(VALU_DEP_2)
	v_cmpx_ne_u32_e32 0xff, v4
; %bb.6112:
	v_and_b32_e32 v3, 0x400000, v98
	v_and_or_b32 v4, 0x3fffff, v98, v4
	s_delay_alu instid0(VALU_DEP_2) | instskip(NEXT) | instid1(VALU_DEP_2)
	v_cmp_ne_u32_e32 vcc_lo, 0, v3
	v_cmp_ne_u32_e64 s0, 0, v4
	v_lshrrev_b32_e32 v3, 23, v98
	s_delay_alu instid0(VALU_DEP_2) | instskip(NEXT) | instid1(SALU_CYCLE_1)
	s_and_b32 s0, vcc_lo, s0
	v_cndmask_b32_e64 v4, 0, 1, s0
	s_delay_alu instid0(VALU_DEP_1)
	v_add_nc_u32_e32 v3, v3, v4
; %bb.6113:
	s_or_b32 exec_lo, exec_lo, s46
	s_delay_alu instid0(SALU_CYCLE_1)
	s_xor_b32 s46, exec_lo, -1
	s_or_b32 s0, s42, exec_lo
	flat_store_b8 v[1:2], v3
.LBB25_6114:
	s_or_b32 exec_lo, exec_lo, s45
	s_delay_alu instid0(SALU_CYCLE_1)
	s_and_not1_b32 vcc_lo, s43, exec_lo
	s_and_b32 s43, s46, exec_lo
	s_and_not1_b32 s42, s42, exec_lo
	s_and_b32 s0, s0, exec_lo
	s_or_b32 s43, vcc_lo, s43
	s_or_b32 s42, s42, s0
.LBB25_6115:
	s_or_b32 exec_lo, exec_lo, s44
	s_delay_alu instid0(SALU_CYCLE_1) | instskip(SKIP_1) | instid1(SALU_CYCLE_1)
	s_and_not1_b32 s0, s30, exec_lo
	s_and_b32 vcc_lo, s43, exec_lo
                                        ; implicit-def: $vgpr3
                                        ; implicit-def: $vgpr98
                                        ; implicit-def: $vgpr1_vgpr2
	s_or_b32 s43, s0, vcc_lo
	s_and_b32 s0, s42, exec_lo
.LBB25_6116:
	s_and_not1_saveexec_b32 s41, s41
	s_cbranch_execz .LBB25_6120
; %bb.6117:
	s_mov_b32 s45, -1
	s_mov_b32 s44, s0
	s_mov_b32 s42, exec_lo
	v_cmpx_eq_u16_e32 29, v3
	s_cbranch_execz .LBB25_6119
; %bb.6118:
	v_trunc_f32_e32 v3, v98
	s_xor_b32 s45, exec_lo, -1
	s_or_b32 s44, s0, exec_lo
	s_delay_alu instid0(VALU_DEP_1) | instskip(NEXT) | instid1(VALU_DEP_1)
	v_mul_f32_e32 v4, 0x2f800000, v3
	v_floor_f32_e32 v4, v4
	s_delay_alu instid0(VALU_DEP_1) | instskip(SKIP_1) | instid1(VALU_DEP_2)
	v_fmamk_f32 v3, v4, 0xcf800000, v3
	v_cvt_u32_f32_e32 v4, v4
	v_cvt_u32_f32_e32 v3, v3
	flat_store_b64 v[1:2], v[3:4]
.LBB25_6119:
	s_or_b32 exec_lo, exec_lo, s42
	s_delay_alu instid0(SALU_CYCLE_1)
	s_and_not1_b32 vcc_lo, s43, exec_lo
	s_and_b32 s42, s45, exec_lo
	s_and_not1_b32 s0, s0, exec_lo
	s_and_b32 s44, s44, exec_lo
	s_or_b32 s43, vcc_lo, s42
	s_or_b32 s0, s0, s44
.LBB25_6120:
	s_or_b32 exec_lo, exec_lo, s41
	s_delay_alu instid0(SALU_CYCLE_1)
	s_and_not1_b32 vcc_lo, s30, exec_lo
	s_and_b32 s41, s43, exec_lo
	s_and_b32 s0, s0, exec_lo
	s_or_b32 s41, vcc_lo, s41
                                        ; implicit-def: $vgpr1_vgpr2
                                        ; implicit-def: $vgpr3
                                        ; implicit-def: $vgpr98
.LBB25_6121:
	s_and_not1_saveexec_b32 s36, s36
	s_cbranch_execz .LBB25_6137
; %bb.6122:
	s_mov_b32 s42, exec_lo
	v_cmpx_lt_i16_e32 26, v3
	s_xor_b32 s42, exec_lo, s42
	s_cbranch_execz .LBB25_6128
; %bb.6123:
	v_cmp_lt_i16_e32 vcc_lo, 27, v3
	s_and_saveexec_b32 s43, vcc_lo
	s_delay_alu instid0(SALU_CYCLE_1)
	s_xor_b32 vcc_lo, exec_lo, s43
	s_cbranch_execz .LBB25_6125
; %bb.6124:
	v_cvt_u32_f32_e32 v3, v98
                                        ; implicit-def: $vgpr98
	flat_store_b32 v[1:2], v3
                                        ; implicit-def: $vgpr1_vgpr2
.LBB25_6125:
	s_and_not1_saveexec_b32 vcc_lo, vcc_lo
	s_cbranch_execz .LBB25_6127
; %bb.6126:
	v_cvt_u32_f32_e32 v3, v98
	flat_store_b16 v[1:2], v3
.LBB25_6127:
	s_or_b32 exec_lo, exec_lo, vcc_lo
                                        ; implicit-def: $vgpr1_vgpr2
                                        ; implicit-def: $vgpr98
.LBB25_6128:
	s_and_not1_saveexec_b32 s42, s42
	s_cbranch_execz .LBB25_6136
; %bb.6129:
	v_and_b32_e32 v3, 0x7fffffff, v98
	v_mov_b32_e32 v4, 0x80
	s_mov_b32 s43, exec_lo
	s_delay_alu instid0(VALU_DEP_2)
	v_cmpx_gt_u32_e32 0x43800000, v3
	s_cbranch_execz .LBB25_6135
; %bb.6130:
	v_cmp_lt_u32_e32 vcc_lo, 0x3bffffff, v3
	s_mov_b32 s44, 0
                                        ; implicit-def: $vgpr3
	s_and_saveexec_b32 s45, vcc_lo
	s_delay_alu instid0(SALU_CYCLE_1)
	s_xor_b32 vcc_lo, exec_lo, s45
	s_cbranch_execnz .LBB25_6856
; %bb.6131:
	s_or_saveexec_b32 s45, vcc_lo
                                        ; implicit-def: $vcc_lo
	s_delay_alu instid0(SALU_CYCLE_1)
	s_xor_b32 exec_lo, exec_lo, s45
	s_cbranch_execnz .LBB25_6857
.LBB25_6132:
	s_or_b32 exec_lo, exec_lo, s45
	v_mov_b32_e32 v4, vcc_lo
	s_and_saveexec_b32 vcc_lo, s44
.LBB25_6133:
	v_lshrrev_b32_e32 v4, 24, v98
	s_delay_alu instid0(VALU_DEP_1)
	v_and_or_b32 v4, 0x80, v4, v3
.LBB25_6134:
	s_or_b32 exec_lo, exec_lo, vcc_lo
.LBB25_6135:
	s_delay_alu instid0(SALU_CYCLE_1)
	s_or_b32 exec_lo, exec_lo, s43
	flat_store_b8 v[1:2], v4
.LBB25_6136:
	s_or_b32 exec_lo, exec_lo, s42
	s_delay_alu instid0(SALU_CYCLE_1)
	s_or_b32 s0, s0, exec_lo
.LBB25_6137:
	s_or_b32 exec_lo, exec_lo, s36
	s_delay_alu instid0(SALU_CYCLE_1)
	s_and_not1_b32 vcc_lo, s30, exec_lo
	s_and_b32 s36, s41, exec_lo
	s_and_b32 s0, s0, exec_lo
	s_or_b32 s36, vcc_lo, s36
                                        ; implicit-def: $vgpr3
                                        ; implicit-def: $vgpr98
                                        ; implicit-def: $vgpr1_vgpr2
.LBB25_6138:
	s_and_not1_saveexec_b32 s37, s37
	s_cbranch_execz .LBB25_6182
; %bb.6139:
	s_mov_b32 s42, s0
	s_mov_b32 s41, exec_lo
	v_cmpx_lt_i16_e32 22, v3
	s_xor_b32 s41, exec_lo, s41
	s_cbranch_execz .LBB25_6171
; %bb.6140:
	s_mov_b32 s42, exec_lo
	v_cmpx_lt_i16_e32 23, v3
	s_xor_b32 s42, exec_lo, s42
	s_cbranch_execz .LBB25_6160
; %bb.6141:
	;; [unrolled: 5-line block ×3, first 2 shown]
	v_and_b32_e32 v3, 0x7fffffff, v98
	v_mov_b32_e32 v4, 0x80
	s_mov_b32 s44, exec_lo
	s_delay_alu instid0(VALU_DEP_2)
	v_cmpx_gt_u32_e32 0x47800000, v3
	s_cbranch_execz .LBB25_6148
; %bb.6143:
	v_cmp_lt_u32_e32 vcc_lo, 0x37ffffff, v3
	s_mov_b32 s45, 0
                                        ; implicit-def: $vgpr3
	s_and_saveexec_b32 s46, vcc_lo
	s_delay_alu instid0(SALU_CYCLE_1)
	s_xor_b32 vcc_lo, exec_lo, s46
	s_cbranch_execnz .LBB25_6980
; %bb.6144:
	s_or_saveexec_b32 s46, vcc_lo
                                        ; implicit-def: $vcc_lo
	s_delay_alu instid0(SALU_CYCLE_1)
	s_xor_b32 exec_lo, exec_lo, s46
	s_cbranch_execnz .LBB25_6981
.LBB25_6145:
	s_or_b32 exec_lo, exec_lo, s46
	v_mov_b32_e32 v4, vcc_lo
	s_and_saveexec_b32 vcc_lo, s45
.LBB25_6146:
	v_lshrrev_b32_e32 v4, 24, v98
	s_delay_alu instid0(VALU_DEP_1)
	v_and_or_b32 v4, 0x80, v4, v3
.LBB25_6147:
	s_or_b32 exec_lo, exec_lo, vcc_lo
.LBB25_6148:
	s_delay_alu instid0(SALU_CYCLE_1)
	s_or_b32 exec_lo, exec_lo, s44
	flat_store_b8 v[1:2], v4
                                        ; implicit-def: $vgpr98
                                        ; implicit-def: $vgpr1_vgpr2
.LBB25_6149:
	s_and_not1_saveexec_b32 s43, s43
	s_cbranch_execz .LBB25_6159
; %bb.6150:
	v_and_b32_e32 v4, 0x7fffffff, v98
	s_mov_b32 s44, exec_lo
                                        ; implicit-def: $vgpr3
	s_delay_alu instid0(VALU_DEP_1)
	v_cmpx_gt_u32_e32 0x43f00000, v4
	s_xor_b32 s44, exec_lo, s44
	s_cbranch_execz .LBB25_6156
; %bb.6151:
	s_mov_b32 s45, exec_lo
                                        ; implicit-def: $vgpr3
	v_cmpx_lt_u32_e32 0x3c7fffff, v4
	s_xor_b32 s45, exec_lo, s45
; %bb.6152:
	v_bfe_u32 v3, v98, 20, 1
	s_delay_alu instid0(VALU_DEP_1) | instskip(NEXT) | instid1(VALU_DEP_1)
	v_add3_u32 v3, v98, v3, 0x407ffff
	v_and_b32_e32 v4, 0xff00000, v3
	v_lshrrev_b32_e32 v3, 20, v3
	s_delay_alu instid0(VALU_DEP_2) | instskip(NEXT) | instid1(VALU_DEP_2)
	v_cmp_ne_u32_e32 vcc_lo, 0x7f00000, v4
	v_cndmask_b32_e32 v3, 0x7e, v3, vcc_lo
; %bb.6153:
	s_and_not1_saveexec_b32 vcc_lo, s45
; %bb.6154:
	v_add_f32_e64 v3, 0x46800000, |v98|
; %bb.6155:
	s_or_b32 exec_lo, exec_lo, vcc_lo
                                        ; implicit-def: $vgpr4
.LBB25_6156:
	s_and_not1_saveexec_b32 s44, s44
; %bb.6157:
	v_mov_b32_e32 v3, 0x7f
	v_cmp_lt_u32_e32 vcc_lo, 0x7f800000, v4
	s_delay_alu instid0(VALU_DEP_2)
	v_cndmask_b32_e32 v3, 0x7e, v3, vcc_lo
; %bb.6158:
	s_or_b32 exec_lo, exec_lo, s44
	v_lshrrev_b32_e32 v4, 24, v98
	s_delay_alu instid0(VALU_DEP_1)
	v_and_or_b32 v3, 0x80, v4, v3
	flat_store_b8 v[1:2], v3
.LBB25_6159:
	s_or_b32 exec_lo, exec_lo, s43
                                        ; implicit-def: $vgpr98
                                        ; implicit-def: $vgpr1_vgpr2
.LBB25_6160:
	s_and_not1_saveexec_b32 s42, s42
	s_cbranch_execz .LBB25_6170
; %bb.6161:
	v_and_b32_e32 v4, 0x7fffffff, v98
	s_mov_b32 s43, exec_lo
                                        ; implicit-def: $vgpr3
	s_delay_alu instid0(VALU_DEP_1)
	v_cmpx_gt_u32_e32 0x47800000, v4
	s_xor_b32 s43, exec_lo, s43
	s_cbranch_execz .LBB25_6167
; %bb.6162:
	v_cmp_lt_u32_e32 vcc_lo, 0x387fffff, v4
                                        ; implicit-def: $vgpr3
	s_and_saveexec_b32 s44, vcc_lo
	s_delay_alu instid0(SALU_CYCLE_1)
	s_xor_b32 vcc_lo, exec_lo, s44
; %bb.6163:
	v_bfe_u32 v3, v98, 21, 1
	s_delay_alu instid0(VALU_DEP_1) | instskip(NEXT) | instid1(VALU_DEP_1)
	v_add3_u32 v3, v98, v3, 0x80fffff
	v_lshrrev_b32_e32 v3, 21, v3
; %bb.6164:
	s_and_not1_saveexec_b32 vcc_lo, vcc_lo
; %bb.6165:
	v_add_f32_e64 v3, 0x43000000, |v98|
; %bb.6166:
	s_or_b32 exec_lo, exec_lo, vcc_lo
                                        ; implicit-def: $vgpr4
.LBB25_6167:
	s_and_not1_saveexec_b32 s43, s43
; %bb.6168:
	v_mov_b32_e32 v3, 0x7f
	v_cmp_lt_u32_e32 vcc_lo, 0x7f800000, v4
	s_delay_alu instid0(VALU_DEP_2)
	v_cndmask_b32_e32 v3, 0x7c, v3, vcc_lo
; %bb.6169:
	s_or_b32 exec_lo, exec_lo, s43
	v_lshrrev_b32_e32 v4, 24, v98
	s_delay_alu instid0(VALU_DEP_1)
	v_and_or_b32 v3, 0x80, v4, v3
	flat_store_b8 v[1:2], v3
.LBB25_6170:
	s_or_b32 exec_lo, exec_lo, s42
	s_delay_alu instid0(SALU_CYCLE_1)
	s_or_b32 s42, s0, exec_lo
                                        ; implicit-def: $vgpr3
                                        ; implicit-def: $vgpr98
                                        ; implicit-def: $vgpr1_vgpr2
.LBB25_6171:
	s_or_saveexec_b32 s41, s41
	s_mov_b32 vcc_lo, s36
	s_xor_b32 exec_lo, exec_lo, s41
	s_cbranch_execz .LBB25_6181
; %bb.6172:
	s_mov_b32 s43, s42
	s_mov_b32 s44, s36
	s_mov_b32 s45, exec_lo
	v_cmpx_lt_i16_e32 14, v3
	s_xor_b32 s45, exec_lo, s45
	s_cbranch_execz .LBB25_6176
; %bb.6173:
	s_mov_b32 s46, -1
	s_mov_b32 s43, s42
	s_mov_b32 s44, exec_lo
	v_cmpx_eq_u16_e32 15, v3
	s_cbranch_execz .LBB25_6175
; %bb.6174:
	v_bfe_u32 v3, v98, 16, 1
	v_cmp_o_f32_e32 vcc_lo, v98, v98
	s_xor_b32 s46, exec_lo, -1
	s_or_b32 s43, s42, exec_lo
	s_delay_alu instid0(VALU_DEP_2) | instskip(NEXT) | instid1(VALU_DEP_1)
	v_add3_u32 v3, v98, v3, 0x7fff
	v_lshrrev_b32_e32 v3, 16, v3
	s_delay_alu instid0(VALU_DEP_1)
	v_cndmask_b32_e32 v3, 0x7fc0, v3, vcc_lo
	flat_store_b16 v[1:2], v3
.LBB25_6175:
	s_or_b32 exec_lo, exec_lo, s44
	s_delay_alu instid0(SALU_CYCLE_1)
	s_and_not1_b32 vcc_lo, s36, exec_lo
	s_and_b32 s44, s46, exec_lo
	s_and_not1_b32 s46, s42, exec_lo
	s_and_b32 s43, s43, exec_lo
	s_or_b32 s44, vcc_lo, s44
	s_or_b32 s43, s46, s43
                                        ; implicit-def: $vgpr3
                                        ; implicit-def: $vgpr98
                                        ; implicit-def: $vgpr1_vgpr2
.LBB25_6176:
	s_and_not1_saveexec_b32 s45, s45
	s_cbranch_execz .LBB25_6180
; %bb.6177:
	s_mov_b32 s47, -1
	s_mov_b32 s46, s43
	s_mov_b32 s48, exec_lo
	v_cmpx_eq_u16_e32 11, v3
	s_cbranch_execz .LBB25_6179
; %bb.6178:
	v_cmp_neq_f32_e32 vcc_lo, 0, v98
	s_xor_b32 s47, exec_lo, -1
	s_or_b32 s46, s43, exec_lo
	v_cndmask_b32_e64 v3, 0, 1, vcc_lo
	flat_store_b8 v[1:2], v3
.LBB25_6179:
	s_or_b32 exec_lo, exec_lo, s48
	s_delay_alu instid0(SALU_CYCLE_1)
	s_and_not1_b32 vcc_lo, s44, exec_lo
	s_and_b32 s44, s47, exec_lo
	s_and_not1_b32 s43, s43, exec_lo
	s_and_b32 s46, s46, exec_lo
	s_or_b32 s44, vcc_lo, s44
	s_or_b32 s43, s43, s46
.LBB25_6180:
	s_or_b32 exec_lo, exec_lo, s45
	s_delay_alu instid0(SALU_CYCLE_1)
	s_and_not1_b32 vcc_lo, s36, exec_lo
	s_and_b32 s44, s44, exec_lo
	s_and_not1_b32 s42, s42, exec_lo
	s_and_b32 s43, s43, exec_lo
	s_or_b32 vcc_lo, vcc_lo, s44
	s_or_b32 s42, s42, s43
.LBB25_6181:
	s_or_b32 exec_lo, exec_lo, s41
	s_delay_alu instid0(SALU_CYCLE_1)
	s_and_not1_b32 s36, s36, exec_lo
	s_and_b32 vcc_lo, vcc_lo, exec_lo
	s_and_not1_b32 s0, s0, exec_lo
	s_and_b32 s41, s42, exec_lo
	s_or_b32 s36, s36, vcc_lo
	s_or_b32 s0, s0, s41
.LBB25_6182:
	s_or_b32 exec_lo, exec_lo, s37
	s_delay_alu instid0(SALU_CYCLE_1)
	s_and_not1_b32 vcc_lo, s30, exec_lo
	s_and_b32 s36, s36, exec_lo
	s_and_b32 s0, s0, exec_lo
	s_or_b32 s36, vcc_lo, s36
                                        ; implicit-def: $vgpr3
                                        ; implicit-def: $vgpr98
                                        ; implicit-def: $vgpr1_vgpr2
	s_and_not1_saveexec_b32 s34, s34
	s_cbranch_execz .LBB25_3951
.LBB25_6183:
	s_mov_b32 s37, exec_lo
	v_cmpx_lt_i16_e32 4, v3
	s_xor_b32 s37, exec_lo, s37
	s_cbranch_execz .LBB25_6205
; %bb.6184:
	s_mov_b32 s41, exec_lo
	v_cmpx_lt_i16_e32 7, v3
	s_xor_b32 s41, exec_lo, s41
	s_cbranch_execz .LBB25_6194
; %bb.6185:
	;; [unrolled: 5-line block ×3, first 2 shown]
	v_cmp_lt_i16_e32 vcc_lo, 9, v3
	s_and_saveexec_b32 s43, vcc_lo
	s_delay_alu instid0(SALU_CYCLE_1)
	s_xor_b32 vcc_lo, exec_lo, s43
	s_cbranch_execz .LBB25_6188
; %bb.6187:
	v_cvt_f64_f32_e32 v[3:4], v98
	v_mov_b32_e32 v5, 0
                                        ; implicit-def: $vgpr98
	s_delay_alu instid0(VALU_DEP_1)
	v_mov_b32_e32 v6, v5
	flat_store_b128 v[1:2], v[3:6]
                                        ; implicit-def: $vgpr1_vgpr2
.LBB25_6188:
	s_and_not1_saveexec_b32 vcc_lo, vcc_lo
	s_cbranch_execz .LBB25_6190
; %bb.6189:
	v_mov_b32_e32 v99, 0
	flat_store_b64 v[1:2], v[98:99]
.LBB25_6190:
	s_or_b32 exec_lo, exec_lo, vcc_lo
                                        ; implicit-def: $vgpr98
                                        ; implicit-def: $vgpr1_vgpr2
.LBB25_6191:
	s_and_not1_saveexec_b32 vcc_lo, s42
	s_cbranch_execz .LBB25_6193
; %bb.6192:
	v_cvt_f16_f32_e32 v3, v98
	s_delay_alu instid0(VALU_DEP_1)
	v_and_b32_e32 v3, 0xffff, v3
	flat_store_b32 v[1:2], v3
.LBB25_6193:
	s_or_b32 exec_lo, exec_lo, vcc_lo
                                        ; implicit-def: $vgpr98
                                        ; implicit-def: $vgpr1_vgpr2
                                        ; implicit-def: $vgpr3
.LBB25_6194:
	s_and_not1_saveexec_b32 s41, s41
	s_cbranch_execz .LBB25_6204
; %bb.6195:
	s_mov_b32 s42, exec_lo
	v_cmpx_lt_i16_e32 5, v3
	s_xor_b32 s42, exec_lo, s42
	s_cbranch_execz .LBB25_6201
; %bb.6196:
	v_cmp_lt_i16_e32 vcc_lo, 6, v3
	s_and_saveexec_b32 s43, vcc_lo
	s_delay_alu instid0(SALU_CYCLE_1)
	s_xor_b32 vcc_lo, exec_lo, s43
	s_cbranch_execz .LBB25_6198
; %bb.6197:
	v_cvt_f64_f32_e32 v[3:4], v98
                                        ; implicit-def: $vgpr98
	flat_store_b64 v[1:2], v[3:4]
                                        ; implicit-def: $vgpr1_vgpr2
.LBB25_6198:
	s_and_not1_saveexec_b32 vcc_lo, vcc_lo
	s_cbranch_execz .LBB25_6200
; %bb.6199:
	flat_store_b32 v[1:2], v98
.LBB25_6200:
	s_or_b32 exec_lo, exec_lo, vcc_lo
                                        ; implicit-def: $vgpr98
                                        ; implicit-def: $vgpr1_vgpr2
.LBB25_6201:
	s_and_not1_saveexec_b32 vcc_lo, s42
	s_cbranch_execz .LBB25_6203
; %bb.6202:
	v_cvt_f16_f32_e32 v3, v98
	flat_store_b16 v[1:2], v3
.LBB25_6203:
	s_or_b32 exec_lo, exec_lo, vcc_lo
.LBB25_6204:
	s_delay_alu instid0(SALU_CYCLE_1)
	s_or_b32 exec_lo, exec_lo, s41
                                        ; implicit-def: $vgpr3
                                        ; implicit-def: $vgpr98
                                        ; implicit-def: $vgpr1_vgpr2
.LBB25_6205:
	s_and_not1_saveexec_b32 s37, s37
	s_cbranch_execz .LBB25_6223
; %bb.6206:
	s_mov_b32 s41, exec_lo
	v_cmpx_lt_i16_e32 1, v3
	s_xor_b32 s41, exec_lo, s41
	s_cbranch_execz .LBB25_6216
; %bb.6207:
	s_mov_b32 s42, exec_lo
	v_cmpx_lt_i16_e32 2, v3
	s_xor_b32 s42, exec_lo, s42
	;; [unrolled: 5-line block ×3, first 2 shown]
	s_cbranch_execz .LBB25_6210
; %bb.6209:
	v_trunc_f32_e32 v3, v98
                                        ; implicit-def: $vgpr98
	s_delay_alu instid0(VALU_DEP_1) | instskip(SKIP_1) | instid1(VALU_DEP_2)
	v_mul_f32_e64 v4, 0x2f800000, |v3|
	v_ashrrev_i32_e32 v6, 31, v3
	v_floor_f32_e32 v4, v4
	s_delay_alu instid0(VALU_DEP_1) | instskip(SKIP_1) | instid1(VALU_DEP_2)
	v_fma_f32 v5, 0xcf800000, v4, |v3|
	v_cvt_u32_f32_e32 v4, v4
	v_cvt_u32_f32_e32 v3, v5
	s_delay_alu instid0(VALU_DEP_2) | instskip(NEXT) | instid1(VALU_DEP_2)
	v_xor_b32_e32 v4, v4, v6
	v_xor_b32_e32 v3, v3, v6
	s_delay_alu instid0(VALU_DEP_1) | instskip(NEXT) | instid1(VALU_DEP_3)
	v_sub_co_u32 v3, vcc_lo, v3, v6
	v_sub_co_ci_u32_e32 v4, vcc_lo, v4, v6, vcc_lo
	flat_store_b64 v[1:2], v[3:4]
                                        ; implicit-def: $vgpr1_vgpr2
.LBB25_6210:
	s_and_not1_saveexec_b32 vcc_lo, s43
	s_cbranch_execz .LBB25_6212
; %bb.6211:
	v_cvt_i32_f32_e32 v3, v98
	flat_store_b32 v[1:2], v3
.LBB25_6212:
	s_or_b32 exec_lo, exec_lo, vcc_lo
                                        ; implicit-def: $vgpr98
                                        ; implicit-def: $vgpr1_vgpr2
.LBB25_6213:
	s_and_not1_saveexec_b32 vcc_lo, s42
	s_cbranch_execz .LBB25_6215
; %bb.6214:
	v_cvt_i32_f32_e32 v3, v98
	flat_store_b16 v[1:2], v3
.LBB25_6215:
	s_or_b32 exec_lo, exec_lo, vcc_lo
                                        ; implicit-def: $vgpr98
                                        ; implicit-def: $vgpr1_vgpr2
                                        ; implicit-def: $vgpr3
.LBB25_6216:
	s_and_not1_saveexec_b32 s41, s41
	s_cbranch_execz .LBB25_6222
; %bb.6217:
	v_cmp_lt_i16_e32 vcc_lo, 0, v3
	s_and_saveexec_b32 s42, vcc_lo
	s_delay_alu instid0(SALU_CYCLE_1)
	s_xor_b32 vcc_lo, exec_lo, s42
	s_cbranch_execz .LBB25_6219
; %bb.6218:
	v_cvt_i32_f32_e32 v3, v98
                                        ; implicit-def: $vgpr98
	flat_store_b8 v[1:2], v3
                                        ; implicit-def: $vgpr1_vgpr2
.LBB25_6219:
	s_and_not1_saveexec_b32 vcc_lo, vcc_lo
	s_cbranch_execz .LBB25_6221
; %bb.6220:
	v_trunc_f32_e32 v3, v98
	s_delay_alu instid0(VALU_DEP_1) | instskip(NEXT) | instid1(VALU_DEP_1)
	v_mul_f32_e64 v4, 0x2f800000, |v3|
	v_floor_f32_e32 v4, v4
	s_delay_alu instid0(VALU_DEP_1) | instskip(SKIP_1) | instid1(VALU_DEP_2)
	v_fma_f32 v4, 0xcf800000, v4, |v3|
	v_ashrrev_i32_e32 v3, 31, v3
	v_cvt_u32_f32_e32 v4, v4
	s_delay_alu instid0(VALU_DEP_1) | instskip(NEXT) | instid1(VALU_DEP_1)
	v_xor_b32_e32 v4, v4, v3
	v_sub_nc_u32_e32 v3, v4, v3
	flat_store_b8 v[1:2], v3
.LBB25_6221:
	s_or_b32 exec_lo, exec_lo, vcc_lo
.LBB25_6222:
	s_delay_alu instid0(SALU_CYCLE_1)
	s_or_b32 exec_lo, exec_lo, s41
.LBB25_6223:
	s_delay_alu instid0(SALU_CYCLE_1) | instskip(NEXT) | instid1(SALU_CYCLE_1)
	s_or_b32 exec_lo, exec_lo, s37
	s_or_b32 s0, s0, exec_lo
	s_or_b32 exec_lo, exec_lo, s34
	s_mov_b32 vcc_lo, 0
	s_and_saveexec_b32 s34, s0
	s_cbranch_execnz .LBB25_3952
	s_branch .LBB25_3953
.LBB25_6224:
	v_bfe_u32 v3, v113, 21, 1
	s_mov_b32 s29, exec_lo
	s_delay_alu instid0(VALU_DEP_1) | instskip(NEXT) | instid1(VALU_DEP_1)
	v_add3_u32 v3, v113, v3, 0x88fffff
	v_lshrrev_b32_e32 v3, 21, v3
	s_or_saveexec_b32 vcc_hi, vcc_lo
                                        ; implicit-def: $vcc_lo
	s_delay_alu instid0(SALU_CYCLE_1)
	s_xor_b32 exec_lo, exec_lo, vcc_hi
	s_cbranch_execz .LBB25_5389
.LBB25_6225:
	v_add_f32_e64 v3, 0x42800000, |v113|
	s_and_not1_b32 s29, s29, exec_lo
	s_delay_alu instid0(VALU_DEP_1) | instskip(NEXT) | instid1(VALU_DEP_1)
	v_and_b32_e32 v3, 0xff, v3
	v_cmp_ne_u32_e32 vcc_lo, 0, v3
	s_and_b32 s30, vcc_lo, exec_lo
	s_mov_b32 vcc_lo, 0
	s_or_b32 s29, s29, s30
	s_or_b32 exec_lo, exec_lo, vcc_hi
	v_mov_b32_e32 v4, vcc_lo
	s_and_saveexec_b32 vcc_lo, s29
	s_cbranch_execnz .LBB25_5390
	s_branch .LBB25_5391
.LBB25_6226:
	v_bfe_u32 v3, v112, 20, 1
	s_mov_b32 vcc_hi, exec_lo
	s_delay_alu instid0(VALU_DEP_1) | instskip(NEXT) | instid1(VALU_DEP_1)
	v_add3_u32 v3, v112, v3, 0x487ffff
	v_lshrrev_b32_e32 v3, 20, v3
	s_or_saveexec_b32 s30, vcc_lo
                                        ; implicit-def: $vcc_lo
	s_delay_alu instid0(SALU_CYCLE_1)
	s_xor_b32 exec_lo, exec_lo, s30
	s_cbranch_execz .LBB25_5502
.LBB25_6227:
	v_add_f32_e64 v3, 0x46000000, |v112|
	s_delay_alu instid0(VALU_DEP_1) | instskip(NEXT) | instid1(VALU_DEP_1)
	v_and_b32_e32 v3, 0xff, v3
	v_cmp_ne_u32_e32 vcc_lo, 0, v3
	s_and_not1_b32 vcc_hi, vcc_hi, exec_lo
	s_and_b32 s31, vcc_lo, exec_lo
	s_mov_b32 vcc_lo, 0
	s_or_b32 vcc_hi, vcc_hi, s31
	s_or_b32 exec_lo, exec_lo, s30
	v_mov_b32_e32 v4, vcc_lo
	s_and_saveexec_b32 vcc_lo, vcc_hi
	s_cbranch_execnz .LBB25_5503
	s_branch .LBB25_5504
.LBB25_6228:
	s_mov_b32 s41, s34
	s_mov_b32 s42, exec_lo
	v_cmpx_lt_i16_e32 25, v3
	s_xor_b32 s42, exec_lo, s42
	s_cbranch_execz .LBB25_6264
; %bb.6229:
	s_mov_b32 s43, s34
	s_mov_b32 s41, exec_lo
	v_cmpx_lt_i16_e32 28, v3
	s_xor_b32 s41, exec_lo, s41
	s_cbranch_execz .LBB25_6247
; %bb.6230:
	;; [unrolled: 6-line block ×3, first 2 shown]
	s_mov_b32 s44, 0
	s_mov_b32 s45, s34
	s_mov_b32 s0, exec_lo
	v_cmpx_lt_i16_e32 45, v3
	s_xor_b32 s0, exec_lo, s0
	s_cbranch_execz .LBB25_6235
; %bb.6232:
	s_mov_b32 s46, -1
	s_mov_b32 s45, exec_lo
	v_cmpx_eq_u16_e32 46, v3
	s_cbranch_execz .LBB25_6234
; %bb.6233:
	v_bfe_u32 v3, v97, 16, 1
	v_cmp_o_f32_e32 vcc_lo, v97, v97
	s_mov_b32 s44, exec_lo
	s_xor_b32 s46, exec_lo, -1
	s_delay_alu instid0(VALU_DEP_2) | instskip(NEXT) | instid1(VALU_DEP_1)
	v_add3_u32 v3, v97, v3, 0x7fff
	v_lshrrev_b32_e32 v3, 16, v3
	s_delay_alu instid0(VALU_DEP_1)
	v_cndmask_b32_e32 v3, 0x7fc0, v3, vcc_lo
	flat_store_b32 v[1:2], v3
.LBB25_6234:
	s_or_b32 exec_lo, exec_lo, s45
	s_delay_alu instid0(SALU_CYCLE_1)
	s_and_not1_b32 vcc_lo, s34, exec_lo
	s_and_b32 s45, s46, exec_lo
	s_and_b32 s44, s44, exec_lo
	s_or_b32 s45, vcc_lo, s45
                                        ; implicit-def: $vgpr3
                                        ; implicit-def: $vgpr1_vgpr2
                                        ; implicit-def: $vgpr97
.LBB25_6235:
	s_and_not1_saveexec_b32 s46, s0
	s_cbranch_execz .LBB25_6241
; %bb.6236:
	s_mov_b32 s48, -1
	s_mov_b32 s0, s44
	s_mov_b32 s47, exec_lo
	v_cmpx_eq_u16_e32 44, v3
	s_cbranch_execz .LBB25_6240
; %bb.6237:
	v_bfe_u32 v4, v97, 23, 8
	v_mov_b32_e32 v3, 0xff
	s_mov_b32 s48, exec_lo
	s_delay_alu instid0(VALU_DEP_2)
	v_cmpx_ne_u32_e32 0xff, v4
; %bb.6238:
	v_and_b32_e32 v3, 0x400000, v97
	v_and_or_b32 v4, 0x3fffff, v97, v4
	s_delay_alu instid0(VALU_DEP_2) | instskip(NEXT) | instid1(VALU_DEP_2)
	v_cmp_ne_u32_e32 vcc_lo, 0, v3
	v_cmp_ne_u32_e64 s0, 0, v4
	v_lshrrev_b32_e32 v3, 23, v97
	s_delay_alu instid0(VALU_DEP_2) | instskip(NEXT) | instid1(SALU_CYCLE_1)
	s_and_b32 s0, vcc_lo, s0
	v_cndmask_b32_e64 v4, 0, 1, s0
	s_delay_alu instid0(VALU_DEP_1)
	v_add_nc_u32_e32 v3, v3, v4
; %bb.6239:
	s_or_b32 exec_lo, exec_lo, s48
	s_delay_alu instid0(SALU_CYCLE_1)
	s_xor_b32 s48, exec_lo, -1
	s_or_b32 s0, s44, exec_lo
	flat_store_b8 v[1:2], v3
.LBB25_6240:
	s_or_b32 exec_lo, exec_lo, s47
	s_delay_alu instid0(SALU_CYCLE_1)
	s_and_not1_b32 vcc_lo, s45, exec_lo
	s_and_b32 s45, s48, exec_lo
	s_and_not1_b32 s44, s44, exec_lo
	s_and_b32 s0, s0, exec_lo
	s_or_b32 s45, vcc_lo, s45
	s_or_b32 s44, s44, s0
.LBB25_6241:
	s_or_b32 exec_lo, exec_lo, s46
	s_delay_alu instid0(SALU_CYCLE_1) | instskip(SKIP_1) | instid1(SALU_CYCLE_1)
	s_and_not1_b32 s0, s34, exec_lo
	s_and_b32 vcc_lo, s45, exec_lo
                                        ; implicit-def: $vgpr3
                                        ; implicit-def: $vgpr97
                                        ; implicit-def: $vgpr1_vgpr2
	s_or_b32 s45, s0, vcc_lo
	s_and_b32 s0, s44, exec_lo
.LBB25_6242:
	s_and_not1_saveexec_b32 s43, s43
	s_cbranch_execz .LBB25_6246
; %bb.6243:
	s_mov_b32 s47, -1
	s_mov_b32 s46, s0
	s_mov_b32 s44, exec_lo
	v_cmpx_eq_u16_e32 29, v3
	s_cbranch_execz .LBB25_6245
; %bb.6244:
	v_trunc_f32_e32 v3, v97
	s_xor_b32 s47, exec_lo, -1
	s_or_b32 s46, s0, exec_lo
	s_delay_alu instid0(VALU_DEP_1) | instskip(NEXT) | instid1(VALU_DEP_1)
	v_mul_f32_e32 v4, 0x2f800000, v3
	v_floor_f32_e32 v4, v4
	s_delay_alu instid0(VALU_DEP_1) | instskip(SKIP_1) | instid1(VALU_DEP_2)
	v_fmamk_f32 v3, v4, 0xcf800000, v3
	v_cvt_u32_f32_e32 v4, v4
	v_cvt_u32_f32_e32 v3, v3
	flat_store_b64 v[1:2], v[3:4]
.LBB25_6245:
	s_or_b32 exec_lo, exec_lo, s44
	s_delay_alu instid0(SALU_CYCLE_1)
	s_and_not1_b32 vcc_lo, s45, exec_lo
	s_and_b32 s44, s47, exec_lo
	s_and_not1_b32 s0, s0, exec_lo
	s_and_b32 s46, s46, exec_lo
	s_or_b32 s45, vcc_lo, s44
	s_or_b32 s0, s0, s46
.LBB25_6246:
	s_or_b32 exec_lo, exec_lo, s43
	s_delay_alu instid0(SALU_CYCLE_1)
	s_and_not1_b32 vcc_lo, s34, exec_lo
	s_and_b32 s43, s45, exec_lo
	s_and_b32 s0, s0, exec_lo
	s_or_b32 s43, vcc_lo, s43
                                        ; implicit-def: $vgpr1_vgpr2
                                        ; implicit-def: $vgpr3
                                        ; implicit-def: $vgpr97
.LBB25_6247:
	s_and_not1_saveexec_b32 s41, s41
	s_cbranch_execz .LBB25_6263
; %bb.6248:
	s_mov_b32 s44, exec_lo
	v_cmpx_lt_i16_e32 26, v3
	s_xor_b32 s44, exec_lo, s44
	s_cbranch_execz .LBB25_6254
; %bb.6249:
	v_cmp_lt_i16_e32 vcc_lo, 27, v3
	s_and_saveexec_b32 s45, vcc_lo
	s_delay_alu instid0(SALU_CYCLE_1)
	s_xor_b32 vcc_lo, exec_lo, s45
	s_cbranch_execz .LBB25_6251
; %bb.6250:
	v_cvt_u32_f32_e32 v3, v97
                                        ; implicit-def: $vgpr97
	flat_store_b32 v[1:2], v3
                                        ; implicit-def: $vgpr1_vgpr2
.LBB25_6251:
	s_and_not1_saveexec_b32 vcc_lo, vcc_lo
	s_cbranch_execz .LBB25_6253
; %bb.6252:
	v_cvt_u32_f32_e32 v3, v97
	flat_store_b16 v[1:2], v3
.LBB25_6253:
	s_or_b32 exec_lo, exec_lo, vcc_lo
                                        ; implicit-def: $vgpr1_vgpr2
                                        ; implicit-def: $vgpr97
.LBB25_6254:
	s_and_not1_saveexec_b32 s44, s44
	s_cbranch_execz .LBB25_6262
; %bb.6255:
	v_and_b32_e32 v3, 0x7fffffff, v97
	v_mov_b32_e32 v4, 0x80
	s_mov_b32 s45, exec_lo
	s_delay_alu instid0(VALU_DEP_2)
	v_cmpx_gt_u32_e32 0x43800000, v3
	s_cbranch_execz .LBB25_6261
; %bb.6256:
	v_cmp_lt_u32_e32 vcc_lo, 0x3bffffff, v3
	s_mov_b32 s46, 0
                                        ; implicit-def: $vgpr3
	s_and_saveexec_b32 s47, vcc_lo
	s_delay_alu instid0(SALU_CYCLE_1)
	s_xor_b32 vcc_lo, exec_lo, s47
	s_cbranch_execnz .LBB25_6982
; %bb.6257:
	s_or_saveexec_b32 s47, vcc_lo
                                        ; implicit-def: $vcc_lo
	s_delay_alu instid0(SALU_CYCLE_1)
	s_xor_b32 exec_lo, exec_lo, s47
	s_cbranch_execnz .LBB25_6983
.LBB25_6258:
	s_or_b32 exec_lo, exec_lo, s47
	v_mov_b32_e32 v4, vcc_lo
	s_and_saveexec_b32 vcc_lo, s46
.LBB25_6259:
	v_lshrrev_b32_e32 v4, 24, v97
	s_delay_alu instid0(VALU_DEP_1)
	v_and_or_b32 v4, 0x80, v4, v3
.LBB25_6260:
	s_or_b32 exec_lo, exec_lo, vcc_lo
.LBB25_6261:
	s_delay_alu instid0(SALU_CYCLE_1)
	s_or_b32 exec_lo, exec_lo, s45
	flat_store_b8 v[1:2], v4
.LBB25_6262:
	s_or_b32 exec_lo, exec_lo, s44
	s_delay_alu instid0(SALU_CYCLE_1)
	s_or_b32 s0, s0, exec_lo
.LBB25_6263:
	s_or_b32 exec_lo, exec_lo, s41
	s_delay_alu instid0(SALU_CYCLE_1)
	s_and_not1_b32 vcc_lo, s34, exec_lo
	s_and_b32 s41, s43, exec_lo
	s_and_b32 s0, s0, exec_lo
	s_or_b32 s41, vcc_lo, s41
                                        ; implicit-def: $vgpr3
                                        ; implicit-def: $vgpr97
                                        ; implicit-def: $vgpr1_vgpr2
.LBB25_6264:
	s_and_not1_saveexec_b32 s42, s42
	s_cbranch_execz .LBB25_6308
; %bb.6265:
	s_mov_b32 s44, s0
	s_mov_b32 s43, exec_lo
	v_cmpx_lt_i16_e32 22, v3
	s_xor_b32 s43, exec_lo, s43
	s_cbranch_execz .LBB25_6297
; %bb.6266:
	s_mov_b32 s44, exec_lo
	v_cmpx_lt_i16_e32 23, v3
	s_xor_b32 s44, exec_lo, s44
	s_cbranch_execz .LBB25_6286
; %bb.6267:
	;; [unrolled: 5-line block ×3, first 2 shown]
	v_and_b32_e32 v3, 0x7fffffff, v97
	v_mov_b32_e32 v4, 0x80
	s_mov_b32 s46, exec_lo
	s_delay_alu instid0(VALU_DEP_2)
	v_cmpx_gt_u32_e32 0x47800000, v3
	s_cbranch_execz .LBB25_6274
; %bb.6269:
	v_cmp_lt_u32_e32 vcc_lo, 0x37ffffff, v3
	s_mov_b32 s47, 0
                                        ; implicit-def: $vgpr3
	s_and_saveexec_b32 s48, vcc_lo
	s_delay_alu instid0(SALU_CYCLE_1)
	s_xor_b32 vcc_lo, exec_lo, s48
	s_cbranch_execnz .LBB25_7106
; %bb.6270:
	s_or_saveexec_b32 s48, vcc_lo
                                        ; implicit-def: $vcc_lo
	s_delay_alu instid0(SALU_CYCLE_1)
	s_xor_b32 exec_lo, exec_lo, s48
	s_cbranch_execnz .LBB25_7107
.LBB25_6271:
	s_or_b32 exec_lo, exec_lo, s48
	v_mov_b32_e32 v4, vcc_lo
	s_and_saveexec_b32 vcc_lo, s47
.LBB25_6272:
	v_lshrrev_b32_e32 v4, 24, v97
	s_delay_alu instid0(VALU_DEP_1)
	v_and_or_b32 v4, 0x80, v4, v3
.LBB25_6273:
	s_or_b32 exec_lo, exec_lo, vcc_lo
.LBB25_6274:
	s_delay_alu instid0(SALU_CYCLE_1)
	s_or_b32 exec_lo, exec_lo, s46
	flat_store_b8 v[1:2], v4
                                        ; implicit-def: $vgpr97
                                        ; implicit-def: $vgpr1_vgpr2
.LBB25_6275:
	s_and_not1_saveexec_b32 s45, s45
	s_cbranch_execz .LBB25_6285
; %bb.6276:
	v_and_b32_e32 v4, 0x7fffffff, v97
	s_mov_b32 s46, exec_lo
                                        ; implicit-def: $vgpr3
	s_delay_alu instid0(VALU_DEP_1)
	v_cmpx_gt_u32_e32 0x43f00000, v4
	s_xor_b32 s46, exec_lo, s46
	s_cbranch_execz .LBB25_6282
; %bb.6277:
	s_mov_b32 s47, exec_lo
                                        ; implicit-def: $vgpr3
	v_cmpx_lt_u32_e32 0x3c7fffff, v4
	s_xor_b32 s47, exec_lo, s47
; %bb.6278:
	v_bfe_u32 v3, v97, 20, 1
	s_delay_alu instid0(VALU_DEP_1) | instskip(NEXT) | instid1(VALU_DEP_1)
	v_add3_u32 v3, v97, v3, 0x407ffff
	v_and_b32_e32 v4, 0xff00000, v3
	v_lshrrev_b32_e32 v3, 20, v3
	s_delay_alu instid0(VALU_DEP_2) | instskip(NEXT) | instid1(VALU_DEP_2)
	v_cmp_ne_u32_e32 vcc_lo, 0x7f00000, v4
	v_cndmask_b32_e32 v3, 0x7e, v3, vcc_lo
; %bb.6279:
	s_and_not1_saveexec_b32 vcc_lo, s47
; %bb.6280:
	v_add_f32_e64 v3, 0x46800000, |v97|
; %bb.6281:
	s_or_b32 exec_lo, exec_lo, vcc_lo
                                        ; implicit-def: $vgpr4
.LBB25_6282:
	s_and_not1_saveexec_b32 s46, s46
; %bb.6283:
	v_mov_b32_e32 v3, 0x7f
	v_cmp_lt_u32_e32 vcc_lo, 0x7f800000, v4
	s_delay_alu instid0(VALU_DEP_2)
	v_cndmask_b32_e32 v3, 0x7e, v3, vcc_lo
; %bb.6284:
	s_or_b32 exec_lo, exec_lo, s46
	v_lshrrev_b32_e32 v4, 24, v97
	s_delay_alu instid0(VALU_DEP_1)
	v_and_or_b32 v3, 0x80, v4, v3
	flat_store_b8 v[1:2], v3
.LBB25_6285:
	s_or_b32 exec_lo, exec_lo, s45
                                        ; implicit-def: $vgpr97
                                        ; implicit-def: $vgpr1_vgpr2
.LBB25_6286:
	s_and_not1_saveexec_b32 s44, s44
	s_cbranch_execz .LBB25_6296
; %bb.6287:
	v_and_b32_e32 v4, 0x7fffffff, v97
	s_mov_b32 s45, exec_lo
                                        ; implicit-def: $vgpr3
	s_delay_alu instid0(VALU_DEP_1)
	v_cmpx_gt_u32_e32 0x47800000, v4
	s_xor_b32 s45, exec_lo, s45
	s_cbranch_execz .LBB25_6293
; %bb.6288:
	v_cmp_lt_u32_e32 vcc_lo, 0x387fffff, v4
                                        ; implicit-def: $vgpr3
	s_and_saveexec_b32 s46, vcc_lo
	s_delay_alu instid0(SALU_CYCLE_1)
	s_xor_b32 vcc_lo, exec_lo, s46
; %bb.6289:
	v_bfe_u32 v3, v97, 21, 1
	s_delay_alu instid0(VALU_DEP_1) | instskip(NEXT) | instid1(VALU_DEP_1)
	v_add3_u32 v3, v97, v3, 0x80fffff
	v_lshrrev_b32_e32 v3, 21, v3
; %bb.6290:
	s_and_not1_saveexec_b32 vcc_lo, vcc_lo
; %bb.6291:
	v_add_f32_e64 v3, 0x43000000, |v97|
; %bb.6292:
	s_or_b32 exec_lo, exec_lo, vcc_lo
                                        ; implicit-def: $vgpr4
.LBB25_6293:
	s_and_not1_saveexec_b32 s45, s45
; %bb.6294:
	v_mov_b32_e32 v3, 0x7f
	v_cmp_lt_u32_e32 vcc_lo, 0x7f800000, v4
	s_delay_alu instid0(VALU_DEP_2)
	v_cndmask_b32_e32 v3, 0x7c, v3, vcc_lo
; %bb.6295:
	s_or_b32 exec_lo, exec_lo, s45
	v_lshrrev_b32_e32 v4, 24, v97
	s_delay_alu instid0(VALU_DEP_1)
	v_and_or_b32 v3, 0x80, v4, v3
	flat_store_b8 v[1:2], v3
.LBB25_6296:
	s_or_b32 exec_lo, exec_lo, s44
	s_delay_alu instid0(SALU_CYCLE_1)
	s_or_b32 s44, s0, exec_lo
                                        ; implicit-def: $vgpr3
                                        ; implicit-def: $vgpr97
                                        ; implicit-def: $vgpr1_vgpr2
.LBB25_6297:
	s_or_saveexec_b32 s43, s43
	s_mov_b32 vcc_lo, s41
	s_xor_b32 exec_lo, exec_lo, s43
	s_cbranch_execz .LBB25_6307
; %bb.6298:
	s_mov_b32 s45, s44
	s_mov_b32 s46, s41
	s_mov_b32 s47, exec_lo
	v_cmpx_lt_i16_e32 14, v3
	s_xor_b32 s47, exec_lo, s47
	s_cbranch_execz .LBB25_6302
; %bb.6299:
	s_mov_b32 s48, -1
	s_mov_b32 s45, s44
	s_mov_b32 s46, exec_lo
	v_cmpx_eq_u16_e32 15, v3
	s_cbranch_execz .LBB25_6301
; %bb.6300:
	v_bfe_u32 v3, v97, 16, 1
	v_cmp_o_f32_e32 vcc_lo, v97, v97
	s_xor_b32 s48, exec_lo, -1
	s_or_b32 s45, s44, exec_lo
	s_delay_alu instid0(VALU_DEP_2) | instskip(NEXT) | instid1(VALU_DEP_1)
	v_add3_u32 v3, v97, v3, 0x7fff
	v_lshrrev_b32_e32 v3, 16, v3
	s_delay_alu instid0(VALU_DEP_1)
	v_cndmask_b32_e32 v3, 0x7fc0, v3, vcc_lo
	flat_store_b16 v[1:2], v3
.LBB25_6301:
	s_or_b32 exec_lo, exec_lo, s46
	s_delay_alu instid0(SALU_CYCLE_1)
	s_and_not1_b32 vcc_lo, s41, exec_lo
	s_and_b32 s46, s48, exec_lo
	s_and_not1_b32 s48, s44, exec_lo
	s_and_b32 s45, s45, exec_lo
	s_or_b32 s46, vcc_lo, s46
	s_or_b32 s45, s48, s45
                                        ; implicit-def: $vgpr3
                                        ; implicit-def: $vgpr97
                                        ; implicit-def: $vgpr1_vgpr2
.LBB25_6302:
	s_and_not1_saveexec_b32 s47, s47
	s_cbranch_execz .LBB25_6306
; %bb.6303:
	s_mov_b32 s49, -1
	s_mov_b32 s48, s45
	s_mov_b32 s50, exec_lo
	v_cmpx_eq_u16_e32 11, v3
	s_cbranch_execz .LBB25_6305
; %bb.6304:
	v_cmp_neq_f32_e32 vcc_lo, 0, v97
	s_xor_b32 s49, exec_lo, -1
	s_or_b32 s48, s45, exec_lo
	v_cndmask_b32_e64 v3, 0, 1, vcc_lo
	flat_store_b8 v[1:2], v3
.LBB25_6305:
	s_or_b32 exec_lo, exec_lo, s50
	s_delay_alu instid0(SALU_CYCLE_1)
	s_and_not1_b32 vcc_lo, s46, exec_lo
	s_and_b32 s46, s49, exec_lo
	s_and_not1_b32 s45, s45, exec_lo
	s_and_b32 s48, s48, exec_lo
	s_or_b32 s46, vcc_lo, s46
	s_or_b32 s45, s45, s48
.LBB25_6306:
	s_or_b32 exec_lo, exec_lo, s47
	s_delay_alu instid0(SALU_CYCLE_1)
	s_and_not1_b32 vcc_lo, s41, exec_lo
	s_and_b32 s46, s46, exec_lo
	s_and_not1_b32 s44, s44, exec_lo
	s_and_b32 s45, s45, exec_lo
	s_or_b32 vcc_lo, vcc_lo, s46
	s_or_b32 s44, s44, s45
.LBB25_6307:
	s_or_b32 exec_lo, exec_lo, s43
	s_delay_alu instid0(SALU_CYCLE_1)
	s_and_not1_b32 s41, s41, exec_lo
	s_and_b32 vcc_lo, vcc_lo, exec_lo
	s_and_not1_b32 s0, s0, exec_lo
	s_and_b32 s43, s44, exec_lo
	s_or_b32 s41, s41, vcc_lo
	s_or_b32 s0, s0, s43
.LBB25_6308:
	s_or_b32 exec_lo, exec_lo, s42
	s_delay_alu instid0(SALU_CYCLE_1)
	s_and_not1_b32 vcc_lo, s34, exec_lo
	s_and_b32 s41, s41, exec_lo
	s_and_b32 s0, s0, exec_lo
	s_or_b32 s41, vcc_lo, s41
                                        ; implicit-def: $vgpr3
                                        ; implicit-def: $vgpr97
                                        ; implicit-def: $vgpr1_vgpr2
	s_and_not1_saveexec_b32 s36, s36
	s_cbranch_execz .LBB25_3958
.LBB25_6309:
	s_mov_b32 s42, exec_lo
	v_cmpx_lt_i16_e32 4, v3
	s_xor_b32 s42, exec_lo, s42
	s_cbranch_execz .LBB25_6331
; %bb.6310:
	s_mov_b32 s43, exec_lo
	v_cmpx_lt_i16_e32 7, v3
	s_xor_b32 s43, exec_lo, s43
	s_cbranch_execz .LBB25_6320
; %bb.6311:
	;; [unrolled: 5-line block ×3, first 2 shown]
	v_cmp_lt_i16_e32 vcc_lo, 9, v3
	s_and_saveexec_b32 s45, vcc_lo
	s_delay_alu instid0(SALU_CYCLE_1)
	s_xor_b32 vcc_lo, exec_lo, s45
	s_cbranch_execz .LBB25_6314
; %bb.6313:
	v_cvt_f64_f32_e32 v[3:4], v97
	v_mov_b32_e32 v5, 0
                                        ; implicit-def: $vgpr97
	s_delay_alu instid0(VALU_DEP_1)
	v_mov_b32_e32 v6, v5
	flat_store_b128 v[1:2], v[3:6]
                                        ; implicit-def: $vgpr1_vgpr2
.LBB25_6314:
	s_and_not1_saveexec_b32 vcc_lo, vcc_lo
	s_cbranch_execz .LBB25_6316
; %bb.6315:
	v_mov_b32_e32 v98, 0
	flat_store_b64 v[1:2], v[97:98]
.LBB25_6316:
	s_or_b32 exec_lo, exec_lo, vcc_lo
                                        ; implicit-def: $vgpr97
                                        ; implicit-def: $vgpr1_vgpr2
.LBB25_6317:
	s_and_not1_saveexec_b32 vcc_lo, s44
	s_cbranch_execz .LBB25_6319
; %bb.6318:
	v_cvt_f16_f32_e32 v3, v97
	s_delay_alu instid0(VALU_DEP_1)
	v_and_b32_e32 v3, 0xffff, v3
	flat_store_b32 v[1:2], v3
.LBB25_6319:
	s_or_b32 exec_lo, exec_lo, vcc_lo
                                        ; implicit-def: $vgpr97
                                        ; implicit-def: $vgpr1_vgpr2
                                        ; implicit-def: $vgpr3
.LBB25_6320:
	s_and_not1_saveexec_b32 s43, s43
	s_cbranch_execz .LBB25_6330
; %bb.6321:
	s_mov_b32 s44, exec_lo
	v_cmpx_lt_i16_e32 5, v3
	s_xor_b32 s44, exec_lo, s44
	s_cbranch_execz .LBB25_6327
; %bb.6322:
	v_cmp_lt_i16_e32 vcc_lo, 6, v3
	s_and_saveexec_b32 s45, vcc_lo
	s_delay_alu instid0(SALU_CYCLE_1)
	s_xor_b32 vcc_lo, exec_lo, s45
	s_cbranch_execz .LBB25_6324
; %bb.6323:
	v_cvt_f64_f32_e32 v[3:4], v97
                                        ; implicit-def: $vgpr97
	flat_store_b64 v[1:2], v[3:4]
                                        ; implicit-def: $vgpr1_vgpr2
.LBB25_6324:
	s_and_not1_saveexec_b32 vcc_lo, vcc_lo
	s_cbranch_execz .LBB25_6326
; %bb.6325:
	flat_store_b32 v[1:2], v97
.LBB25_6326:
	s_or_b32 exec_lo, exec_lo, vcc_lo
                                        ; implicit-def: $vgpr97
                                        ; implicit-def: $vgpr1_vgpr2
.LBB25_6327:
	s_and_not1_saveexec_b32 vcc_lo, s44
	s_cbranch_execz .LBB25_6329
; %bb.6328:
	v_cvt_f16_f32_e32 v3, v97
	flat_store_b16 v[1:2], v3
.LBB25_6329:
	s_or_b32 exec_lo, exec_lo, vcc_lo
.LBB25_6330:
	s_delay_alu instid0(SALU_CYCLE_1)
	s_or_b32 exec_lo, exec_lo, s43
                                        ; implicit-def: $vgpr3
                                        ; implicit-def: $vgpr97
                                        ; implicit-def: $vgpr1_vgpr2
.LBB25_6331:
	s_and_not1_saveexec_b32 s42, s42
	s_cbranch_execz .LBB25_6349
; %bb.6332:
	s_mov_b32 s43, exec_lo
	v_cmpx_lt_i16_e32 1, v3
	s_xor_b32 s43, exec_lo, s43
	s_cbranch_execz .LBB25_6342
; %bb.6333:
	s_mov_b32 s44, exec_lo
	v_cmpx_lt_i16_e32 2, v3
	s_xor_b32 s44, exec_lo, s44
	;; [unrolled: 5-line block ×3, first 2 shown]
	s_cbranch_execz .LBB25_6336
; %bb.6335:
	v_trunc_f32_e32 v3, v97
                                        ; implicit-def: $vgpr97
	s_delay_alu instid0(VALU_DEP_1) | instskip(SKIP_1) | instid1(VALU_DEP_2)
	v_mul_f32_e64 v4, 0x2f800000, |v3|
	v_ashrrev_i32_e32 v6, 31, v3
	v_floor_f32_e32 v4, v4
	s_delay_alu instid0(VALU_DEP_1) | instskip(SKIP_1) | instid1(VALU_DEP_2)
	v_fma_f32 v5, 0xcf800000, v4, |v3|
	v_cvt_u32_f32_e32 v4, v4
	v_cvt_u32_f32_e32 v3, v5
	s_delay_alu instid0(VALU_DEP_2) | instskip(NEXT) | instid1(VALU_DEP_2)
	v_xor_b32_e32 v4, v4, v6
	v_xor_b32_e32 v3, v3, v6
	s_delay_alu instid0(VALU_DEP_1) | instskip(NEXT) | instid1(VALU_DEP_3)
	v_sub_co_u32 v3, vcc_lo, v3, v6
	v_sub_co_ci_u32_e32 v4, vcc_lo, v4, v6, vcc_lo
	flat_store_b64 v[1:2], v[3:4]
                                        ; implicit-def: $vgpr1_vgpr2
.LBB25_6336:
	s_and_not1_saveexec_b32 vcc_lo, s45
	s_cbranch_execz .LBB25_6338
; %bb.6337:
	v_cvt_i32_f32_e32 v3, v97
	flat_store_b32 v[1:2], v3
.LBB25_6338:
	s_or_b32 exec_lo, exec_lo, vcc_lo
                                        ; implicit-def: $vgpr97
                                        ; implicit-def: $vgpr1_vgpr2
.LBB25_6339:
	s_and_not1_saveexec_b32 vcc_lo, s44
	s_cbranch_execz .LBB25_6341
; %bb.6340:
	v_cvt_i32_f32_e32 v3, v97
	flat_store_b16 v[1:2], v3
.LBB25_6341:
	s_or_b32 exec_lo, exec_lo, vcc_lo
                                        ; implicit-def: $vgpr97
                                        ; implicit-def: $vgpr1_vgpr2
                                        ; implicit-def: $vgpr3
.LBB25_6342:
	s_and_not1_saveexec_b32 s43, s43
	s_cbranch_execz .LBB25_6348
; %bb.6343:
	v_cmp_lt_i16_e32 vcc_lo, 0, v3
	s_and_saveexec_b32 s44, vcc_lo
	s_delay_alu instid0(SALU_CYCLE_1)
	s_xor_b32 vcc_lo, exec_lo, s44
	s_cbranch_execz .LBB25_6345
; %bb.6344:
	v_cvt_i32_f32_e32 v3, v97
                                        ; implicit-def: $vgpr97
	flat_store_b8 v[1:2], v3
                                        ; implicit-def: $vgpr1_vgpr2
.LBB25_6345:
	s_and_not1_saveexec_b32 vcc_lo, vcc_lo
	s_cbranch_execz .LBB25_6347
; %bb.6346:
	v_trunc_f32_e32 v3, v97
	s_delay_alu instid0(VALU_DEP_1) | instskip(NEXT) | instid1(VALU_DEP_1)
	v_mul_f32_e64 v4, 0x2f800000, |v3|
	v_floor_f32_e32 v4, v4
	s_delay_alu instid0(VALU_DEP_1) | instskip(SKIP_1) | instid1(VALU_DEP_2)
	v_fma_f32 v4, 0xcf800000, v4, |v3|
	v_ashrrev_i32_e32 v3, 31, v3
	v_cvt_u32_f32_e32 v4, v4
	s_delay_alu instid0(VALU_DEP_1) | instskip(NEXT) | instid1(VALU_DEP_1)
	v_xor_b32_e32 v4, v4, v3
	v_sub_nc_u32_e32 v3, v4, v3
	flat_store_b8 v[1:2], v3
.LBB25_6347:
	s_or_b32 exec_lo, exec_lo, vcc_lo
.LBB25_6348:
	s_delay_alu instid0(SALU_CYCLE_1)
	s_or_b32 exec_lo, exec_lo, s43
.LBB25_6349:
	s_delay_alu instid0(SALU_CYCLE_1) | instskip(NEXT) | instid1(SALU_CYCLE_1)
	s_or_b32 exec_lo, exec_lo, s42
	s_or_b32 s0, s0, exec_lo
	s_or_b32 exec_lo, exec_lo, s36
	s_mov_b32 vcc_lo, 0
	s_and_saveexec_b32 s36, s0
	s_cbranch_execnz .LBB25_3959
	s_branch .LBB25_3960
.LBB25_6350:
	v_bfe_u32 v3, v112, 21, 1
	s_mov_b32 s30, exec_lo
	s_delay_alu instid0(VALU_DEP_1) | instskip(NEXT) | instid1(VALU_DEP_1)
	v_add3_u32 v3, v112, v3, 0x88fffff
	v_lshrrev_b32_e32 v3, 21, v3
	s_or_saveexec_b32 s31, vcc_lo
                                        ; implicit-def: $vcc_lo
	s_delay_alu instid0(SALU_CYCLE_1)
	s_xor_b32 exec_lo, exec_lo, s31
	s_cbranch_execz .LBB25_5515
.LBB25_6351:
	v_add_f32_e64 v3, 0x42800000, |v112|
	s_and_not1_b32 s30, s30, exec_lo
	s_delay_alu instid0(VALU_DEP_1) | instskip(NEXT) | instid1(VALU_DEP_1)
	v_and_b32_e32 v3, 0xff, v3
	v_cmp_ne_u32_e32 vcc_lo, 0, v3
	s_and_b32 s34, vcc_lo, exec_lo
	s_mov_b32 vcc_lo, 0
	s_or_b32 s30, s30, s34
	s_or_b32 exec_lo, exec_lo, s31
	v_mov_b32_e32 v4, vcc_lo
	s_and_saveexec_b32 vcc_lo, s30
	s_cbranch_execnz .LBB25_5516
	s_branch .LBB25_5517
.LBB25_6352:
	v_bfe_u32 v3, v102, 20, 1
	s_mov_b32 s31, exec_lo
	s_delay_alu instid0(VALU_DEP_1) | instskip(NEXT) | instid1(VALU_DEP_1)
	v_add3_u32 v3, v102, v3, 0x487ffff
	v_lshrrev_b32_e32 v3, 20, v3
	s_or_saveexec_b32 s34, vcc_lo
                                        ; implicit-def: $vcc_lo
	s_delay_alu instid0(SALU_CYCLE_1)
	s_xor_b32 exec_lo, exec_lo, s34
	s_cbranch_execz .LBB25_5628
.LBB25_6353:
	v_add_f32_e64 v3, 0x46000000, |v102|
	s_and_not1_b32 s31, s31, exec_lo
	s_delay_alu instid0(VALU_DEP_1) | instskip(NEXT) | instid1(VALU_DEP_1)
	v_and_b32_e32 v3, 0xff, v3
	v_cmp_ne_u32_e32 vcc_lo, 0, v3
	s_and_b32 s35, vcc_lo, exec_lo
	s_mov_b32 vcc_lo, 0
	s_or_b32 s31, s31, s35
	s_or_b32 exec_lo, exec_lo, s34
	v_mov_b32_e32 v4, vcc_lo
	s_and_saveexec_b32 vcc_lo, s31
	s_cbranch_execnz .LBB25_5629
	s_branch .LBB25_5630
.LBB25_6354:
	s_mov_b32 s43, s36
	s_mov_b32 s44, exec_lo
	v_cmpx_lt_i16_e32 25, v3
	s_xor_b32 s44, exec_lo, s44
	s_cbranch_execz .LBB25_6390
; %bb.6355:
	s_mov_b32 s45, s36
	s_mov_b32 s43, exec_lo
	v_cmpx_lt_i16_e32 28, v3
	s_xor_b32 s43, exec_lo, s43
	s_cbranch_execz .LBB25_6373
; %bb.6356:
	;; [unrolled: 6-line block ×3, first 2 shown]
	s_mov_b32 s46, 0
	s_mov_b32 s47, s36
	s_mov_b32 s0, exec_lo
	v_cmpx_lt_i16_e32 45, v3
	s_xor_b32 s0, exec_lo, s0
	s_cbranch_execz .LBB25_6361
; %bb.6358:
	s_mov_b32 s48, -1
	s_mov_b32 s47, exec_lo
	v_cmpx_eq_u16_e32 46, v3
	s_cbranch_execz .LBB25_6360
; %bb.6359:
	v_bfe_u32 v3, v96, 16, 1
	v_cmp_o_f32_e32 vcc_lo, v96, v96
	s_mov_b32 s46, exec_lo
	s_xor_b32 s48, exec_lo, -1
	s_delay_alu instid0(VALU_DEP_2) | instskip(NEXT) | instid1(VALU_DEP_1)
	v_add3_u32 v3, v96, v3, 0x7fff
	v_lshrrev_b32_e32 v3, 16, v3
	s_delay_alu instid0(VALU_DEP_1)
	v_cndmask_b32_e32 v3, 0x7fc0, v3, vcc_lo
	flat_store_b32 v[1:2], v3
.LBB25_6360:
	s_or_b32 exec_lo, exec_lo, s47
	s_delay_alu instid0(SALU_CYCLE_1)
	s_and_not1_b32 vcc_lo, s36, exec_lo
	s_and_b32 s47, s48, exec_lo
	s_and_b32 s46, s46, exec_lo
	s_or_b32 s47, vcc_lo, s47
                                        ; implicit-def: $vgpr3
                                        ; implicit-def: $vgpr1_vgpr2
                                        ; implicit-def: $vgpr96
.LBB25_6361:
	s_and_not1_saveexec_b32 s48, s0
	s_cbranch_execz .LBB25_6367
; %bb.6362:
	s_mov_b32 s50, -1
	s_mov_b32 s0, s46
	s_mov_b32 s49, exec_lo
	v_cmpx_eq_u16_e32 44, v3
	s_cbranch_execz .LBB25_6366
; %bb.6363:
	v_bfe_u32 v4, v96, 23, 8
	v_mov_b32_e32 v3, 0xff
	s_mov_b32 s50, exec_lo
	s_delay_alu instid0(VALU_DEP_2)
	v_cmpx_ne_u32_e32 0xff, v4
; %bb.6364:
	v_and_b32_e32 v3, 0x400000, v96
	v_and_or_b32 v4, 0x3fffff, v96, v4
	s_delay_alu instid0(VALU_DEP_2) | instskip(NEXT) | instid1(VALU_DEP_2)
	v_cmp_ne_u32_e32 vcc_lo, 0, v3
	v_cmp_ne_u32_e64 s0, 0, v4
	v_lshrrev_b32_e32 v3, 23, v96
	s_delay_alu instid0(VALU_DEP_2) | instskip(NEXT) | instid1(SALU_CYCLE_1)
	s_and_b32 s0, vcc_lo, s0
	v_cndmask_b32_e64 v4, 0, 1, s0
	s_delay_alu instid0(VALU_DEP_1)
	v_add_nc_u32_e32 v3, v3, v4
; %bb.6365:
	s_or_b32 exec_lo, exec_lo, s50
	s_delay_alu instid0(SALU_CYCLE_1)
	s_xor_b32 s50, exec_lo, -1
	s_or_b32 s0, s46, exec_lo
	flat_store_b8 v[1:2], v3
.LBB25_6366:
	s_or_b32 exec_lo, exec_lo, s49
	s_delay_alu instid0(SALU_CYCLE_1)
	s_and_not1_b32 vcc_lo, s47, exec_lo
	s_and_b32 s47, s50, exec_lo
	s_and_not1_b32 s46, s46, exec_lo
	s_and_b32 s0, s0, exec_lo
	s_or_b32 s47, vcc_lo, s47
	s_or_b32 s46, s46, s0
.LBB25_6367:
	s_or_b32 exec_lo, exec_lo, s48
	s_delay_alu instid0(SALU_CYCLE_1) | instskip(SKIP_1) | instid1(SALU_CYCLE_1)
	s_and_not1_b32 s0, s36, exec_lo
	s_and_b32 vcc_lo, s47, exec_lo
                                        ; implicit-def: $vgpr3
                                        ; implicit-def: $vgpr96
                                        ; implicit-def: $vgpr1_vgpr2
	s_or_b32 s47, s0, vcc_lo
	s_and_b32 s0, s46, exec_lo
.LBB25_6368:
	s_and_not1_saveexec_b32 s45, s45
	s_cbranch_execz .LBB25_6372
; %bb.6369:
	s_mov_b32 s49, -1
	s_mov_b32 s48, s0
	s_mov_b32 s46, exec_lo
	v_cmpx_eq_u16_e32 29, v3
	s_cbranch_execz .LBB25_6371
; %bb.6370:
	v_trunc_f32_e32 v3, v96
	s_xor_b32 s49, exec_lo, -1
	s_or_b32 s48, s0, exec_lo
	s_delay_alu instid0(VALU_DEP_1) | instskip(NEXT) | instid1(VALU_DEP_1)
	v_mul_f32_e32 v4, 0x2f800000, v3
	v_floor_f32_e32 v4, v4
	s_delay_alu instid0(VALU_DEP_1) | instskip(SKIP_1) | instid1(VALU_DEP_2)
	v_fmamk_f32 v3, v4, 0xcf800000, v3
	v_cvt_u32_f32_e32 v4, v4
	v_cvt_u32_f32_e32 v3, v3
	flat_store_b64 v[1:2], v[3:4]
.LBB25_6371:
	s_or_b32 exec_lo, exec_lo, s46
	s_delay_alu instid0(SALU_CYCLE_1)
	s_and_not1_b32 vcc_lo, s47, exec_lo
	s_and_b32 s46, s49, exec_lo
	s_and_not1_b32 s0, s0, exec_lo
	s_and_b32 s48, s48, exec_lo
	s_or_b32 s47, vcc_lo, s46
	s_or_b32 s0, s0, s48
.LBB25_6372:
	s_or_b32 exec_lo, exec_lo, s45
	s_delay_alu instid0(SALU_CYCLE_1)
	s_and_not1_b32 vcc_lo, s36, exec_lo
	s_and_b32 s45, s47, exec_lo
	s_and_b32 s0, s0, exec_lo
	s_or_b32 s45, vcc_lo, s45
                                        ; implicit-def: $vgpr1_vgpr2
                                        ; implicit-def: $vgpr3
                                        ; implicit-def: $vgpr96
.LBB25_6373:
	s_and_not1_saveexec_b32 s43, s43
	s_cbranch_execz .LBB25_6389
; %bb.6374:
	s_mov_b32 s46, exec_lo
	v_cmpx_lt_i16_e32 26, v3
	s_xor_b32 s46, exec_lo, s46
	s_cbranch_execz .LBB25_6380
; %bb.6375:
	v_cmp_lt_i16_e32 vcc_lo, 27, v3
	s_and_saveexec_b32 s47, vcc_lo
	s_delay_alu instid0(SALU_CYCLE_1)
	s_xor_b32 vcc_lo, exec_lo, s47
	s_cbranch_execz .LBB25_6377
; %bb.6376:
	v_cvt_u32_f32_e32 v3, v96
                                        ; implicit-def: $vgpr96
	flat_store_b32 v[1:2], v3
                                        ; implicit-def: $vgpr1_vgpr2
.LBB25_6377:
	s_and_not1_saveexec_b32 vcc_lo, vcc_lo
	s_cbranch_execz .LBB25_6379
; %bb.6378:
	v_cvt_u32_f32_e32 v3, v96
	flat_store_b16 v[1:2], v3
.LBB25_6379:
	s_or_b32 exec_lo, exec_lo, vcc_lo
                                        ; implicit-def: $vgpr1_vgpr2
                                        ; implicit-def: $vgpr96
.LBB25_6380:
	s_and_not1_saveexec_b32 s46, s46
	s_cbranch_execz .LBB25_6388
; %bb.6381:
	v_and_b32_e32 v3, 0x7fffffff, v96
	v_mov_b32_e32 v4, 0x80
	s_mov_b32 s47, exec_lo
	s_delay_alu instid0(VALU_DEP_2)
	v_cmpx_gt_u32_e32 0x43800000, v3
	s_cbranch_execz .LBB25_6387
; %bb.6382:
	v_cmp_lt_u32_e32 vcc_lo, 0x3bffffff, v3
	s_mov_b32 s48, 0
                                        ; implicit-def: $vgpr3
	s_and_saveexec_b32 s49, vcc_lo
	s_delay_alu instid0(SALU_CYCLE_1)
	s_xor_b32 vcc_lo, exec_lo, s49
	s_cbranch_execnz .LBB25_7108
; %bb.6383:
	s_or_saveexec_b32 s49, vcc_lo
                                        ; implicit-def: $vcc_lo
	s_delay_alu instid0(SALU_CYCLE_1)
	s_xor_b32 exec_lo, exec_lo, s49
	s_cbranch_execnz .LBB25_7109
.LBB25_6384:
	s_or_b32 exec_lo, exec_lo, s49
	v_mov_b32_e32 v4, vcc_lo
	s_and_saveexec_b32 vcc_lo, s48
.LBB25_6385:
	v_lshrrev_b32_e32 v4, 24, v96
	s_delay_alu instid0(VALU_DEP_1)
	v_and_or_b32 v4, 0x80, v4, v3
.LBB25_6386:
	s_or_b32 exec_lo, exec_lo, vcc_lo
.LBB25_6387:
	s_delay_alu instid0(SALU_CYCLE_1)
	s_or_b32 exec_lo, exec_lo, s47
	flat_store_b8 v[1:2], v4
.LBB25_6388:
	s_or_b32 exec_lo, exec_lo, s46
	s_delay_alu instid0(SALU_CYCLE_1)
	s_or_b32 s0, s0, exec_lo
.LBB25_6389:
	s_or_b32 exec_lo, exec_lo, s43
	s_delay_alu instid0(SALU_CYCLE_1)
	s_and_not1_b32 vcc_lo, s36, exec_lo
	s_and_b32 s43, s45, exec_lo
	s_and_b32 s0, s0, exec_lo
	s_or_b32 s43, vcc_lo, s43
                                        ; implicit-def: $vgpr3
                                        ; implicit-def: $vgpr96
                                        ; implicit-def: $vgpr1_vgpr2
.LBB25_6390:
	s_and_not1_saveexec_b32 s44, s44
	s_cbranch_execz .LBB25_6434
; %bb.6391:
	s_mov_b32 s46, s0
	s_mov_b32 s45, exec_lo
	v_cmpx_lt_i16_e32 22, v3
	s_xor_b32 s45, exec_lo, s45
	s_cbranch_execz .LBB25_6423
; %bb.6392:
	s_mov_b32 s46, exec_lo
	v_cmpx_lt_i16_e32 23, v3
	s_xor_b32 s46, exec_lo, s46
	s_cbranch_execz .LBB25_6412
; %bb.6393:
	;; [unrolled: 5-line block ×3, first 2 shown]
	v_and_b32_e32 v3, 0x7fffffff, v96
	v_mov_b32_e32 v4, 0x80
	s_mov_b32 s48, exec_lo
	s_delay_alu instid0(VALU_DEP_2)
	v_cmpx_gt_u32_e32 0x47800000, v3
	s_cbranch_execz .LBB25_6400
; %bb.6395:
	v_cmp_lt_u32_e32 vcc_lo, 0x37ffffff, v3
	s_mov_b32 s49, 0
                                        ; implicit-def: $vgpr3
	s_and_saveexec_b32 s50, vcc_lo
	s_delay_alu instid0(SALU_CYCLE_1)
	s_xor_b32 vcc_lo, exec_lo, s50
	s_cbranch_execnz .LBB25_7232
; %bb.6396:
	s_or_saveexec_b32 s50, vcc_lo
                                        ; implicit-def: $vcc_lo
	s_delay_alu instid0(SALU_CYCLE_1)
	s_xor_b32 exec_lo, exec_lo, s50
	s_cbranch_execnz .LBB25_7233
.LBB25_6397:
	s_or_b32 exec_lo, exec_lo, s50
	v_mov_b32_e32 v4, vcc_lo
	s_and_saveexec_b32 vcc_lo, s49
.LBB25_6398:
	v_lshrrev_b32_e32 v4, 24, v96
	s_delay_alu instid0(VALU_DEP_1)
	v_and_or_b32 v4, 0x80, v4, v3
.LBB25_6399:
	s_or_b32 exec_lo, exec_lo, vcc_lo
.LBB25_6400:
	s_delay_alu instid0(SALU_CYCLE_1)
	s_or_b32 exec_lo, exec_lo, s48
	flat_store_b8 v[1:2], v4
                                        ; implicit-def: $vgpr96
                                        ; implicit-def: $vgpr1_vgpr2
.LBB25_6401:
	s_and_not1_saveexec_b32 s47, s47
	s_cbranch_execz .LBB25_6411
; %bb.6402:
	v_and_b32_e32 v4, 0x7fffffff, v96
	s_mov_b32 s48, exec_lo
                                        ; implicit-def: $vgpr3
	s_delay_alu instid0(VALU_DEP_1)
	v_cmpx_gt_u32_e32 0x43f00000, v4
	s_xor_b32 s48, exec_lo, s48
	s_cbranch_execz .LBB25_6408
; %bb.6403:
	s_mov_b32 s49, exec_lo
                                        ; implicit-def: $vgpr3
	v_cmpx_lt_u32_e32 0x3c7fffff, v4
	s_xor_b32 s49, exec_lo, s49
; %bb.6404:
	v_bfe_u32 v3, v96, 20, 1
	s_delay_alu instid0(VALU_DEP_1) | instskip(NEXT) | instid1(VALU_DEP_1)
	v_add3_u32 v3, v96, v3, 0x407ffff
	v_and_b32_e32 v4, 0xff00000, v3
	v_lshrrev_b32_e32 v3, 20, v3
	s_delay_alu instid0(VALU_DEP_2) | instskip(NEXT) | instid1(VALU_DEP_2)
	v_cmp_ne_u32_e32 vcc_lo, 0x7f00000, v4
	v_cndmask_b32_e32 v3, 0x7e, v3, vcc_lo
; %bb.6405:
	s_and_not1_saveexec_b32 vcc_lo, s49
; %bb.6406:
	v_add_f32_e64 v3, 0x46800000, |v96|
; %bb.6407:
	s_or_b32 exec_lo, exec_lo, vcc_lo
                                        ; implicit-def: $vgpr4
.LBB25_6408:
	s_and_not1_saveexec_b32 s48, s48
; %bb.6409:
	v_mov_b32_e32 v3, 0x7f
	v_cmp_lt_u32_e32 vcc_lo, 0x7f800000, v4
	s_delay_alu instid0(VALU_DEP_2)
	v_cndmask_b32_e32 v3, 0x7e, v3, vcc_lo
; %bb.6410:
	s_or_b32 exec_lo, exec_lo, s48
	v_lshrrev_b32_e32 v4, 24, v96
	s_delay_alu instid0(VALU_DEP_1)
	v_and_or_b32 v3, 0x80, v4, v3
	flat_store_b8 v[1:2], v3
.LBB25_6411:
	s_or_b32 exec_lo, exec_lo, s47
                                        ; implicit-def: $vgpr96
                                        ; implicit-def: $vgpr1_vgpr2
.LBB25_6412:
	s_and_not1_saveexec_b32 s46, s46
	s_cbranch_execz .LBB25_6422
; %bb.6413:
	v_and_b32_e32 v4, 0x7fffffff, v96
	s_mov_b32 s47, exec_lo
                                        ; implicit-def: $vgpr3
	s_delay_alu instid0(VALU_DEP_1)
	v_cmpx_gt_u32_e32 0x47800000, v4
	s_xor_b32 s47, exec_lo, s47
	s_cbranch_execz .LBB25_6419
; %bb.6414:
	v_cmp_lt_u32_e32 vcc_lo, 0x387fffff, v4
                                        ; implicit-def: $vgpr3
	s_and_saveexec_b32 s48, vcc_lo
	s_delay_alu instid0(SALU_CYCLE_1)
	s_xor_b32 vcc_lo, exec_lo, s48
; %bb.6415:
	v_bfe_u32 v3, v96, 21, 1
	s_delay_alu instid0(VALU_DEP_1) | instskip(NEXT) | instid1(VALU_DEP_1)
	v_add3_u32 v3, v96, v3, 0x80fffff
	v_lshrrev_b32_e32 v3, 21, v3
; %bb.6416:
	s_and_not1_saveexec_b32 vcc_lo, vcc_lo
; %bb.6417:
	v_add_f32_e64 v3, 0x43000000, |v96|
; %bb.6418:
	s_or_b32 exec_lo, exec_lo, vcc_lo
                                        ; implicit-def: $vgpr4
.LBB25_6419:
	s_and_not1_saveexec_b32 s47, s47
; %bb.6420:
	v_mov_b32_e32 v3, 0x7f
	v_cmp_lt_u32_e32 vcc_lo, 0x7f800000, v4
	s_delay_alu instid0(VALU_DEP_2)
	v_cndmask_b32_e32 v3, 0x7c, v3, vcc_lo
; %bb.6421:
	s_or_b32 exec_lo, exec_lo, s47
	v_lshrrev_b32_e32 v4, 24, v96
	s_delay_alu instid0(VALU_DEP_1)
	v_and_or_b32 v3, 0x80, v4, v3
	flat_store_b8 v[1:2], v3
.LBB25_6422:
	s_or_b32 exec_lo, exec_lo, s46
	s_delay_alu instid0(SALU_CYCLE_1)
	s_or_b32 s46, s0, exec_lo
                                        ; implicit-def: $vgpr3
                                        ; implicit-def: $vgpr96
                                        ; implicit-def: $vgpr1_vgpr2
.LBB25_6423:
	s_or_saveexec_b32 s45, s45
	s_mov_b32 vcc_lo, s43
	s_xor_b32 exec_lo, exec_lo, s45
	s_cbranch_execz .LBB25_6433
; %bb.6424:
	s_mov_b32 s47, s46
	s_mov_b32 s48, s43
	s_mov_b32 s49, exec_lo
	v_cmpx_lt_i16_e32 14, v3
	s_xor_b32 s49, exec_lo, s49
	s_cbranch_execz .LBB25_6428
; %bb.6425:
	s_mov_b32 s50, -1
	s_mov_b32 s47, s46
	s_mov_b32 s48, exec_lo
	v_cmpx_eq_u16_e32 15, v3
	s_cbranch_execz .LBB25_6427
; %bb.6426:
	v_bfe_u32 v3, v96, 16, 1
	v_cmp_o_f32_e32 vcc_lo, v96, v96
	s_xor_b32 s50, exec_lo, -1
	s_or_b32 s47, s46, exec_lo
	s_delay_alu instid0(VALU_DEP_2) | instskip(NEXT) | instid1(VALU_DEP_1)
	v_add3_u32 v3, v96, v3, 0x7fff
	v_lshrrev_b32_e32 v3, 16, v3
	s_delay_alu instid0(VALU_DEP_1)
	v_cndmask_b32_e32 v3, 0x7fc0, v3, vcc_lo
	flat_store_b16 v[1:2], v3
.LBB25_6427:
	s_or_b32 exec_lo, exec_lo, s48
	s_delay_alu instid0(SALU_CYCLE_1)
	s_and_not1_b32 vcc_lo, s43, exec_lo
	s_and_b32 s48, s50, exec_lo
	s_and_not1_b32 s50, s46, exec_lo
	s_and_b32 s47, s47, exec_lo
	s_or_b32 s48, vcc_lo, s48
	s_or_b32 s47, s50, s47
                                        ; implicit-def: $vgpr3
                                        ; implicit-def: $vgpr96
                                        ; implicit-def: $vgpr1_vgpr2
.LBB25_6428:
	s_and_not1_saveexec_b32 s49, s49
	s_cbranch_execz .LBB25_6432
; %bb.6429:
	s_mov_b32 s51, -1
	s_mov_b32 s50, s47
	s_mov_b32 s52, exec_lo
	v_cmpx_eq_u16_e32 11, v3
	s_cbranch_execz .LBB25_6431
; %bb.6430:
	v_cmp_neq_f32_e32 vcc_lo, 0, v96
	s_xor_b32 s51, exec_lo, -1
	s_or_b32 s50, s47, exec_lo
	v_cndmask_b32_e64 v3, 0, 1, vcc_lo
	flat_store_b8 v[1:2], v3
.LBB25_6431:
	s_or_b32 exec_lo, exec_lo, s52
	s_delay_alu instid0(SALU_CYCLE_1)
	s_and_not1_b32 vcc_lo, s48, exec_lo
	s_and_b32 s48, s51, exec_lo
	s_and_not1_b32 s47, s47, exec_lo
	s_and_b32 s50, s50, exec_lo
	s_or_b32 s48, vcc_lo, s48
	s_or_b32 s47, s47, s50
.LBB25_6432:
	s_or_b32 exec_lo, exec_lo, s49
	s_delay_alu instid0(SALU_CYCLE_1)
	s_and_not1_b32 vcc_lo, s43, exec_lo
	s_and_b32 s48, s48, exec_lo
	s_and_not1_b32 s46, s46, exec_lo
	s_and_b32 s47, s47, exec_lo
	s_or_b32 vcc_lo, vcc_lo, s48
	s_or_b32 s46, s46, s47
.LBB25_6433:
	s_or_b32 exec_lo, exec_lo, s45
	s_delay_alu instid0(SALU_CYCLE_1)
	s_and_not1_b32 s43, s43, exec_lo
	s_and_b32 vcc_lo, vcc_lo, exec_lo
	s_and_not1_b32 s0, s0, exec_lo
	s_and_b32 s45, s46, exec_lo
	s_or_b32 s43, s43, vcc_lo
	s_or_b32 s0, s0, s45
.LBB25_6434:
	s_or_b32 exec_lo, exec_lo, s44
	s_delay_alu instid0(SALU_CYCLE_1)
	s_and_not1_b32 vcc_lo, s36, exec_lo
	s_and_b32 s43, s43, exec_lo
	s_and_b32 s0, s0, exec_lo
	s_or_b32 s43, vcc_lo, s43
                                        ; implicit-def: $vgpr3
                                        ; implicit-def: $vgpr96
                                        ; implicit-def: $vgpr1_vgpr2
	s_and_not1_saveexec_b32 s41, s41
	s_cbranch_execz .LBB25_3965
.LBB25_6435:
	s_mov_b32 s44, exec_lo
	v_cmpx_lt_i16_e32 4, v3
	s_xor_b32 s44, exec_lo, s44
	s_cbranch_execz .LBB25_6457
; %bb.6436:
	s_mov_b32 s45, exec_lo
	v_cmpx_lt_i16_e32 7, v3
	s_xor_b32 s45, exec_lo, s45
	s_cbranch_execz .LBB25_6446
; %bb.6437:
	;; [unrolled: 5-line block ×3, first 2 shown]
	v_cmp_lt_i16_e32 vcc_lo, 9, v3
	s_and_saveexec_b32 s47, vcc_lo
	s_delay_alu instid0(SALU_CYCLE_1)
	s_xor_b32 vcc_lo, exec_lo, s47
	s_cbranch_execz .LBB25_6440
; %bb.6439:
	v_cvt_f64_f32_e32 v[3:4], v96
	v_mov_b32_e32 v5, 0
                                        ; implicit-def: $vgpr96
	s_delay_alu instid0(VALU_DEP_1)
	v_mov_b32_e32 v6, v5
	flat_store_b128 v[1:2], v[3:6]
                                        ; implicit-def: $vgpr1_vgpr2
.LBB25_6440:
	s_and_not1_saveexec_b32 vcc_lo, vcc_lo
	s_cbranch_execz .LBB25_6442
; %bb.6441:
	v_mov_b32_e32 v97, 0
	flat_store_b64 v[1:2], v[96:97]
.LBB25_6442:
	s_or_b32 exec_lo, exec_lo, vcc_lo
                                        ; implicit-def: $vgpr96
                                        ; implicit-def: $vgpr1_vgpr2
.LBB25_6443:
	s_and_not1_saveexec_b32 vcc_lo, s46
	s_cbranch_execz .LBB25_6445
; %bb.6444:
	v_cvt_f16_f32_e32 v3, v96
	s_delay_alu instid0(VALU_DEP_1)
	v_and_b32_e32 v3, 0xffff, v3
	flat_store_b32 v[1:2], v3
.LBB25_6445:
	s_or_b32 exec_lo, exec_lo, vcc_lo
                                        ; implicit-def: $vgpr96
                                        ; implicit-def: $vgpr1_vgpr2
                                        ; implicit-def: $vgpr3
.LBB25_6446:
	s_and_not1_saveexec_b32 s45, s45
	s_cbranch_execz .LBB25_6456
; %bb.6447:
	s_mov_b32 s46, exec_lo
	v_cmpx_lt_i16_e32 5, v3
	s_xor_b32 s46, exec_lo, s46
	s_cbranch_execz .LBB25_6453
; %bb.6448:
	v_cmp_lt_i16_e32 vcc_lo, 6, v3
	s_and_saveexec_b32 s47, vcc_lo
	s_delay_alu instid0(SALU_CYCLE_1)
	s_xor_b32 vcc_lo, exec_lo, s47
	s_cbranch_execz .LBB25_6450
; %bb.6449:
	v_cvt_f64_f32_e32 v[3:4], v96
                                        ; implicit-def: $vgpr96
	flat_store_b64 v[1:2], v[3:4]
                                        ; implicit-def: $vgpr1_vgpr2
.LBB25_6450:
	s_and_not1_saveexec_b32 vcc_lo, vcc_lo
	s_cbranch_execz .LBB25_6452
; %bb.6451:
	flat_store_b32 v[1:2], v96
.LBB25_6452:
	s_or_b32 exec_lo, exec_lo, vcc_lo
                                        ; implicit-def: $vgpr96
                                        ; implicit-def: $vgpr1_vgpr2
.LBB25_6453:
	s_and_not1_saveexec_b32 vcc_lo, s46
	s_cbranch_execz .LBB25_6455
; %bb.6454:
	v_cvt_f16_f32_e32 v3, v96
	flat_store_b16 v[1:2], v3
.LBB25_6455:
	s_or_b32 exec_lo, exec_lo, vcc_lo
.LBB25_6456:
	s_delay_alu instid0(SALU_CYCLE_1)
	s_or_b32 exec_lo, exec_lo, s45
                                        ; implicit-def: $vgpr3
                                        ; implicit-def: $vgpr96
                                        ; implicit-def: $vgpr1_vgpr2
.LBB25_6457:
	s_and_not1_saveexec_b32 s44, s44
	s_cbranch_execz .LBB25_6475
; %bb.6458:
	s_mov_b32 s45, exec_lo
	v_cmpx_lt_i16_e32 1, v3
	s_xor_b32 s45, exec_lo, s45
	s_cbranch_execz .LBB25_6468
; %bb.6459:
	s_mov_b32 s46, exec_lo
	v_cmpx_lt_i16_e32 2, v3
	s_xor_b32 s46, exec_lo, s46
	;; [unrolled: 5-line block ×3, first 2 shown]
	s_cbranch_execz .LBB25_6462
; %bb.6461:
	v_trunc_f32_e32 v3, v96
                                        ; implicit-def: $vgpr96
	s_delay_alu instid0(VALU_DEP_1) | instskip(SKIP_1) | instid1(VALU_DEP_2)
	v_mul_f32_e64 v4, 0x2f800000, |v3|
	v_ashrrev_i32_e32 v6, 31, v3
	v_floor_f32_e32 v4, v4
	s_delay_alu instid0(VALU_DEP_1) | instskip(SKIP_1) | instid1(VALU_DEP_2)
	v_fma_f32 v5, 0xcf800000, v4, |v3|
	v_cvt_u32_f32_e32 v4, v4
	v_cvt_u32_f32_e32 v3, v5
	s_delay_alu instid0(VALU_DEP_2) | instskip(NEXT) | instid1(VALU_DEP_2)
	v_xor_b32_e32 v4, v4, v6
	v_xor_b32_e32 v3, v3, v6
	s_delay_alu instid0(VALU_DEP_1) | instskip(NEXT) | instid1(VALU_DEP_3)
	v_sub_co_u32 v3, vcc_lo, v3, v6
	v_sub_co_ci_u32_e32 v4, vcc_lo, v4, v6, vcc_lo
	flat_store_b64 v[1:2], v[3:4]
                                        ; implicit-def: $vgpr1_vgpr2
.LBB25_6462:
	s_and_not1_saveexec_b32 vcc_lo, s47
	s_cbranch_execz .LBB25_6464
; %bb.6463:
	v_cvt_i32_f32_e32 v3, v96
	flat_store_b32 v[1:2], v3
.LBB25_6464:
	s_or_b32 exec_lo, exec_lo, vcc_lo
                                        ; implicit-def: $vgpr96
                                        ; implicit-def: $vgpr1_vgpr2
.LBB25_6465:
	s_and_not1_saveexec_b32 vcc_lo, s46
	s_cbranch_execz .LBB25_6467
; %bb.6466:
	v_cvt_i32_f32_e32 v3, v96
	flat_store_b16 v[1:2], v3
.LBB25_6467:
	s_or_b32 exec_lo, exec_lo, vcc_lo
                                        ; implicit-def: $vgpr96
                                        ; implicit-def: $vgpr1_vgpr2
                                        ; implicit-def: $vgpr3
.LBB25_6468:
	s_and_not1_saveexec_b32 s45, s45
	s_cbranch_execz .LBB25_6474
; %bb.6469:
	v_cmp_lt_i16_e32 vcc_lo, 0, v3
	s_and_saveexec_b32 s46, vcc_lo
	s_delay_alu instid0(SALU_CYCLE_1)
	s_xor_b32 vcc_lo, exec_lo, s46
	s_cbranch_execz .LBB25_6471
; %bb.6470:
	v_cvt_i32_f32_e32 v3, v96
                                        ; implicit-def: $vgpr96
	flat_store_b8 v[1:2], v3
                                        ; implicit-def: $vgpr1_vgpr2
.LBB25_6471:
	s_and_not1_saveexec_b32 vcc_lo, vcc_lo
	s_cbranch_execz .LBB25_6473
; %bb.6472:
	v_trunc_f32_e32 v3, v96
	s_delay_alu instid0(VALU_DEP_1) | instskip(NEXT) | instid1(VALU_DEP_1)
	v_mul_f32_e64 v4, 0x2f800000, |v3|
	v_floor_f32_e32 v4, v4
	s_delay_alu instid0(VALU_DEP_1) | instskip(SKIP_1) | instid1(VALU_DEP_2)
	v_fma_f32 v4, 0xcf800000, v4, |v3|
	v_ashrrev_i32_e32 v3, 31, v3
	v_cvt_u32_f32_e32 v4, v4
	s_delay_alu instid0(VALU_DEP_1) | instskip(NEXT) | instid1(VALU_DEP_1)
	v_xor_b32_e32 v4, v4, v3
	v_sub_nc_u32_e32 v3, v4, v3
	flat_store_b8 v[1:2], v3
.LBB25_6473:
	s_or_b32 exec_lo, exec_lo, vcc_lo
.LBB25_6474:
	s_delay_alu instid0(SALU_CYCLE_1)
	s_or_b32 exec_lo, exec_lo, s45
.LBB25_6475:
	s_delay_alu instid0(SALU_CYCLE_1) | instskip(NEXT) | instid1(SALU_CYCLE_1)
	s_or_b32 exec_lo, exec_lo, s44
	s_or_b32 s0, s0, exec_lo
	s_or_b32 exec_lo, exec_lo, s41
	s_mov_b32 vcc_lo, 0
	s_and_saveexec_b32 s41, s0
	s_cbranch_execnz .LBB25_3966
	s_branch .LBB25_3967
.LBB25_6476:
	v_bfe_u32 v3, v102, 21, 1
	s_mov_b32 s34, exec_lo
	s_delay_alu instid0(VALU_DEP_1) | instskip(NEXT) | instid1(VALU_DEP_1)
	v_add3_u32 v3, v102, v3, 0x88fffff
	v_lshrrev_b32_e32 v3, 21, v3
	s_or_saveexec_b32 s35, vcc_lo
                                        ; implicit-def: $vcc_lo
	s_delay_alu instid0(SALU_CYCLE_1)
	s_xor_b32 exec_lo, exec_lo, s35
	s_cbranch_execz .LBB25_5641
.LBB25_6477:
	v_add_f32_e64 v3, 0x42800000, |v102|
	s_and_not1_b32 s34, s34, exec_lo
	s_delay_alu instid0(VALU_DEP_1) | instskip(NEXT) | instid1(VALU_DEP_1)
	v_and_b32_e32 v3, 0xff, v3
	v_cmp_ne_u32_e32 vcc_lo, 0, v3
	s_and_b32 s36, vcc_lo, exec_lo
	s_mov_b32 vcc_lo, 0
	s_or_b32 s34, s34, s36
	s_or_b32 exec_lo, exec_lo, s35
	v_mov_b32_e32 v4, vcc_lo
	s_and_saveexec_b32 vcc_lo, s34
	s_cbranch_execnz .LBB25_5642
	s_branch .LBB25_5643
.LBB25_6478:
	v_bfe_u32 v3, v101, 20, 1
	s_mov_b32 s35, exec_lo
	s_delay_alu instid0(VALU_DEP_1) | instskip(NEXT) | instid1(VALU_DEP_1)
	v_add3_u32 v3, v101, v3, 0x487ffff
	v_lshrrev_b32_e32 v3, 20, v3
	s_or_saveexec_b32 s36, vcc_lo
                                        ; implicit-def: $vcc_lo
	s_delay_alu instid0(SALU_CYCLE_1)
	s_xor_b32 exec_lo, exec_lo, s36
	s_cbranch_execz .LBB25_5754
.LBB25_6479:
	v_add_f32_e64 v3, 0x46000000, |v101|
	s_and_not1_b32 s35, s35, exec_lo
	s_delay_alu instid0(VALU_DEP_1) | instskip(NEXT) | instid1(VALU_DEP_1)
	v_and_b32_e32 v3, 0xff, v3
	v_cmp_ne_u32_e32 vcc_lo, 0, v3
	s_and_b32 s37, vcc_lo, exec_lo
	s_mov_b32 vcc_lo, 0
	s_or_b32 s35, s35, s37
	s_or_b32 exec_lo, exec_lo, s36
	v_mov_b32_e32 v4, vcc_lo
	s_and_saveexec_b32 vcc_lo, s35
	s_cbranch_execnz .LBB25_5755
	s_branch .LBB25_5756
.LBB25_6480:
	s_mov_b32 s45, s41
	s_mov_b32 s46, exec_lo
	v_cmpx_lt_i16_e32 25, v3
	s_xor_b32 s46, exec_lo, s46
	s_cbranch_execz .LBB25_6516
; %bb.6481:
	s_mov_b32 s47, s41
	s_mov_b32 s45, exec_lo
	v_cmpx_lt_i16_e32 28, v3
	s_xor_b32 s45, exec_lo, s45
	s_cbranch_execz .LBB25_6499
; %bb.6482:
	;; [unrolled: 6-line block ×3, first 2 shown]
	s_mov_b32 s48, 0
	s_mov_b32 s49, s41
	s_mov_b32 s0, exec_lo
	v_cmpx_lt_i16_e32 45, v3
	s_xor_b32 s0, exec_lo, s0
	s_cbranch_execz .LBB25_6487
; %bb.6484:
	s_mov_b32 s50, -1
	s_mov_b32 s49, exec_lo
	v_cmpx_eq_u16_e32 46, v3
	s_cbranch_execz .LBB25_6486
; %bb.6485:
	v_bfe_u32 v3, v86, 16, 1
	v_cmp_o_f32_e32 vcc_lo, v86, v86
	s_mov_b32 s48, exec_lo
	s_xor_b32 s50, exec_lo, -1
	s_delay_alu instid0(VALU_DEP_2) | instskip(NEXT) | instid1(VALU_DEP_1)
	v_add3_u32 v3, v86, v3, 0x7fff
	v_lshrrev_b32_e32 v3, 16, v3
	s_delay_alu instid0(VALU_DEP_1)
	v_cndmask_b32_e32 v3, 0x7fc0, v3, vcc_lo
	flat_store_b32 v[1:2], v3
.LBB25_6486:
	s_or_b32 exec_lo, exec_lo, s49
	s_delay_alu instid0(SALU_CYCLE_1)
	s_and_not1_b32 vcc_lo, s41, exec_lo
	s_and_b32 s49, s50, exec_lo
	s_and_b32 s48, s48, exec_lo
	s_or_b32 s49, vcc_lo, s49
                                        ; implicit-def: $vgpr3
                                        ; implicit-def: $vgpr1_vgpr2
                                        ; implicit-def: $vgpr86
.LBB25_6487:
	s_and_not1_saveexec_b32 s50, s0
	s_cbranch_execz .LBB25_6493
; %bb.6488:
	s_mov_b32 s52, -1
	s_mov_b32 s0, s48
	s_mov_b32 s51, exec_lo
	v_cmpx_eq_u16_e32 44, v3
	s_cbranch_execz .LBB25_6492
; %bb.6489:
	v_bfe_u32 v4, v86, 23, 8
	v_mov_b32_e32 v3, 0xff
	s_mov_b32 s52, exec_lo
	s_delay_alu instid0(VALU_DEP_2)
	v_cmpx_ne_u32_e32 0xff, v4
; %bb.6490:
	v_and_b32_e32 v3, 0x400000, v86
	v_and_or_b32 v4, 0x3fffff, v86, v4
	s_delay_alu instid0(VALU_DEP_2) | instskip(NEXT) | instid1(VALU_DEP_2)
	v_cmp_ne_u32_e32 vcc_lo, 0, v3
	v_cmp_ne_u32_e64 s0, 0, v4
	v_lshrrev_b32_e32 v3, 23, v86
	s_delay_alu instid0(VALU_DEP_2) | instskip(NEXT) | instid1(SALU_CYCLE_1)
	s_and_b32 s0, vcc_lo, s0
	v_cndmask_b32_e64 v4, 0, 1, s0
	s_delay_alu instid0(VALU_DEP_1)
	v_add_nc_u32_e32 v3, v3, v4
; %bb.6491:
	s_or_b32 exec_lo, exec_lo, s52
	s_delay_alu instid0(SALU_CYCLE_1)
	s_xor_b32 s52, exec_lo, -1
	s_or_b32 s0, s48, exec_lo
	flat_store_b8 v[1:2], v3
.LBB25_6492:
	s_or_b32 exec_lo, exec_lo, s51
	s_delay_alu instid0(SALU_CYCLE_1)
	s_and_not1_b32 vcc_lo, s49, exec_lo
	s_and_b32 s49, s52, exec_lo
	s_and_not1_b32 s48, s48, exec_lo
	s_and_b32 s0, s0, exec_lo
	s_or_b32 s49, vcc_lo, s49
	s_or_b32 s48, s48, s0
.LBB25_6493:
	s_or_b32 exec_lo, exec_lo, s50
	s_delay_alu instid0(SALU_CYCLE_1) | instskip(SKIP_1) | instid1(SALU_CYCLE_1)
	s_and_not1_b32 s0, s41, exec_lo
	s_and_b32 vcc_lo, s49, exec_lo
                                        ; implicit-def: $vgpr3
                                        ; implicit-def: $vgpr86
                                        ; implicit-def: $vgpr1_vgpr2
	s_or_b32 s49, s0, vcc_lo
	s_and_b32 s0, s48, exec_lo
.LBB25_6494:
	s_and_not1_saveexec_b32 s47, s47
	s_cbranch_execz .LBB25_6498
; %bb.6495:
	s_mov_b32 s51, -1
	s_mov_b32 s50, s0
	s_mov_b32 s48, exec_lo
	v_cmpx_eq_u16_e32 29, v3
	s_cbranch_execz .LBB25_6497
; %bb.6496:
	v_trunc_f32_e32 v3, v86
	s_xor_b32 s51, exec_lo, -1
	s_or_b32 s50, s0, exec_lo
	s_delay_alu instid0(VALU_DEP_1) | instskip(NEXT) | instid1(VALU_DEP_1)
	v_mul_f32_e32 v4, 0x2f800000, v3
	v_floor_f32_e32 v4, v4
	s_delay_alu instid0(VALU_DEP_1) | instskip(SKIP_1) | instid1(VALU_DEP_2)
	v_fmamk_f32 v3, v4, 0xcf800000, v3
	v_cvt_u32_f32_e32 v4, v4
	v_cvt_u32_f32_e32 v3, v3
	flat_store_b64 v[1:2], v[3:4]
.LBB25_6497:
	s_or_b32 exec_lo, exec_lo, s48
	s_delay_alu instid0(SALU_CYCLE_1)
	s_and_not1_b32 vcc_lo, s49, exec_lo
	s_and_b32 s48, s51, exec_lo
	s_and_not1_b32 s0, s0, exec_lo
	s_and_b32 s50, s50, exec_lo
	s_or_b32 s49, vcc_lo, s48
	s_or_b32 s0, s0, s50
.LBB25_6498:
	s_or_b32 exec_lo, exec_lo, s47
	s_delay_alu instid0(SALU_CYCLE_1)
	s_and_not1_b32 vcc_lo, s41, exec_lo
	s_and_b32 s47, s49, exec_lo
	s_and_b32 s0, s0, exec_lo
	s_or_b32 s47, vcc_lo, s47
                                        ; implicit-def: $vgpr1_vgpr2
                                        ; implicit-def: $vgpr3
                                        ; implicit-def: $vgpr86
.LBB25_6499:
	s_and_not1_saveexec_b32 s45, s45
	s_cbranch_execz .LBB25_6515
; %bb.6500:
	s_mov_b32 s48, exec_lo
	v_cmpx_lt_i16_e32 26, v3
	s_xor_b32 s48, exec_lo, s48
	s_cbranch_execz .LBB25_6506
; %bb.6501:
	v_cmp_lt_i16_e32 vcc_lo, 27, v3
	v_cvt_u32_f32_e32 v3, v86
	s_and_saveexec_b32 s49, vcc_lo
	s_delay_alu instid0(SALU_CYCLE_1)
	s_xor_b32 vcc_lo, exec_lo, s49
	s_cbranch_execz .LBB25_6503
; %bb.6502:
	flat_store_b32 v[1:2], v3
                                        ; implicit-def: $vgpr1_vgpr2
                                        ; implicit-def: $vgpr3
.LBB25_6503:
	s_and_not1_saveexec_b32 vcc_lo, vcc_lo
	s_cbranch_execz .LBB25_6505
; %bb.6504:
	flat_store_b16 v[1:2], v3
.LBB25_6505:
	s_or_b32 exec_lo, exec_lo, vcc_lo
                                        ; implicit-def: $vgpr1_vgpr2
                                        ; implicit-def: $vgpr86
.LBB25_6506:
	s_and_not1_saveexec_b32 s48, s48
	s_cbranch_execz .LBB25_6514
; %bb.6507:
	v_and_b32_e32 v3, 0x7fffffff, v86
	v_mov_b32_e32 v4, 0x80
	s_mov_b32 s49, exec_lo
	s_delay_alu instid0(VALU_DEP_2)
	v_cmpx_gt_u32_e32 0x43800000, v3
	s_cbranch_execz .LBB25_6513
; %bb.6508:
	v_cmp_lt_u32_e32 vcc_lo, 0x3bffffff, v3
	s_mov_b32 s50, 0
                                        ; implicit-def: $vgpr3
	s_and_saveexec_b32 s51, vcc_lo
	s_delay_alu instid0(SALU_CYCLE_1)
	s_xor_b32 vcc_lo, exec_lo, s51
	s_cbranch_execnz .LBB25_7234
; %bb.6509:
	s_or_saveexec_b32 s51, vcc_lo
                                        ; implicit-def: $vcc_lo
	s_delay_alu instid0(SALU_CYCLE_1)
	s_xor_b32 exec_lo, exec_lo, s51
	s_cbranch_execnz .LBB25_7235
.LBB25_6510:
	s_or_b32 exec_lo, exec_lo, s51
	v_mov_b32_e32 v4, vcc_lo
	s_and_saveexec_b32 vcc_lo, s50
.LBB25_6511:
	v_lshrrev_b32_e32 v4, 24, v86
	s_delay_alu instid0(VALU_DEP_1)
	v_and_or_b32 v4, 0x80, v4, v3
.LBB25_6512:
	s_or_b32 exec_lo, exec_lo, vcc_lo
.LBB25_6513:
	s_delay_alu instid0(SALU_CYCLE_1)
	s_or_b32 exec_lo, exec_lo, s49
	flat_store_b8 v[1:2], v4
.LBB25_6514:
	s_or_b32 exec_lo, exec_lo, s48
	s_delay_alu instid0(SALU_CYCLE_1)
	s_or_b32 s0, s0, exec_lo
.LBB25_6515:
	s_or_b32 exec_lo, exec_lo, s45
	s_delay_alu instid0(SALU_CYCLE_1)
	s_and_not1_b32 vcc_lo, s41, exec_lo
	s_and_b32 s45, s47, exec_lo
	s_and_b32 s0, s0, exec_lo
	s_or_b32 s45, vcc_lo, s45
                                        ; implicit-def: $vgpr3
                                        ; implicit-def: $vgpr86
                                        ; implicit-def: $vgpr1_vgpr2
.LBB25_6516:
	s_and_not1_saveexec_b32 s46, s46
	s_cbranch_execz .LBB25_6560
; %bb.6517:
	s_mov_b32 s48, s0
	s_mov_b32 s47, exec_lo
	v_cmpx_lt_i16_e32 22, v3
	s_xor_b32 s47, exec_lo, s47
	s_cbranch_execz .LBB25_6549
; %bb.6518:
	s_mov_b32 s48, exec_lo
	v_cmpx_lt_i16_e32 23, v3
	s_xor_b32 s48, exec_lo, s48
	s_cbranch_execz .LBB25_6538
; %bb.6519:
	;; [unrolled: 5-line block ×3, first 2 shown]
	v_and_b32_e32 v3, 0x7fffffff, v86
	v_mov_b32_e32 v4, 0x80
	s_mov_b32 s50, exec_lo
	s_delay_alu instid0(VALU_DEP_2)
	v_cmpx_gt_u32_e32 0x47800000, v3
	s_cbranch_execz .LBB25_6526
; %bb.6521:
	v_cmp_lt_u32_e32 vcc_lo, 0x37ffffff, v3
	s_mov_b32 s51, 0
                                        ; implicit-def: $vgpr3
	s_and_saveexec_b32 s52, vcc_lo
	s_delay_alu instid0(SALU_CYCLE_1)
	s_xor_b32 vcc_lo, exec_lo, s52
	s_cbranch_execnz .LBB25_7358
; %bb.6522:
	s_or_saveexec_b32 s52, vcc_lo
                                        ; implicit-def: $vcc_lo
	s_delay_alu instid0(SALU_CYCLE_1)
	s_xor_b32 exec_lo, exec_lo, s52
	s_cbranch_execnz .LBB25_7359
.LBB25_6523:
	s_or_b32 exec_lo, exec_lo, s52
	v_mov_b32_e32 v4, vcc_lo
	s_and_saveexec_b32 vcc_lo, s51
.LBB25_6524:
	v_lshrrev_b32_e32 v4, 24, v86
	s_delay_alu instid0(VALU_DEP_1)
	v_and_or_b32 v4, 0x80, v4, v3
.LBB25_6525:
	s_or_b32 exec_lo, exec_lo, vcc_lo
.LBB25_6526:
	s_delay_alu instid0(SALU_CYCLE_1)
	s_or_b32 exec_lo, exec_lo, s50
	flat_store_b8 v[1:2], v4
                                        ; implicit-def: $vgpr86
                                        ; implicit-def: $vgpr1_vgpr2
.LBB25_6527:
	s_and_not1_saveexec_b32 s49, s49
	s_cbranch_execz .LBB25_6537
; %bb.6528:
	v_and_b32_e32 v4, 0x7fffffff, v86
	s_mov_b32 s50, exec_lo
                                        ; implicit-def: $vgpr3
	s_delay_alu instid0(VALU_DEP_1)
	v_cmpx_gt_u32_e32 0x43f00000, v4
	s_xor_b32 s50, exec_lo, s50
	s_cbranch_execz .LBB25_6534
; %bb.6529:
	s_mov_b32 s51, exec_lo
                                        ; implicit-def: $vgpr3
	v_cmpx_lt_u32_e32 0x3c7fffff, v4
	s_xor_b32 s51, exec_lo, s51
; %bb.6530:
	v_bfe_u32 v3, v86, 20, 1
	s_delay_alu instid0(VALU_DEP_1) | instskip(NEXT) | instid1(VALU_DEP_1)
	v_add3_u32 v3, v86, v3, 0x407ffff
	v_and_b32_e32 v4, 0xff00000, v3
	v_lshrrev_b32_e32 v3, 20, v3
	s_delay_alu instid0(VALU_DEP_2) | instskip(NEXT) | instid1(VALU_DEP_2)
	v_cmp_ne_u32_e32 vcc_lo, 0x7f00000, v4
	v_cndmask_b32_e32 v3, 0x7e, v3, vcc_lo
; %bb.6531:
	s_and_not1_saveexec_b32 vcc_lo, s51
; %bb.6532:
	v_add_f32_e64 v3, 0x46800000, |v86|
; %bb.6533:
	s_or_b32 exec_lo, exec_lo, vcc_lo
                                        ; implicit-def: $vgpr4
.LBB25_6534:
	s_and_not1_saveexec_b32 s50, s50
; %bb.6535:
	v_mov_b32_e32 v3, 0x7f
	v_cmp_lt_u32_e32 vcc_lo, 0x7f800000, v4
	s_delay_alu instid0(VALU_DEP_2)
	v_cndmask_b32_e32 v3, 0x7e, v3, vcc_lo
; %bb.6536:
	s_or_b32 exec_lo, exec_lo, s50
	v_lshrrev_b32_e32 v4, 24, v86
	s_delay_alu instid0(VALU_DEP_1)
	v_and_or_b32 v3, 0x80, v4, v3
	flat_store_b8 v[1:2], v3
.LBB25_6537:
	s_or_b32 exec_lo, exec_lo, s49
                                        ; implicit-def: $vgpr86
                                        ; implicit-def: $vgpr1_vgpr2
.LBB25_6538:
	s_and_not1_saveexec_b32 s48, s48
	s_cbranch_execz .LBB25_6548
; %bb.6539:
	v_and_b32_e32 v4, 0x7fffffff, v86
	s_mov_b32 s49, exec_lo
                                        ; implicit-def: $vgpr3
	s_delay_alu instid0(VALU_DEP_1)
	v_cmpx_gt_u32_e32 0x47800000, v4
	s_xor_b32 s49, exec_lo, s49
	s_cbranch_execz .LBB25_6545
; %bb.6540:
	v_cmp_lt_u32_e32 vcc_lo, 0x387fffff, v4
                                        ; implicit-def: $vgpr3
	s_and_saveexec_b32 s50, vcc_lo
	s_delay_alu instid0(SALU_CYCLE_1)
	s_xor_b32 vcc_lo, exec_lo, s50
; %bb.6541:
	v_bfe_u32 v3, v86, 21, 1
	s_delay_alu instid0(VALU_DEP_1) | instskip(NEXT) | instid1(VALU_DEP_1)
	v_add3_u32 v3, v86, v3, 0x80fffff
	v_lshrrev_b32_e32 v3, 21, v3
; %bb.6542:
	s_and_not1_saveexec_b32 vcc_lo, vcc_lo
; %bb.6543:
	v_add_f32_e64 v3, 0x43000000, |v86|
; %bb.6544:
	s_or_b32 exec_lo, exec_lo, vcc_lo
                                        ; implicit-def: $vgpr4
.LBB25_6545:
	s_and_not1_saveexec_b32 s49, s49
; %bb.6546:
	v_mov_b32_e32 v3, 0x7f
	v_cmp_lt_u32_e32 vcc_lo, 0x7f800000, v4
	s_delay_alu instid0(VALU_DEP_2)
	v_cndmask_b32_e32 v3, 0x7c, v3, vcc_lo
; %bb.6547:
	s_or_b32 exec_lo, exec_lo, s49
	v_lshrrev_b32_e32 v4, 24, v86
	s_delay_alu instid0(VALU_DEP_1)
	v_and_or_b32 v3, 0x80, v4, v3
	flat_store_b8 v[1:2], v3
.LBB25_6548:
	s_or_b32 exec_lo, exec_lo, s48
	s_delay_alu instid0(SALU_CYCLE_1)
	s_or_b32 s48, s0, exec_lo
                                        ; implicit-def: $vgpr3
                                        ; implicit-def: $vgpr86
                                        ; implicit-def: $vgpr1_vgpr2
.LBB25_6549:
	s_or_saveexec_b32 s47, s47
	s_mov_b32 vcc_lo, s45
	s_xor_b32 exec_lo, exec_lo, s47
	s_cbranch_execz .LBB25_6559
; %bb.6550:
	s_mov_b32 s49, s48
	s_mov_b32 s50, s45
	s_mov_b32 s51, exec_lo
	v_cmpx_lt_i16_e32 14, v3
	s_xor_b32 s51, exec_lo, s51
	s_cbranch_execz .LBB25_6554
; %bb.6551:
	s_mov_b32 s52, -1
	s_mov_b32 s49, s48
	s_mov_b32 s50, exec_lo
	v_cmpx_eq_u16_e32 15, v3
	s_cbranch_execz .LBB25_6553
; %bb.6552:
	v_bfe_u32 v3, v86, 16, 1
	v_cmp_o_f32_e32 vcc_lo, v86, v86
	s_xor_b32 s52, exec_lo, -1
	s_or_b32 s49, s48, exec_lo
	s_delay_alu instid0(VALU_DEP_2) | instskip(NEXT) | instid1(VALU_DEP_1)
	v_add3_u32 v3, v86, v3, 0x7fff
	v_lshrrev_b32_e32 v3, 16, v3
	s_delay_alu instid0(VALU_DEP_1)
	v_cndmask_b32_e32 v3, 0x7fc0, v3, vcc_lo
	flat_store_b16 v[1:2], v3
.LBB25_6553:
	s_or_b32 exec_lo, exec_lo, s50
	s_delay_alu instid0(SALU_CYCLE_1)
	s_and_not1_b32 vcc_lo, s45, exec_lo
	s_and_b32 s50, s52, exec_lo
	s_and_not1_b32 s52, s48, exec_lo
	s_and_b32 s49, s49, exec_lo
	s_or_b32 s50, vcc_lo, s50
	s_or_b32 s49, s52, s49
                                        ; implicit-def: $vgpr3
                                        ; implicit-def: $vgpr86
                                        ; implicit-def: $vgpr1_vgpr2
.LBB25_6554:
	s_and_not1_saveexec_b32 s51, s51
	s_cbranch_execz .LBB25_6558
; %bb.6555:
	s_mov_b32 s53, -1
	s_mov_b32 s52, s49
	s_mov_b32 s54, exec_lo
	v_cmpx_eq_u16_e32 11, v3
	s_cbranch_execz .LBB25_6557
; %bb.6556:
	v_cmp_neq_f32_e32 vcc_lo, 0, v86
	s_xor_b32 s53, exec_lo, -1
	s_or_b32 s52, s49, exec_lo
	v_cndmask_b32_e64 v3, 0, 1, vcc_lo
	flat_store_b8 v[1:2], v3
.LBB25_6557:
	s_or_b32 exec_lo, exec_lo, s54
	s_delay_alu instid0(SALU_CYCLE_1)
	s_and_not1_b32 vcc_lo, s50, exec_lo
	s_and_b32 s50, s53, exec_lo
	s_and_not1_b32 s49, s49, exec_lo
	s_and_b32 s52, s52, exec_lo
	s_or_b32 s50, vcc_lo, s50
	s_or_b32 s49, s49, s52
.LBB25_6558:
	s_or_b32 exec_lo, exec_lo, s51
	s_delay_alu instid0(SALU_CYCLE_1)
	s_and_not1_b32 vcc_lo, s45, exec_lo
	s_and_b32 s50, s50, exec_lo
	s_and_not1_b32 s48, s48, exec_lo
	s_and_b32 s49, s49, exec_lo
	s_or_b32 vcc_lo, vcc_lo, s50
	s_or_b32 s48, s48, s49
.LBB25_6559:
	s_or_b32 exec_lo, exec_lo, s47
	s_delay_alu instid0(SALU_CYCLE_1)
	s_and_not1_b32 s45, s45, exec_lo
	s_and_b32 vcc_lo, vcc_lo, exec_lo
	s_and_not1_b32 s0, s0, exec_lo
	s_and_b32 s47, s48, exec_lo
	s_or_b32 s45, s45, vcc_lo
	s_or_b32 s0, s0, s47
.LBB25_6560:
	s_or_b32 exec_lo, exec_lo, s46
	s_delay_alu instid0(SALU_CYCLE_1)
	s_and_not1_b32 vcc_lo, s41, exec_lo
	s_and_b32 s45, s45, exec_lo
	s_and_b32 s0, s0, exec_lo
	s_or_b32 s45, vcc_lo, s45
                                        ; implicit-def: $vgpr3
                                        ; implicit-def: $vgpr86
                                        ; implicit-def: $vgpr1_vgpr2
	s_and_not1_saveexec_b32 s43, s43
	s_cbranch_execz .LBB25_3972
.LBB25_6561:
	s_mov_b32 s46, exec_lo
	v_cmpx_lt_i16_e32 4, v3
	s_xor_b32 s46, exec_lo, s46
	s_cbranch_execz .LBB25_6583
; %bb.6562:
	s_mov_b32 s47, exec_lo
	v_cmpx_lt_i16_e32 7, v3
	s_xor_b32 s47, exec_lo, s47
	s_cbranch_execz .LBB25_6572
; %bb.6563:
	;; [unrolled: 5-line block ×3, first 2 shown]
	v_cmp_lt_i16_e32 vcc_lo, 9, v3
	s_and_saveexec_b32 s49, vcc_lo
	s_delay_alu instid0(SALU_CYCLE_1)
	s_xor_b32 vcc_lo, exec_lo, s49
	s_cbranch_execz .LBB25_6566
; %bb.6565:
	v_cvt_f64_f32_e32 v[3:4], v86
	v_mov_b32_e32 v5, 0
                                        ; implicit-def: $vgpr86
	s_delay_alu instid0(VALU_DEP_1)
	v_mov_b32_e32 v6, v5
	flat_store_b128 v[1:2], v[3:6]
                                        ; implicit-def: $vgpr1_vgpr2
.LBB25_6566:
	s_and_not1_saveexec_b32 vcc_lo, vcc_lo
	s_cbranch_execz .LBB25_6568
; %bb.6567:
	v_mov_b32_e32 v87, 0
	flat_store_b64 v[1:2], v[86:87]
.LBB25_6568:
	s_or_b32 exec_lo, exec_lo, vcc_lo
                                        ; implicit-def: $vgpr86
                                        ; implicit-def: $vgpr1_vgpr2
.LBB25_6569:
	s_and_not1_saveexec_b32 vcc_lo, s48
	s_cbranch_execz .LBB25_6571
; %bb.6570:
	v_cvt_f16_f32_e32 v3, v86
	s_delay_alu instid0(VALU_DEP_1)
	v_and_b32_e32 v3, 0xffff, v3
	flat_store_b32 v[1:2], v3
.LBB25_6571:
	s_or_b32 exec_lo, exec_lo, vcc_lo
                                        ; implicit-def: $vgpr86
                                        ; implicit-def: $vgpr1_vgpr2
                                        ; implicit-def: $vgpr3
.LBB25_6572:
	s_and_not1_saveexec_b32 s47, s47
	s_cbranch_execz .LBB25_6582
; %bb.6573:
	s_mov_b32 s48, exec_lo
	v_cmpx_lt_i16_e32 5, v3
	s_xor_b32 s48, exec_lo, s48
	s_cbranch_execz .LBB25_6579
; %bb.6574:
	v_cmp_lt_i16_e32 vcc_lo, 6, v3
	s_and_saveexec_b32 s49, vcc_lo
	s_delay_alu instid0(SALU_CYCLE_1)
	s_xor_b32 vcc_lo, exec_lo, s49
	s_cbranch_execz .LBB25_6576
; %bb.6575:
	v_cvt_f64_f32_e32 v[3:4], v86
                                        ; implicit-def: $vgpr86
	flat_store_b64 v[1:2], v[3:4]
                                        ; implicit-def: $vgpr1_vgpr2
.LBB25_6576:
	s_and_not1_saveexec_b32 vcc_lo, vcc_lo
	s_cbranch_execz .LBB25_6578
; %bb.6577:
	flat_store_b32 v[1:2], v86
.LBB25_6578:
	s_or_b32 exec_lo, exec_lo, vcc_lo
                                        ; implicit-def: $vgpr86
                                        ; implicit-def: $vgpr1_vgpr2
.LBB25_6579:
	s_and_not1_saveexec_b32 vcc_lo, s48
	s_cbranch_execz .LBB25_6581
; %bb.6580:
	v_cvt_f16_f32_e32 v3, v86
	flat_store_b16 v[1:2], v3
.LBB25_6581:
	s_or_b32 exec_lo, exec_lo, vcc_lo
.LBB25_6582:
	s_delay_alu instid0(SALU_CYCLE_1)
	s_or_b32 exec_lo, exec_lo, s47
                                        ; implicit-def: $vgpr3
                                        ; implicit-def: $vgpr86
                                        ; implicit-def: $vgpr1_vgpr2
.LBB25_6583:
	s_and_not1_saveexec_b32 s46, s46
	s_cbranch_execz .LBB25_6601
; %bb.6584:
	s_mov_b32 s47, exec_lo
	v_cmpx_lt_i16_e32 1, v3
	s_xor_b32 s47, exec_lo, s47
	s_cbranch_execz .LBB25_6594
; %bb.6585:
	s_mov_b32 s48, exec_lo
	v_cmpx_lt_i16_e32 2, v3
	s_xor_b32 s48, exec_lo, s48
	;; [unrolled: 5-line block ×3, first 2 shown]
	s_cbranch_execz .LBB25_6588
; %bb.6587:
	v_trunc_f32_e32 v3, v86
                                        ; implicit-def: $vgpr86
	s_delay_alu instid0(VALU_DEP_1) | instskip(SKIP_1) | instid1(VALU_DEP_2)
	v_mul_f32_e64 v4, 0x2f800000, |v3|
	v_ashrrev_i32_e32 v6, 31, v3
	v_floor_f32_e32 v4, v4
	s_delay_alu instid0(VALU_DEP_1) | instskip(SKIP_1) | instid1(VALU_DEP_2)
	v_fma_f32 v5, 0xcf800000, v4, |v3|
	v_cvt_u32_f32_e32 v4, v4
	v_cvt_u32_f32_e32 v3, v5
	s_delay_alu instid0(VALU_DEP_2) | instskip(NEXT) | instid1(VALU_DEP_2)
	v_xor_b32_e32 v4, v4, v6
	v_xor_b32_e32 v3, v3, v6
	s_delay_alu instid0(VALU_DEP_1) | instskip(NEXT) | instid1(VALU_DEP_3)
	v_sub_co_u32 v3, vcc_lo, v3, v6
	v_sub_co_ci_u32_e32 v4, vcc_lo, v4, v6, vcc_lo
	flat_store_b64 v[1:2], v[3:4]
                                        ; implicit-def: $vgpr1_vgpr2
.LBB25_6588:
	s_and_not1_saveexec_b32 vcc_lo, s49
	s_cbranch_execz .LBB25_6590
; %bb.6589:
	v_cvt_i32_f32_e32 v3, v86
	flat_store_b32 v[1:2], v3
.LBB25_6590:
	s_or_b32 exec_lo, exec_lo, vcc_lo
                                        ; implicit-def: $vgpr86
                                        ; implicit-def: $vgpr1_vgpr2
.LBB25_6591:
	s_and_not1_saveexec_b32 vcc_lo, s48
	s_cbranch_execz .LBB25_6593
; %bb.6592:
	v_cvt_i32_f32_e32 v3, v86
	flat_store_b16 v[1:2], v3
.LBB25_6593:
	s_or_b32 exec_lo, exec_lo, vcc_lo
                                        ; implicit-def: $vgpr86
                                        ; implicit-def: $vgpr1_vgpr2
                                        ; implicit-def: $vgpr3
.LBB25_6594:
	s_and_not1_saveexec_b32 s47, s47
	s_cbranch_execz .LBB25_6600
; %bb.6595:
	v_cmp_lt_i16_e32 vcc_lo, 0, v3
	s_and_saveexec_b32 s48, vcc_lo
	s_delay_alu instid0(SALU_CYCLE_1)
	s_xor_b32 vcc_lo, exec_lo, s48
	s_cbranch_execz .LBB25_6597
; %bb.6596:
	v_cvt_i32_f32_e32 v3, v86
                                        ; implicit-def: $vgpr86
	flat_store_b8 v[1:2], v3
                                        ; implicit-def: $vgpr1_vgpr2
.LBB25_6597:
	s_and_not1_saveexec_b32 vcc_lo, vcc_lo
	s_cbranch_execz .LBB25_6599
; %bb.6598:
	v_trunc_f32_e32 v3, v86
	s_delay_alu instid0(VALU_DEP_1) | instskip(NEXT) | instid1(VALU_DEP_1)
	v_mul_f32_e64 v4, 0x2f800000, |v3|
	v_floor_f32_e32 v4, v4
	s_delay_alu instid0(VALU_DEP_1) | instskip(SKIP_1) | instid1(VALU_DEP_2)
	v_fma_f32 v4, 0xcf800000, v4, |v3|
	v_ashrrev_i32_e32 v3, 31, v3
	v_cvt_u32_f32_e32 v4, v4
	s_delay_alu instid0(VALU_DEP_1) | instskip(NEXT) | instid1(VALU_DEP_1)
	v_xor_b32_e32 v4, v4, v3
	v_sub_nc_u32_e32 v3, v4, v3
	flat_store_b8 v[1:2], v3
.LBB25_6599:
	s_or_b32 exec_lo, exec_lo, vcc_lo
.LBB25_6600:
	s_delay_alu instid0(SALU_CYCLE_1)
	s_or_b32 exec_lo, exec_lo, s47
.LBB25_6601:
	s_delay_alu instid0(SALU_CYCLE_1) | instskip(NEXT) | instid1(SALU_CYCLE_1)
	s_or_b32 exec_lo, exec_lo, s46
	s_or_b32 s0, s0, exec_lo
	s_or_b32 exec_lo, exec_lo, s43
	s_mov_b32 vcc_lo, 0
	s_and_saveexec_b32 s43, s0
	s_cbranch_execnz .LBB25_3973
	s_branch .LBB25_3974
.LBB25_6602:
	v_bfe_u32 v3, v101, 21, 1
	s_mov_b32 s36, exec_lo
	s_delay_alu instid0(VALU_DEP_1) | instskip(NEXT) | instid1(VALU_DEP_1)
	v_add3_u32 v3, v101, v3, 0x88fffff
	v_lshrrev_b32_e32 v3, 21, v3
	s_or_saveexec_b32 s37, vcc_lo
                                        ; implicit-def: $vcc_lo
	s_delay_alu instid0(SALU_CYCLE_1)
	s_xor_b32 exec_lo, exec_lo, s37
	s_cbranch_execz .LBB25_5767
.LBB25_6603:
	v_add_f32_e64 v3, 0x42800000, |v101|
	s_and_not1_b32 s36, s36, exec_lo
	s_delay_alu instid0(VALU_DEP_1) | instskip(NEXT) | instid1(VALU_DEP_1)
	v_and_b32_e32 v3, 0xff, v3
	v_cmp_ne_u32_e32 vcc_lo, 0, v3
	s_and_b32 s41, vcc_lo, exec_lo
	s_mov_b32 vcc_lo, 0
	s_or_b32 s36, s36, s41
	s_or_b32 exec_lo, exec_lo, s37
	v_mov_b32_e32 v4, vcc_lo
	s_and_saveexec_b32 vcc_lo, s36
	s_cbranch_execnz .LBB25_5768
	s_branch .LBB25_5769
.LBB25_6604:
	v_bfe_u32 v3, v100, 20, 1
	s_mov_b32 s37, exec_lo
	s_delay_alu instid0(VALU_DEP_1) | instskip(NEXT) | instid1(VALU_DEP_1)
	v_add3_u32 v3, v100, v3, 0x487ffff
	v_lshrrev_b32_e32 v3, 20, v3
	s_or_saveexec_b32 s41, vcc_lo
                                        ; implicit-def: $vcc_lo
	s_delay_alu instid0(SALU_CYCLE_1)
	s_xor_b32 exec_lo, exec_lo, s41
	s_cbranch_execz .LBB25_5880
.LBB25_6605:
	v_add_f32_e64 v3, 0x46000000, |v100|
	s_and_not1_b32 s37, s37, exec_lo
	s_delay_alu instid0(VALU_DEP_1) | instskip(NEXT) | instid1(VALU_DEP_1)
	v_and_b32_e32 v3, 0xff, v3
	v_cmp_ne_u32_e32 vcc_lo, 0, v3
	s_and_b32 s42, vcc_lo, exec_lo
	s_mov_b32 vcc_lo, 0
	s_or_b32 s37, s37, s42
	s_or_b32 exec_lo, exec_lo, s41
	v_mov_b32_e32 v4, vcc_lo
	s_and_saveexec_b32 vcc_lo, s37
	s_cbranch_execnz .LBB25_5881
	s_branch .LBB25_5882
.LBB25_6606:
	s_mov_b32 s47, s43
	s_mov_b32 s48, exec_lo
	v_cmpx_lt_i16_e32 25, v3
	s_xor_b32 s48, exec_lo, s48
	s_cbranch_execz .LBB25_6642
; %bb.6607:
	s_mov_b32 s49, s43
	s_mov_b32 s47, exec_lo
	v_cmpx_lt_i16_e32 28, v3
	s_xor_b32 s47, exec_lo, s47
	s_cbranch_execz .LBB25_6625
; %bb.6608:
	;; [unrolled: 6-line block ×3, first 2 shown]
	s_mov_b32 s50, 0
	s_mov_b32 s51, s43
	s_mov_b32 s0, exec_lo
	v_cmpx_lt_i16_e32 45, v3
	s_xor_b32 s0, exec_lo, s0
	s_cbranch_execz .LBB25_6613
; %bb.6610:
	s_mov_b32 s52, -1
	s_mov_b32 s51, exec_lo
	v_cmpx_eq_u16_e32 46, v3
	s_cbranch_execz .LBB25_6612
; %bb.6611:
	v_bfe_u32 v3, v85, 16, 1
	v_cmp_o_f32_e32 vcc_lo, v85, v85
	s_mov_b32 s50, exec_lo
	s_xor_b32 s52, exec_lo, -1
	s_delay_alu instid0(VALU_DEP_2) | instskip(NEXT) | instid1(VALU_DEP_1)
	v_add3_u32 v3, v85, v3, 0x7fff
	v_lshrrev_b32_e32 v3, 16, v3
	s_delay_alu instid0(VALU_DEP_1)
	v_cndmask_b32_e32 v3, 0x7fc0, v3, vcc_lo
	flat_store_b32 v[1:2], v3
.LBB25_6612:
	s_or_b32 exec_lo, exec_lo, s51
	s_delay_alu instid0(SALU_CYCLE_1)
	s_and_not1_b32 vcc_lo, s43, exec_lo
	s_and_b32 s51, s52, exec_lo
	s_and_b32 s50, s50, exec_lo
	s_or_b32 s51, vcc_lo, s51
                                        ; implicit-def: $vgpr3
                                        ; implicit-def: $vgpr1_vgpr2
                                        ; implicit-def: $vgpr85
.LBB25_6613:
	s_and_not1_saveexec_b32 s52, s0
	s_cbranch_execz .LBB25_6619
; %bb.6614:
	s_mov_b32 s54, -1
	s_mov_b32 s0, s50
	s_mov_b32 s53, exec_lo
	v_cmpx_eq_u16_e32 44, v3
	s_cbranch_execz .LBB25_6618
; %bb.6615:
	v_bfe_u32 v4, v85, 23, 8
	v_mov_b32_e32 v3, 0xff
	s_mov_b32 s54, exec_lo
	s_delay_alu instid0(VALU_DEP_2)
	v_cmpx_ne_u32_e32 0xff, v4
; %bb.6616:
	v_and_b32_e32 v3, 0x400000, v85
	v_and_or_b32 v4, 0x3fffff, v85, v4
	s_delay_alu instid0(VALU_DEP_2) | instskip(NEXT) | instid1(VALU_DEP_2)
	v_cmp_ne_u32_e32 vcc_lo, 0, v3
	v_cmp_ne_u32_e64 s0, 0, v4
	v_lshrrev_b32_e32 v3, 23, v85
	s_delay_alu instid0(VALU_DEP_2) | instskip(NEXT) | instid1(SALU_CYCLE_1)
	s_and_b32 s0, vcc_lo, s0
	v_cndmask_b32_e64 v4, 0, 1, s0
	s_delay_alu instid0(VALU_DEP_1)
	v_add_nc_u32_e32 v3, v3, v4
; %bb.6617:
	s_or_b32 exec_lo, exec_lo, s54
	s_delay_alu instid0(SALU_CYCLE_1)
	s_xor_b32 s54, exec_lo, -1
	s_or_b32 s0, s50, exec_lo
	flat_store_b8 v[1:2], v3
.LBB25_6618:
	s_or_b32 exec_lo, exec_lo, s53
	s_delay_alu instid0(SALU_CYCLE_1)
	s_and_not1_b32 vcc_lo, s51, exec_lo
	s_and_b32 s51, s54, exec_lo
	s_and_not1_b32 s50, s50, exec_lo
	s_and_b32 s0, s0, exec_lo
	s_or_b32 s51, vcc_lo, s51
	s_or_b32 s50, s50, s0
.LBB25_6619:
	s_or_b32 exec_lo, exec_lo, s52
	s_delay_alu instid0(SALU_CYCLE_1) | instskip(SKIP_1) | instid1(SALU_CYCLE_1)
	s_and_not1_b32 s0, s43, exec_lo
	s_and_b32 vcc_lo, s51, exec_lo
                                        ; implicit-def: $vgpr3
                                        ; implicit-def: $vgpr85
                                        ; implicit-def: $vgpr1_vgpr2
	s_or_b32 s51, s0, vcc_lo
	s_and_b32 s0, s50, exec_lo
.LBB25_6620:
	s_and_not1_saveexec_b32 s49, s49
	s_cbranch_execz .LBB25_6624
; %bb.6621:
	s_mov_b32 s53, -1
	s_mov_b32 s52, s0
	s_mov_b32 s50, exec_lo
	v_cmpx_eq_u16_e32 29, v3
	s_cbranch_execz .LBB25_6623
; %bb.6622:
	v_trunc_f32_e32 v3, v85
	s_xor_b32 s53, exec_lo, -1
	s_or_b32 s52, s0, exec_lo
	s_delay_alu instid0(VALU_DEP_1) | instskip(NEXT) | instid1(VALU_DEP_1)
	v_mul_f32_e32 v4, 0x2f800000, v3
	v_floor_f32_e32 v4, v4
	s_delay_alu instid0(VALU_DEP_1) | instskip(SKIP_1) | instid1(VALU_DEP_2)
	v_fmamk_f32 v3, v4, 0xcf800000, v3
	v_cvt_u32_f32_e32 v4, v4
	v_cvt_u32_f32_e32 v3, v3
	flat_store_b64 v[1:2], v[3:4]
.LBB25_6623:
	s_or_b32 exec_lo, exec_lo, s50
	s_delay_alu instid0(SALU_CYCLE_1)
	s_and_not1_b32 vcc_lo, s51, exec_lo
	s_and_b32 s50, s53, exec_lo
	s_and_not1_b32 s0, s0, exec_lo
	s_and_b32 s52, s52, exec_lo
	s_or_b32 s51, vcc_lo, s50
	s_or_b32 s0, s0, s52
.LBB25_6624:
	s_or_b32 exec_lo, exec_lo, s49
	s_delay_alu instid0(SALU_CYCLE_1)
	s_and_not1_b32 vcc_lo, s43, exec_lo
	s_and_b32 s49, s51, exec_lo
	s_and_b32 s0, s0, exec_lo
	s_or_b32 s49, vcc_lo, s49
                                        ; implicit-def: $vgpr1_vgpr2
                                        ; implicit-def: $vgpr3
                                        ; implicit-def: $vgpr85
.LBB25_6625:
	s_and_not1_saveexec_b32 s47, s47
	s_cbranch_execz .LBB25_6641
; %bb.6626:
	s_mov_b32 s50, exec_lo
	v_cmpx_lt_i16_e32 26, v3
	s_xor_b32 s50, exec_lo, s50
	s_cbranch_execz .LBB25_6632
; %bb.6627:
	v_cmp_lt_i16_e32 vcc_lo, 27, v3
	s_and_saveexec_b32 s51, vcc_lo
	s_delay_alu instid0(SALU_CYCLE_1)
	s_xor_b32 vcc_lo, exec_lo, s51
	s_cbranch_execz .LBB25_6629
; %bb.6628:
	v_cvt_u32_f32_e32 v3, v85
                                        ; implicit-def: $vgpr85
	flat_store_b32 v[1:2], v3
                                        ; implicit-def: $vgpr1_vgpr2
.LBB25_6629:
	s_and_not1_saveexec_b32 vcc_lo, vcc_lo
	s_cbranch_execz .LBB25_6631
; %bb.6630:
	v_cvt_u32_f32_e32 v3, v85
	flat_store_b16 v[1:2], v3
.LBB25_6631:
	s_or_b32 exec_lo, exec_lo, vcc_lo
                                        ; implicit-def: $vgpr1_vgpr2
                                        ; implicit-def: $vgpr85
.LBB25_6632:
	s_and_not1_saveexec_b32 s50, s50
	s_cbranch_execz .LBB25_6640
; %bb.6633:
	v_and_b32_e32 v3, 0x7fffffff, v85
	v_mov_b32_e32 v4, 0x80
	s_mov_b32 s51, exec_lo
	s_delay_alu instid0(VALU_DEP_2)
	v_cmpx_gt_u32_e32 0x43800000, v3
	s_cbranch_execz .LBB25_6639
; %bb.6634:
	v_cmp_lt_u32_e32 vcc_lo, 0x3bffffff, v3
	s_mov_b32 s52, 0
                                        ; implicit-def: $vgpr3
	s_and_saveexec_b32 s53, vcc_lo
	s_delay_alu instid0(SALU_CYCLE_1)
	s_xor_b32 vcc_lo, exec_lo, s53
	s_cbranch_execnz .LBB25_7360
; %bb.6635:
	s_or_saveexec_b32 s53, vcc_lo
                                        ; implicit-def: $vcc_lo
	s_delay_alu instid0(SALU_CYCLE_1)
	s_xor_b32 exec_lo, exec_lo, s53
	s_cbranch_execnz .LBB25_7361
.LBB25_6636:
	s_or_b32 exec_lo, exec_lo, s53
	v_mov_b32_e32 v4, vcc_lo
	s_and_saveexec_b32 vcc_lo, s52
.LBB25_6637:
	v_lshrrev_b32_e32 v4, 24, v85
	s_delay_alu instid0(VALU_DEP_1)
	v_and_or_b32 v4, 0x80, v4, v3
.LBB25_6638:
	s_or_b32 exec_lo, exec_lo, vcc_lo
.LBB25_6639:
	s_delay_alu instid0(SALU_CYCLE_1)
	s_or_b32 exec_lo, exec_lo, s51
	flat_store_b8 v[1:2], v4
.LBB25_6640:
	s_or_b32 exec_lo, exec_lo, s50
	s_delay_alu instid0(SALU_CYCLE_1)
	s_or_b32 s0, s0, exec_lo
.LBB25_6641:
	s_or_b32 exec_lo, exec_lo, s47
	s_delay_alu instid0(SALU_CYCLE_1)
	s_and_not1_b32 vcc_lo, s43, exec_lo
	s_and_b32 s47, s49, exec_lo
	s_and_b32 s0, s0, exec_lo
	s_or_b32 s47, vcc_lo, s47
                                        ; implicit-def: $vgpr3
                                        ; implicit-def: $vgpr85
                                        ; implicit-def: $vgpr1_vgpr2
.LBB25_6642:
	s_and_not1_saveexec_b32 s48, s48
	s_cbranch_execz .LBB25_6686
; %bb.6643:
	s_mov_b32 s50, s0
	s_mov_b32 s49, exec_lo
	v_cmpx_lt_i16_e32 22, v3
	s_xor_b32 s49, exec_lo, s49
	s_cbranch_execz .LBB25_6675
; %bb.6644:
	s_mov_b32 s50, exec_lo
	v_cmpx_lt_i16_e32 23, v3
	s_xor_b32 s50, exec_lo, s50
	s_cbranch_execz .LBB25_6664
; %bb.6645:
	;; [unrolled: 5-line block ×3, first 2 shown]
	v_and_b32_e32 v3, 0x7fffffff, v85
	v_mov_b32_e32 v4, 0x80
	s_mov_b32 s52, exec_lo
	s_delay_alu instid0(VALU_DEP_2)
	v_cmpx_gt_u32_e32 0x47800000, v3
	s_cbranch_execz .LBB25_6652
; %bb.6647:
	v_cmp_lt_u32_e32 vcc_lo, 0x37ffffff, v3
	s_mov_b32 s53, 0
                                        ; implicit-def: $vgpr3
	s_and_saveexec_b32 s54, vcc_lo
	s_delay_alu instid0(SALU_CYCLE_1)
	s_xor_b32 vcc_lo, exec_lo, s54
	s_cbranch_execnz .LBB25_7484
; %bb.6648:
	s_or_saveexec_b32 s54, vcc_lo
                                        ; implicit-def: $vcc_lo
	s_delay_alu instid0(SALU_CYCLE_1)
	s_xor_b32 exec_lo, exec_lo, s54
	s_cbranch_execnz .LBB25_7485
.LBB25_6649:
	s_or_b32 exec_lo, exec_lo, s54
	v_mov_b32_e32 v4, vcc_lo
	s_and_saveexec_b32 vcc_lo, s53
.LBB25_6650:
	v_lshrrev_b32_e32 v4, 24, v85
	s_delay_alu instid0(VALU_DEP_1)
	v_and_or_b32 v4, 0x80, v4, v3
.LBB25_6651:
	s_or_b32 exec_lo, exec_lo, vcc_lo
.LBB25_6652:
	s_delay_alu instid0(SALU_CYCLE_1)
	s_or_b32 exec_lo, exec_lo, s52
	flat_store_b8 v[1:2], v4
                                        ; implicit-def: $vgpr85
                                        ; implicit-def: $vgpr1_vgpr2
.LBB25_6653:
	s_and_not1_saveexec_b32 s51, s51
	s_cbranch_execz .LBB25_6663
; %bb.6654:
	v_and_b32_e32 v4, 0x7fffffff, v85
	s_mov_b32 s52, exec_lo
                                        ; implicit-def: $vgpr3
	s_delay_alu instid0(VALU_DEP_1)
	v_cmpx_gt_u32_e32 0x43f00000, v4
	s_xor_b32 s52, exec_lo, s52
	s_cbranch_execz .LBB25_6660
; %bb.6655:
	s_mov_b32 s53, exec_lo
                                        ; implicit-def: $vgpr3
	v_cmpx_lt_u32_e32 0x3c7fffff, v4
	s_xor_b32 s53, exec_lo, s53
; %bb.6656:
	v_bfe_u32 v3, v85, 20, 1
	s_delay_alu instid0(VALU_DEP_1) | instskip(NEXT) | instid1(VALU_DEP_1)
	v_add3_u32 v3, v85, v3, 0x407ffff
	v_and_b32_e32 v4, 0xff00000, v3
	v_lshrrev_b32_e32 v3, 20, v3
	s_delay_alu instid0(VALU_DEP_2) | instskip(NEXT) | instid1(VALU_DEP_2)
	v_cmp_ne_u32_e32 vcc_lo, 0x7f00000, v4
	v_cndmask_b32_e32 v3, 0x7e, v3, vcc_lo
; %bb.6657:
	s_and_not1_saveexec_b32 vcc_lo, s53
; %bb.6658:
	v_add_f32_e64 v3, 0x46800000, |v85|
; %bb.6659:
	s_or_b32 exec_lo, exec_lo, vcc_lo
                                        ; implicit-def: $vgpr4
.LBB25_6660:
	s_and_not1_saveexec_b32 s52, s52
; %bb.6661:
	v_mov_b32_e32 v3, 0x7f
	v_cmp_lt_u32_e32 vcc_lo, 0x7f800000, v4
	s_delay_alu instid0(VALU_DEP_2)
	v_cndmask_b32_e32 v3, 0x7e, v3, vcc_lo
; %bb.6662:
	s_or_b32 exec_lo, exec_lo, s52
	v_lshrrev_b32_e32 v4, 24, v85
	s_delay_alu instid0(VALU_DEP_1)
	v_and_or_b32 v3, 0x80, v4, v3
	flat_store_b8 v[1:2], v3
.LBB25_6663:
	s_or_b32 exec_lo, exec_lo, s51
                                        ; implicit-def: $vgpr85
                                        ; implicit-def: $vgpr1_vgpr2
.LBB25_6664:
	s_and_not1_saveexec_b32 s50, s50
	s_cbranch_execz .LBB25_6674
; %bb.6665:
	v_and_b32_e32 v4, 0x7fffffff, v85
	s_mov_b32 s51, exec_lo
                                        ; implicit-def: $vgpr3
	s_delay_alu instid0(VALU_DEP_1)
	v_cmpx_gt_u32_e32 0x47800000, v4
	s_xor_b32 s51, exec_lo, s51
	s_cbranch_execz .LBB25_6671
; %bb.6666:
	v_cmp_lt_u32_e32 vcc_lo, 0x387fffff, v4
                                        ; implicit-def: $vgpr3
	s_and_saveexec_b32 s52, vcc_lo
	s_delay_alu instid0(SALU_CYCLE_1)
	s_xor_b32 vcc_lo, exec_lo, s52
; %bb.6667:
	v_bfe_u32 v3, v85, 21, 1
	s_delay_alu instid0(VALU_DEP_1) | instskip(NEXT) | instid1(VALU_DEP_1)
	v_add3_u32 v3, v85, v3, 0x80fffff
	v_lshrrev_b32_e32 v3, 21, v3
; %bb.6668:
	s_and_not1_saveexec_b32 vcc_lo, vcc_lo
; %bb.6669:
	v_add_f32_e64 v3, 0x43000000, |v85|
; %bb.6670:
	s_or_b32 exec_lo, exec_lo, vcc_lo
                                        ; implicit-def: $vgpr4
.LBB25_6671:
	s_and_not1_saveexec_b32 s51, s51
; %bb.6672:
	v_mov_b32_e32 v3, 0x7f
	v_cmp_lt_u32_e32 vcc_lo, 0x7f800000, v4
	s_delay_alu instid0(VALU_DEP_2)
	v_cndmask_b32_e32 v3, 0x7c, v3, vcc_lo
; %bb.6673:
	s_or_b32 exec_lo, exec_lo, s51
	v_lshrrev_b32_e32 v4, 24, v85
	s_delay_alu instid0(VALU_DEP_1)
	v_and_or_b32 v3, 0x80, v4, v3
	flat_store_b8 v[1:2], v3
.LBB25_6674:
	s_or_b32 exec_lo, exec_lo, s50
	s_delay_alu instid0(SALU_CYCLE_1)
	s_or_b32 s50, s0, exec_lo
                                        ; implicit-def: $vgpr3
                                        ; implicit-def: $vgpr85
                                        ; implicit-def: $vgpr1_vgpr2
.LBB25_6675:
	s_or_saveexec_b32 s49, s49
	s_mov_b32 vcc_lo, s47
	s_xor_b32 exec_lo, exec_lo, s49
	s_cbranch_execz .LBB25_6685
; %bb.6676:
	s_mov_b32 s51, s50
	s_mov_b32 s52, s47
	s_mov_b32 s53, exec_lo
	v_cmpx_lt_i16_e32 14, v3
	s_xor_b32 s53, exec_lo, s53
	s_cbranch_execz .LBB25_6680
; %bb.6677:
	s_mov_b32 s54, -1
	s_mov_b32 s51, s50
	s_mov_b32 s52, exec_lo
	v_cmpx_eq_u16_e32 15, v3
	s_cbranch_execz .LBB25_6679
; %bb.6678:
	v_bfe_u32 v3, v85, 16, 1
	v_cmp_o_f32_e32 vcc_lo, v85, v85
	s_xor_b32 s54, exec_lo, -1
	s_or_b32 s51, s50, exec_lo
	s_delay_alu instid0(VALU_DEP_2) | instskip(NEXT) | instid1(VALU_DEP_1)
	v_add3_u32 v3, v85, v3, 0x7fff
	v_lshrrev_b32_e32 v3, 16, v3
	s_delay_alu instid0(VALU_DEP_1)
	v_cndmask_b32_e32 v3, 0x7fc0, v3, vcc_lo
	flat_store_b16 v[1:2], v3
.LBB25_6679:
	s_or_b32 exec_lo, exec_lo, s52
	s_delay_alu instid0(SALU_CYCLE_1)
	s_and_not1_b32 vcc_lo, s47, exec_lo
	s_and_b32 s52, s54, exec_lo
	s_and_not1_b32 s54, s50, exec_lo
	s_and_b32 s51, s51, exec_lo
	s_or_b32 s52, vcc_lo, s52
	s_or_b32 s51, s54, s51
                                        ; implicit-def: $vgpr3
                                        ; implicit-def: $vgpr85
                                        ; implicit-def: $vgpr1_vgpr2
.LBB25_6680:
	s_and_not1_saveexec_b32 s53, s53
	s_cbranch_execz .LBB25_6684
; %bb.6681:
	s_mov_b32 s55, -1
	s_mov_b32 s54, s51
	s_mov_b32 s56, exec_lo
	v_cmpx_eq_u16_e32 11, v3
	s_cbranch_execz .LBB25_6683
; %bb.6682:
	v_cmp_neq_f32_e32 vcc_lo, 0, v85
	s_xor_b32 s55, exec_lo, -1
	s_or_b32 s54, s51, exec_lo
	v_cndmask_b32_e64 v3, 0, 1, vcc_lo
	flat_store_b8 v[1:2], v3
.LBB25_6683:
	s_or_b32 exec_lo, exec_lo, s56
	s_delay_alu instid0(SALU_CYCLE_1)
	s_and_not1_b32 vcc_lo, s52, exec_lo
	s_and_b32 s52, s55, exec_lo
	s_and_not1_b32 s51, s51, exec_lo
	s_and_b32 s54, s54, exec_lo
	s_or_b32 s52, vcc_lo, s52
	s_or_b32 s51, s51, s54
.LBB25_6684:
	s_or_b32 exec_lo, exec_lo, s53
	s_delay_alu instid0(SALU_CYCLE_1)
	s_and_not1_b32 vcc_lo, s47, exec_lo
	s_and_b32 s52, s52, exec_lo
	s_and_not1_b32 s50, s50, exec_lo
	s_and_b32 s51, s51, exec_lo
	s_or_b32 vcc_lo, vcc_lo, s52
	s_or_b32 s50, s50, s51
.LBB25_6685:
	s_or_b32 exec_lo, exec_lo, s49
	s_delay_alu instid0(SALU_CYCLE_1)
	s_and_not1_b32 s47, s47, exec_lo
	s_and_b32 vcc_lo, vcc_lo, exec_lo
	s_and_not1_b32 s0, s0, exec_lo
	s_and_b32 s49, s50, exec_lo
	s_or_b32 s47, s47, vcc_lo
	s_or_b32 s0, s0, s49
.LBB25_6686:
	s_or_b32 exec_lo, exec_lo, s48
	s_delay_alu instid0(SALU_CYCLE_1)
	s_and_not1_b32 vcc_lo, s43, exec_lo
	s_and_b32 s47, s47, exec_lo
	s_and_b32 s0, s0, exec_lo
	s_or_b32 s47, vcc_lo, s47
                                        ; implicit-def: $vgpr3
                                        ; implicit-def: $vgpr85
                                        ; implicit-def: $vgpr1_vgpr2
	s_and_not1_saveexec_b32 s45, s45
	s_cbranch_execz .LBB25_3979
.LBB25_6687:
	s_mov_b32 s48, exec_lo
	v_cmpx_lt_i16_e32 4, v3
	s_xor_b32 s48, exec_lo, s48
	s_cbranch_execz .LBB25_6709
; %bb.6688:
	s_mov_b32 s49, exec_lo
	v_cmpx_lt_i16_e32 7, v3
	s_xor_b32 s49, exec_lo, s49
	s_cbranch_execz .LBB25_6698
; %bb.6689:
	;; [unrolled: 5-line block ×3, first 2 shown]
	v_cmp_lt_i16_e32 vcc_lo, 9, v3
	s_and_saveexec_b32 s51, vcc_lo
	s_delay_alu instid0(SALU_CYCLE_1)
	s_xor_b32 vcc_lo, exec_lo, s51
	s_cbranch_execz .LBB25_6692
; %bb.6691:
	v_cvt_f64_f32_e32 v[3:4], v85
	v_mov_b32_e32 v5, 0
                                        ; implicit-def: $vgpr85
	s_delay_alu instid0(VALU_DEP_1)
	v_mov_b32_e32 v6, v5
	flat_store_b128 v[1:2], v[3:6]
                                        ; implicit-def: $vgpr1_vgpr2
.LBB25_6692:
	s_and_not1_saveexec_b32 vcc_lo, vcc_lo
	s_cbranch_execz .LBB25_6694
; %bb.6693:
	v_mov_b32_e32 v86, 0
	flat_store_b64 v[1:2], v[85:86]
.LBB25_6694:
	s_or_b32 exec_lo, exec_lo, vcc_lo
                                        ; implicit-def: $vgpr85
                                        ; implicit-def: $vgpr1_vgpr2
.LBB25_6695:
	s_and_not1_saveexec_b32 vcc_lo, s50
	s_cbranch_execz .LBB25_6697
; %bb.6696:
	v_cvt_f16_f32_e32 v3, v85
	s_delay_alu instid0(VALU_DEP_1)
	v_and_b32_e32 v3, 0xffff, v3
	flat_store_b32 v[1:2], v3
.LBB25_6697:
	s_or_b32 exec_lo, exec_lo, vcc_lo
                                        ; implicit-def: $vgpr85
                                        ; implicit-def: $vgpr1_vgpr2
                                        ; implicit-def: $vgpr3
.LBB25_6698:
	s_and_not1_saveexec_b32 s49, s49
	s_cbranch_execz .LBB25_6708
; %bb.6699:
	s_mov_b32 s50, exec_lo
	v_cmpx_lt_i16_e32 5, v3
	s_xor_b32 s50, exec_lo, s50
	s_cbranch_execz .LBB25_6705
; %bb.6700:
	v_cmp_lt_i16_e32 vcc_lo, 6, v3
	s_and_saveexec_b32 s51, vcc_lo
	s_delay_alu instid0(SALU_CYCLE_1)
	s_xor_b32 vcc_lo, exec_lo, s51
	s_cbranch_execz .LBB25_6702
; %bb.6701:
	v_cvt_f64_f32_e32 v[3:4], v85
                                        ; implicit-def: $vgpr85
	flat_store_b64 v[1:2], v[3:4]
                                        ; implicit-def: $vgpr1_vgpr2
.LBB25_6702:
	s_and_not1_saveexec_b32 vcc_lo, vcc_lo
	s_cbranch_execz .LBB25_6704
; %bb.6703:
	flat_store_b32 v[1:2], v85
.LBB25_6704:
	s_or_b32 exec_lo, exec_lo, vcc_lo
                                        ; implicit-def: $vgpr85
                                        ; implicit-def: $vgpr1_vgpr2
.LBB25_6705:
	s_and_not1_saveexec_b32 vcc_lo, s50
	s_cbranch_execz .LBB25_6707
; %bb.6706:
	v_cvt_f16_f32_e32 v3, v85
	flat_store_b16 v[1:2], v3
.LBB25_6707:
	s_or_b32 exec_lo, exec_lo, vcc_lo
.LBB25_6708:
	s_delay_alu instid0(SALU_CYCLE_1)
	s_or_b32 exec_lo, exec_lo, s49
                                        ; implicit-def: $vgpr3
                                        ; implicit-def: $vgpr85
                                        ; implicit-def: $vgpr1_vgpr2
.LBB25_6709:
	s_and_not1_saveexec_b32 s48, s48
	s_cbranch_execz .LBB25_6727
; %bb.6710:
	s_mov_b32 s49, exec_lo
	v_cmpx_lt_i16_e32 1, v3
	s_xor_b32 s49, exec_lo, s49
	s_cbranch_execz .LBB25_6720
; %bb.6711:
	s_mov_b32 s50, exec_lo
	v_cmpx_lt_i16_e32 2, v3
	s_xor_b32 s50, exec_lo, s50
	;; [unrolled: 5-line block ×3, first 2 shown]
	s_cbranch_execz .LBB25_6714
; %bb.6713:
	v_trunc_f32_e32 v3, v85
                                        ; implicit-def: $vgpr85
	s_delay_alu instid0(VALU_DEP_1) | instskip(SKIP_1) | instid1(VALU_DEP_2)
	v_mul_f32_e64 v4, 0x2f800000, |v3|
	v_ashrrev_i32_e32 v6, 31, v3
	v_floor_f32_e32 v4, v4
	s_delay_alu instid0(VALU_DEP_1) | instskip(SKIP_1) | instid1(VALU_DEP_2)
	v_fma_f32 v5, 0xcf800000, v4, |v3|
	v_cvt_u32_f32_e32 v4, v4
	v_cvt_u32_f32_e32 v3, v5
	s_delay_alu instid0(VALU_DEP_2) | instskip(NEXT) | instid1(VALU_DEP_2)
	v_xor_b32_e32 v4, v4, v6
	v_xor_b32_e32 v3, v3, v6
	s_delay_alu instid0(VALU_DEP_1) | instskip(NEXT) | instid1(VALU_DEP_3)
	v_sub_co_u32 v3, vcc_lo, v3, v6
	v_sub_co_ci_u32_e32 v4, vcc_lo, v4, v6, vcc_lo
	flat_store_b64 v[1:2], v[3:4]
                                        ; implicit-def: $vgpr1_vgpr2
.LBB25_6714:
	s_and_not1_saveexec_b32 vcc_lo, s51
	s_cbranch_execz .LBB25_6716
; %bb.6715:
	v_cvt_i32_f32_e32 v3, v85
	flat_store_b32 v[1:2], v3
.LBB25_6716:
	s_or_b32 exec_lo, exec_lo, vcc_lo
                                        ; implicit-def: $vgpr85
                                        ; implicit-def: $vgpr1_vgpr2
.LBB25_6717:
	s_and_not1_saveexec_b32 vcc_lo, s50
	s_cbranch_execz .LBB25_6719
; %bb.6718:
	v_cvt_i32_f32_e32 v3, v85
	flat_store_b16 v[1:2], v3
.LBB25_6719:
	s_or_b32 exec_lo, exec_lo, vcc_lo
                                        ; implicit-def: $vgpr85
                                        ; implicit-def: $vgpr1_vgpr2
                                        ; implicit-def: $vgpr3
.LBB25_6720:
	s_and_not1_saveexec_b32 s49, s49
	s_cbranch_execz .LBB25_6726
; %bb.6721:
	v_cmp_lt_i16_e32 vcc_lo, 0, v3
	s_and_saveexec_b32 s50, vcc_lo
	s_delay_alu instid0(SALU_CYCLE_1)
	s_xor_b32 vcc_lo, exec_lo, s50
	s_cbranch_execz .LBB25_6723
; %bb.6722:
	v_cvt_i32_f32_e32 v3, v85
                                        ; implicit-def: $vgpr85
	flat_store_b8 v[1:2], v3
                                        ; implicit-def: $vgpr1_vgpr2
.LBB25_6723:
	s_and_not1_saveexec_b32 vcc_lo, vcc_lo
	s_cbranch_execz .LBB25_6725
; %bb.6724:
	v_trunc_f32_e32 v3, v85
	s_delay_alu instid0(VALU_DEP_1) | instskip(NEXT) | instid1(VALU_DEP_1)
	v_mul_f32_e64 v4, 0x2f800000, |v3|
	v_floor_f32_e32 v4, v4
	s_delay_alu instid0(VALU_DEP_1) | instskip(SKIP_1) | instid1(VALU_DEP_2)
	v_fma_f32 v4, 0xcf800000, v4, |v3|
	v_ashrrev_i32_e32 v3, 31, v3
	v_cvt_u32_f32_e32 v4, v4
	s_delay_alu instid0(VALU_DEP_1) | instskip(NEXT) | instid1(VALU_DEP_1)
	v_xor_b32_e32 v4, v4, v3
	v_sub_nc_u32_e32 v3, v4, v3
	flat_store_b8 v[1:2], v3
.LBB25_6725:
	s_or_b32 exec_lo, exec_lo, vcc_lo
.LBB25_6726:
	s_delay_alu instid0(SALU_CYCLE_1)
	s_or_b32 exec_lo, exec_lo, s49
.LBB25_6727:
	s_delay_alu instid0(SALU_CYCLE_1) | instskip(NEXT) | instid1(SALU_CYCLE_1)
	s_or_b32 exec_lo, exec_lo, s48
	s_or_b32 s0, s0, exec_lo
	s_or_b32 exec_lo, exec_lo, s45
	s_mov_b32 vcc_lo, 0
	s_and_saveexec_b32 s45, s0
	s_cbranch_execnz .LBB25_3980
	s_branch .LBB25_3981
.LBB25_6728:
	v_bfe_u32 v3, v100, 21, 1
	s_mov_b32 s41, exec_lo
	s_delay_alu instid0(VALU_DEP_1) | instskip(NEXT) | instid1(VALU_DEP_1)
	v_add3_u32 v3, v100, v3, 0x88fffff
	v_lshrrev_b32_e32 v3, 21, v3
	s_or_saveexec_b32 s42, vcc_lo
                                        ; implicit-def: $vcc_lo
	s_delay_alu instid0(SALU_CYCLE_1)
	s_xor_b32 exec_lo, exec_lo, s42
	s_cbranch_execz .LBB25_5893
.LBB25_6729:
	v_add_f32_e64 v3, 0x42800000, |v100|
	s_and_not1_b32 s41, s41, exec_lo
	s_delay_alu instid0(VALU_DEP_1) | instskip(NEXT) | instid1(VALU_DEP_1)
	v_and_b32_e32 v3, 0xff, v3
	v_cmp_ne_u32_e32 vcc_lo, 0, v3
	s_and_b32 s43, vcc_lo, exec_lo
	s_mov_b32 vcc_lo, 0
	s_or_b32 s41, s41, s43
	s_or_b32 exec_lo, exec_lo, s42
	v_mov_b32_e32 v4, vcc_lo
	s_and_saveexec_b32 vcc_lo, s41
	s_cbranch_execnz .LBB25_5894
	s_branch .LBB25_5895
.LBB25_6730:
	v_bfe_u32 v3, v99, 20, 1
	s_mov_b32 s42, exec_lo
	s_delay_alu instid0(VALU_DEP_1) | instskip(NEXT) | instid1(VALU_DEP_1)
	v_add3_u32 v3, v99, v3, 0x487ffff
	v_lshrrev_b32_e32 v3, 20, v3
	s_or_saveexec_b32 s43, vcc_lo
                                        ; implicit-def: $vcc_lo
	s_delay_alu instid0(SALU_CYCLE_1)
	s_xor_b32 exec_lo, exec_lo, s43
	s_cbranch_execz .LBB25_6006
.LBB25_6731:
	v_add_f32_e64 v3, 0x46000000, |v99|
	s_and_not1_b32 s42, s42, exec_lo
	s_delay_alu instid0(VALU_DEP_1) | instskip(NEXT) | instid1(VALU_DEP_1)
	v_and_b32_e32 v3, 0xff, v3
	v_cmp_ne_u32_e32 vcc_lo, 0, v3
	s_and_b32 s44, vcc_lo, exec_lo
	s_mov_b32 vcc_lo, 0
	s_or_b32 s42, s42, s44
	s_or_b32 exec_lo, exec_lo, s43
	v_mov_b32_e32 v4, vcc_lo
	s_and_saveexec_b32 vcc_lo, s42
	s_cbranch_execnz .LBB25_6007
	s_branch .LBB25_6008
.LBB25_6732:
	s_mov_b32 s49, s45
	s_mov_b32 s50, exec_lo
	v_cmpx_lt_i16_e32 25, v3
	s_xor_b32 s50, exec_lo, s50
	s_cbranch_execz .LBB25_6768
; %bb.6733:
	s_mov_b32 s51, s45
	s_mov_b32 s49, exec_lo
	v_cmpx_lt_i16_e32 28, v3
	s_xor_b32 s49, exec_lo, s49
	s_cbranch_execz .LBB25_6751
; %bb.6734:
	;; [unrolled: 6-line block ×3, first 2 shown]
	s_mov_b32 s52, 0
	s_mov_b32 s53, s45
	s_mov_b32 s0, exec_lo
	v_cmpx_lt_i16_e32 45, v3
	s_xor_b32 s0, exec_lo, s0
	s_cbranch_execz .LBB25_6739
; %bb.6736:
	s_mov_b32 s54, -1
	s_mov_b32 s53, exec_lo
	v_cmpx_eq_u16_e32 46, v3
	s_cbranch_execz .LBB25_6738
; %bb.6737:
	v_bfe_u32 v3, v84, 16, 1
	v_cmp_o_f32_e32 vcc_lo, v84, v84
	s_mov_b32 s52, exec_lo
	s_xor_b32 s54, exec_lo, -1
	s_delay_alu instid0(VALU_DEP_2) | instskip(NEXT) | instid1(VALU_DEP_1)
	v_add3_u32 v3, v84, v3, 0x7fff
	v_lshrrev_b32_e32 v3, 16, v3
	s_delay_alu instid0(VALU_DEP_1)
	v_cndmask_b32_e32 v3, 0x7fc0, v3, vcc_lo
	flat_store_b32 v[1:2], v3
.LBB25_6738:
	s_or_b32 exec_lo, exec_lo, s53
	s_delay_alu instid0(SALU_CYCLE_1)
	s_and_not1_b32 vcc_lo, s45, exec_lo
	s_and_b32 s53, s54, exec_lo
	s_and_b32 s52, s52, exec_lo
	s_or_b32 s53, vcc_lo, s53
                                        ; implicit-def: $vgpr3
                                        ; implicit-def: $vgpr1_vgpr2
                                        ; implicit-def: $vgpr84
.LBB25_6739:
	s_and_not1_saveexec_b32 s54, s0
	s_cbranch_execz .LBB25_6745
; %bb.6740:
	s_mov_b32 s56, -1
	s_mov_b32 s0, s52
	s_mov_b32 s55, exec_lo
	v_cmpx_eq_u16_e32 44, v3
	s_cbranch_execz .LBB25_6744
; %bb.6741:
	v_bfe_u32 v4, v84, 23, 8
	v_mov_b32_e32 v3, 0xff
	s_mov_b32 s56, exec_lo
	s_delay_alu instid0(VALU_DEP_2)
	v_cmpx_ne_u32_e32 0xff, v4
; %bb.6742:
	v_and_b32_e32 v3, 0x400000, v84
	v_and_or_b32 v4, 0x3fffff, v84, v4
	s_delay_alu instid0(VALU_DEP_2) | instskip(NEXT) | instid1(VALU_DEP_2)
	v_cmp_ne_u32_e32 vcc_lo, 0, v3
	v_cmp_ne_u32_e64 s0, 0, v4
	v_lshrrev_b32_e32 v3, 23, v84
	s_delay_alu instid0(VALU_DEP_2) | instskip(NEXT) | instid1(SALU_CYCLE_1)
	s_and_b32 s0, vcc_lo, s0
	v_cndmask_b32_e64 v4, 0, 1, s0
	s_delay_alu instid0(VALU_DEP_1)
	v_add_nc_u32_e32 v3, v3, v4
; %bb.6743:
	s_or_b32 exec_lo, exec_lo, s56
	s_delay_alu instid0(SALU_CYCLE_1)
	s_xor_b32 s56, exec_lo, -1
	s_or_b32 s0, s52, exec_lo
	flat_store_b8 v[1:2], v3
.LBB25_6744:
	s_or_b32 exec_lo, exec_lo, s55
	s_delay_alu instid0(SALU_CYCLE_1)
	s_and_not1_b32 vcc_lo, s53, exec_lo
	s_and_b32 s53, s56, exec_lo
	s_and_not1_b32 s52, s52, exec_lo
	s_and_b32 s0, s0, exec_lo
	s_or_b32 s53, vcc_lo, s53
	s_or_b32 s52, s52, s0
.LBB25_6745:
	s_or_b32 exec_lo, exec_lo, s54
	s_delay_alu instid0(SALU_CYCLE_1) | instskip(SKIP_1) | instid1(SALU_CYCLE_1)
	s_and_not1_b32 s0, s45, exec_lo
	s_and_b32 vcc_lo, s53, exec_lo
                                        ; implicit-def: $vgpr3
                                        ; implicit-def: $vgpr84
                                        ; implicit-def: $vgpr1_vgpr2
	s_or_b32 s53, s0, vcc_lo
	s_and_b32 s0, s52, exec_lo
.LBB25_6746:
	s_and_not1_saveexec_b32 s51, s51
	s_cbranch_execz .LBB25_6750
; %bb.6747:
	s_mov_b32 s55, -1
	s_mov_b32 s54, s0
	s_mov_b32 s52, exec_lo
	v_cmpx_eq_u16_e32 29, v3
	s_cbranch_execz .LBB25_6749
; %bb.6748:
	v_trunc_f32_e32 v3, v84
	s_xor_b32 s55, exec_lo, -1
	s_or_b32 s54, s0, exec_lo
	s_delay_alu instid0(VALU_DEP_1) | instskip(NEXT) | instid1(VALU_DEP_1)
	v_mul_f32_e32 v4, 0x2f800000, v3
	v_floor_f32_e32 v4, v4
	s_delay_alu instid0(VALU_DEP_1) | instskip(SKIP_1) | instid1(VALU_DEP_2)
	v_fmamk_f32 v3, v4, 0xcf800000, v3
	v_cvt_u32_f32_e32 v4, v4
	v_cvt_u32_f32_e32 v3, v3
	flat_store_b64 v[1:2], v[3:4]
.LBB25_6749:
	s_or_b32 exec_lo, exec_lo, s52
	s_delay_alu instid0(SALU_CYCLE_1)
	s_and_not1_b32 vcc_lo, s53, exec_lo
	s_and_b32 s52, s55, exec_lo
	s_and_not1_b32 s0, s0, exec_lo
	s_and_b32 s54, s54, exec_lo
	s_or_b32 s53, vcc_lo, s52
	s_or_b32 s0, s0, s54
.LBB25_6750:
	s_or_b32 exec_lo, exec_lo, s51
	s_delay_alu instid0(SALU_CYCLE_1)
	s_and_not1_b32 vcc_lo, s45, exec_lo
	s_and_b32 s51, s53, exec_lo
	s_and_b32 s0, s0, exec_lo
	s_or_b32 s51, vcc_lo, s51
                                        ; implicit-def: $vgpr1_vgpr2
                                        ; implicit-def: $vgpr3
                                        ; implicit-def: $vgpr84
.LBB25_6751:
	s_and_not1_saveexec_b32 s49, s49
	s_cbranch_execz .LBB25_6767
; %bb.6752:
	s_mov_b32 s52, exec_lo
	v_cmpx_lt_i16_e32 26, v3
	s_xor_b32 s52, exec_lo, s52
	s_cbranch_execz .LBB25_6758
; %bb.6753:
	v_cmp_lt_i16_e32 vcc_lo, 27, v3
	v_cvt_u32_f32_e32 v3, v84
	s_and_saveexec_b32 s53, vcc_lo
	s_delay_alu instid0(SALU_CYCLE_1)
	s_xor_b32 vcc_lo, exec_lo, s53
	s_cbranch_execz .LBB25_6755
; %bb.6754:
	flat_store_b32 v[1:2], v3
                                        ; implicit-def: $vgpr1_vgpr2
                                        ; implicit-def: $vgpr3
.LBB25_6755:
	s_and_not1_saveexec_b32 vcc_lo, vcc_lo
	s_cbranch_execz .LBB25_6757
; %bb.6756:
	flat_store_b16 v[1:2], v3
.LBB25_6757:
	s_or_b32 exec_lo, exec_lo, vcc_lo
                                        ; implicit-def: $vgpr1_vgpr2
                                        ; implicit-def: $vgpr84
.LBB25_6758:
	s_and_not1_saveexec_b32 s52, s52
	s_cbranch_execz .LBB25_6766
; %bb.6759:
	v_and_b32_e32 v3, 0x7fffffff, v84
	v_mov_b32_e32 v4, 0x80
	s_mov_b32 s53, exec_lo
	s_delay_alu instid0(VALU_DEP_2)
	v_cmpx_gt_u32_e32 0x43800000, v3
	s_cbranch_execz .LBB25_6765
; %bb.6760:
	v_cmp_lt_u32_e32 vcc_lo, 0x3bffffff, v3
	s_mov_b32 s54, 0
                                        ; implicit-def: $vgpr3
	s_and_saveexec_b32 s55, vcc_lo
	s_delay_alu instid0(SALU_CYCLE_1)
	s_xor_b32 vcc_lo, exec_lo, s55
	s_cbranch_execnz .LBB25_7486
; %bb.6761:
	s_or_saveexec_b32 s55, vcc_lo
                                        ; implicit-def: $vcc_lo
	s_delay_alu instid0(SALU_CYCLE_1)
	s_xor_b32 exec_lo, exec_lo, s55
	s_cbranch_execnz .LBB25_7487
.LBB25_6762:
	s_or_b32 exec_lo, exec_lo, s55
	v_mov_b32_e32 v4, vcc_lo
	s_and_saveexec_b32 vcc_lo, s54
.LBB25_6763:
	v_lshrrev_b32_e32 v4, 24, v84
	s_delay_alu instid0(VALU_DEP_1)
	v_and_or_b32 v4, 0x80, v4, v3
.LBB25_6764:
	s_or_b32 exec_lo, exec_lo, vcc_lo
.LBB25_6765:
	s_delay_alu instid0(SALU_CYCLE_1)
	s_or_b32 exec_lo, exec_lo, s53
	flat_store_b8 v[1:2], v4
.LBB25_6766:
	s_or_b32 exec_lo, exec_lo, s52
	s_delay_alu instid0(SALU_CYCLE_1)
	s_or_b32 s0, s0, exec_lo
.LBB25_6767:
	s_or_b32 exec_lo, exec_lo, s49
	s_delay_alu instid0(SALU_CYCLE_1)
	s_and_not1_b32 vcc_lo, s45, exec_lo
	s_and_b32 s49, s51, exec_lo
	s_and_b32 s0, s0, exec_lo
	s_or_b32 s49, vcc_lo, s49
                                        ; implicit-def: $vgpr3
                                        ; implicit-def: $vgpr84
                                        ; implicit-def: $vgpr1_vgpr2
.LBB25_6768:
	s_and_not1_saveexec_b32 s50, s50
	s_cbranch_execz .LBB25_6812
; %bb.6769:
	s_mov_b32 s52, s0
	s_mov_b32 s51, exec_lo
	v_cmpx_lt_i16_e32 22, v3
	s_xor_b32 s51, exec_lo, s51
	s_cbranch_execz .LBB25_6801
; %bb.6770:
	s_mov_b32 s52, exec_lo
	v_cmpx_lt_i16_e32 23, v3
	s_xor_b32 s52, exec_lo, s52
	s_cbranch_execz .LBB25_6790
; %bb.6771:
	;; [unrolled: 5-line block ×3, first 2 shown]
	v_and_b32_e32 v3, 0x7fffffff, v84
	v_mov_b32_e32 v4, 0x80
	s_mov_b32 s54, exec_lo
	s_delay_alu instid0(VALU_DEP_2)
	v_cmpx_gt_u32_e32 0x47800000, v3
	s_cbranch_execz .LBB25_6778
; %bb.6773:
	v_cmp_lt_u32_e32 vcc_lo, 0x37ffffff, v3
	s_mov_b32 s55, 0
                                        ; implicit-def: $vgpr3
	s_and_saveexec_b32 s56, vcc_lo
	s_delay_alu instid0(SALU_CYCLE_1)
	s_xor_b32 vcc_lo, exec_lo, s56
	s_cbranch_execnz .LBB25_7610
; %bb.6774:
	s_or_saveexec_b32 s56, vcc_lo
                                        ; implicit-def: $vcc_lo
	s_delay_alu instid0(SALU_CYCLE_1)
	s_xor_b32 exec_lo, exec_lo, s56
	s_cbranch_execnz .LBB25_7611
.LBB25_6775:
	s_or_b32 exec_lo, exec_lo, s56
	v_mov_b32_e32 v4, vcc_lo
	s_and_saveexec_b32 vcc_lo, s55
.LBB25_6776:
	v_lshrrev_b32_e32 v4, 24, v84
	s_delay_alu instid0(VALU_DEP_1)
	v_and_or_b32 v4, 0x80, v4, v3
.LBB25_6777:
	s_or_b32 exec_lo, exec_lo, vcc_lo
.LBB25_6778:
	s_delay_alu instid0(SALU_CYCLE_1)
	s_or_b32 exec_lo, exec_lo, s54
	flat_store_b8 v[1:2], v4
                                        ; implicit-def: $vgpr84
                                        ; implicit-def: $vgpr1_vgpr2
.LBB25_6779:
	s_and_not1_saveexec_b32 s53, s53
	s_cbranch_execz .LBB25_6789
; %bb.6780:
	v_and_b32_e32 v4, 0x7fffffff, v84
	s_mov_b32 s54, exec_lo
                                        ; implicit-def: $vgpr3
	s_delay_alu instid0(VALU_DEP_1)
	v_cmpx_gt_u32_e32 0x43f00000, v4
	s_xor_b32 s54, exec_lo, s54
	s_cbranch_execz .LBB25_6786
; %bb.6781:
	s_mov_b32 s55, exec_lo
                                        ; implicit-def: $vgpr3
	v_cmpx_lt_u32_e32 0x3c7fffff, v4
	s_xor_b32 s55, exec_lo, s55
; %bb.6782:
	v_bfe_u32 v3, v84, 20, 1
	s_delay_alu instid0(VALU_DEP_1) | instskip(NEXT) | instid1(VALU_DEP_1)
	v_add3_u32 v3, v84, v3, 0x407ffff
	v_and_b32_e32 v4, 0xff00000, v3
	v_lshrrev_b32_e32 v3, 20, v3
	s_delay_alu instid0(VALU_DEP_2) | instskip(NEXT) | instid1(VALU_DEP_2)
	v_cmp_ne_u32_e32 vcc_lo, 0x7f00000, v4
	v_cndmask_b32_e32 v3, 0x7e, v3, vcc_lo
; %bb.6783:
	s_and_not1_saveexec_b32 vcc_lo, s55
; %bb.6784:
	v_add_f32_e64 v3, 0x46800000, |v84|
; %bb.6785:
	s_or_b32 exec_lo, exec_lo, vcc_lo
                                        ; implicit-def: $vgpr4
.LBB25_6786:
	s_and_not1_saveexec_b32 s54, s54
; %bb.6787:
	v_mov_b32_e32 v3, 0x7f
	v_cmp_lt_u32_e32 vcc_lo, 0x7f800000, v4
	s_delay_alu instid0(VALU_DEP_2)
	v_cndmask_b32_e32 v3, 0x7e, v3, vcc_lo
; %bb.6788:
	s_or_b32 exec_lo, exec_lo, s54
	v_lshrrev_b32_e32 v4, 24, v84
	s_delay_alu instid0(VALU_DEP_1)
	v_and_or_b32 v3, 0x80, v4, v3
	flat_store_b8 v[1:2], v3
.LBB25_6789:
	s_or_b32 exec_lo, exec_lo, s53
                                        ; implicit-def: $vgpr84
                                        ; implicit-def: $vgpr1_vgpr2
.LBB25_6790:
	s_and_not1_saveexec_b32 s52, s52
	s_cbranch_execz .LBB25_6800
; %bb.6791:
	v_and_b32_e32 v4, 0x7fffffff, v84
	s_mov_b32 s53, exec_lo
                                        ; implicit-def: $vgpr3
	s_delay_alu instid0(VALU_DEP_1)
	v_cmpx_gt_u32_e32 0x47800000, v4
	s_xor_b32 s53, exec_lo, s53
	s_cbranch_execz .LBB25_6797
; %bb.6792:
	v_cmp_lt_u32_e32 vcc_lo, 0x387fffff, v4
                                        ; implicit-def: $vgpr3
	s_and_saveexec_b32 s54, vcc_lo
	s_delay_alu instid0(SALU_CYCLE_1)
	s_xor_b32 vcc_lo, exec_lo, s54
; %bb.6793:
	v_bfe_u32 v3, v84, 21, 1
	s_delay_alu instid0(VALU_DEP_1) | instskip(NEXT) | instid1(VALU_DEP_1)
	v_add3_u32 v3, v84, v3, 0x80fffff
	v_lshrrev_b32_e32 v3, 21, v3
; %bb.6794:
	s_and_not1_saveexec_b32 vcc_lo, vcc_lo
; %bb.6795:
	v_add_f32_e64 v3, 0x43000000, |v84|
; %bb.6796:
	s_or_b32 exec_lo, exec_lo, vcc_lo
                                        ; implicit-def: $vgpr4
.LBB25_6797:
	s_and_not1_saveexec_b32 s53, s53
; %bb.6798:
	v_mov_b32_e32 v3, 0x7f
	v_cmp_lt_u32_e32 vcc_lo, 0x7f800000, v4
	s_delay_alu instid0(VALU_DEP_2)
	v_cndmask_b32_e32 v3, 0x7c, v3, vcc_lo
; %bb.6799:
	s_or_b32 exec_lo, exec_lo, s53
	v_lshrrev_b32_e32 v4, 24, v84
	s_delay_alu instid0(VALU_DEP_1)
	v_and_or_b32 v3, 0x80, v4, v3
	flat_store_b8 v[1:2], v3
.LBB25_6800:
	s_or_b32 exec_lo, exec_lo, s52
	s_delay_alu instid0(SALU_CYCLE_1)
	s_or_b32 s52, s0, exec_lo
                                        ; implicit-def: $vgpr3
                                        ; implicit-def: $vgpr84
                                        ; implicit-def: $vgpr1_vgpr2
.LBB25_6801:
	s_or_saveexec_b32 s51, s51
	s_mov_b32 vcc_lo, s49
	s_xor_b32 exec_lo, exec_lo, s51
	s_cbranch_execz .LBB25_6811
; %bb.6802:
	s_mov_b32 s53, s52
	s_mov_b32 s54, s49
	s_mov_b32 s55, exec_lo
	v_cmpx_lt_i16_e32 14, v3
	s_xor_b32 s55, exec_lo, s55
	s_cbranch_execz .LBB25_6806
; %bb.6803:
	s_mov_b32 s56, -1
	s_mov_b32 s53, s52
	s_mov_b32 s54, exec_lo
	v_cmpx_eq_u16_e32 15, v3
	s_cbranch_execz .LBB25_6805
; %bb.6804:
	v_bfe_u32 v3, v84, 16, 1
	v_cmp_o_f32_e32 vcc_lo, v84, v84
	s_xor_b32 s56, exec_lo, -1
	s_or_b32 s53, s52, exec_lo
	s_delay_alu instid0(VALU_DEP_2) | instskip(NEXT) | instid1(VALU_DEP_1)
	v_add3_u32 v3, v84, v3, 0x7fff
	v_lshrrev_b32_e32 v3, 16, v3
	s_delay_alu instid0(VALU_DEP_1)
	v_cndmask_b32_e32 v3, 0x7fc0, v3, vcc_lo
	flat_store_b16 v[1:2], v3
.LBB25_6805:
	s_or_b32 exec_lo, exec_lo, s54
	s_delay_alu instid0(SALU_CYCLE_1)
	s_and_not1_b32 vcc_lo, s49, exec_lo
	s_and_b32 s54, s56, exec_lo
	s_and_not1_b32 s56, s52, exec_lo
	s_and_b32 s53, s53, exec_lo
	s_or_b32 s54, vcc_lo, s54
	s_or_b32 s53, s56, s53
                                        ; implicit-def: $vgpr3
                                        ; implicit-def: $vgpr84
                                        ; implicit-def: $vgpr1_vgpr2
.LBB25_6806:
	s_and_not1_saveexec_b32 s55, s55
	s_cbranch_execz .LBB25_6810
; %bb.6807:
	s_mov_b32 s57, -1
	s_mov_b32 s56, s53
	s_mov_b32 s58, exec_lo
	v_cmpx_eq_u16_e32 11, v3
	s_cbranch_execz .LBB25_6809
; %bb.6808:
	v_cmp_neq_f32_e32 vcc_lo, 0, v84
	s_xor_b32 s57, exec_lo, -1
	s_or_b32 s56, s53, exec_lo
	v_cndmask_b32_e64 v3, 0, 1, vcc_lo
	flat_store_b8 v[1:2], v3
.LBB25_6809:
	s_or_b32 exec_lo, exec_lo, s58
	s_delay_alu instid0(SALU_CYCLE_1)
	s_and_not1_b32 vcc_lo, s54, exec_lo
	s_and_b32 s54, s57, exec_lo
	s_and_not1_b32 s53, s53, exec_lo
	s_and_b32 s56, s56, exec_lo
	s_or_b32 s54, vcc_lo, s54
	s_or_b32 s53, s53, s56
.LBB25_6810:
	s_or_b32 exec_lo, exec_lo, s55
	s_delay_alu instid0(SALU_CYCLE_1)
	s_and_not1_b32 vcc_lo, s49, exec_lo
	s_and_b32 s54, s54, exec_lo
	s_and_not1_b32 s52, s52, exec_lo
	s_and_b32 s53, s53, exec_lo
	s_or_b32 vcc_lo, vcc_lo, s54
	s_or_b32 s52, s52, s53
.LBB25_6811:
	s_or_b32 exec_lo, exec_lo, s51
	s_delay_alu instid0(SALU_CYCLE_1)
	s_and_not1_b32 s49, s49, exec_lo
	s_and_b32 vcc_lo, vcc_lo, exec_lo
	s_and_not1_b32 s0, s0, exec_lo
	s_and_b32 s51, s52, exec_lo
	s_or_b32 s49, s49, vcc_lo
	s_or_b32 s0, s0, s51
.LBB25_6812:
	s_or_b32 exec_lo, exec_lo, s50
	s_delay_alu instid0(SALU_CYCLE_1)
	s_and_not1_b32 vcc_lo, s45, exec_lo
	s_and_b32 s49, s49, exec_lo
	s_and_b32 s0, s0, exec_lo
	s_or_b32 s49, vcc_lo, s49
                                        ; implicit-def: $vgpr3
                                        ; implicit-def: $vgpr84
                                        ; implicit-def: $vgpr1_vgpr2
	s_and_not1_saveexec_b32 s47, s47
	s_cbranch_execz .LBB25_3986
.LBB25_6813:
	s_mov_b32 s50, exec_lo
	v_cmpx_lt_i16_e32 4, v3
	s_xor_b32 s50, exec_lo, s50
	s_cbranch_execz .LBB25_6835
; %bb.6814:
	s_mov_b32 s51, exec_lo
	v_cmpx_lt_i16_e32 7, v3
	s_xor_b32 s51, exec_lo, s51
	s_cbranch_execz .LBB25_6824
; %bb.6815:
	;; [unrolled: 5-line block ×3, first 2 shown]
	v_cmp_lt_i16_e32 vcc_lo, 9, v3
	s_and_saveexec_b32 s53, vcc_lo
	s_delay_alu instid0(SALU_CYCLE_1)
	s_xor_b32 vcc_lo, exec_lo, s53
	s_cbranch_execz .LBB25_6818
; %bb.6817:
	v_cvt_f64_f32_e32 v[3:4], v84
	v_mov_b32_e32 v5, 0
                                        ; implicit-def: $vgpr84
	s_delay_alu instid0(VALU_DEP_1)
	v_mov_b32_e32 v6, v5
	flat_store_b128 v[1:2], v[3:6]
                                        ; implicit-def: $vgpr1_vgpr2
.LBB25_6818:
	s_and_not1_saveexec_b32 vcc_lo, vcc_lo
	s_cbranch_execz .LBB25_6820
; %bb.6819:
	v_mov_b32_e32 v85, 0
	flat_store_b64 v[1:2], v[84:85]
.LBB25_6820:
	s_or_b32 exec_lo, exec_lo, vcc_lo
                                        ; implicit-def: $vgpr84
                                        ; implicit-def: $vgpr1_vgpr2
.LBB25_6821:
	s_and_not1_saveexec_b32 vcc_lo, s52
	s_cbranch_execz .LBB25_6823
; %bb.6822:
	v_cvt_f16_f32_e32 v3, v84
	s_delay_alu instid0(VALU_DEP_1)
	v_and_b32_e32 v3, 0xffff, v3
	flat_store_b32 v[1:2], v3
.LBB25_6823:
	s_or_b32 exec_lo, exec_lo, vcc_lo
                                        ; implicit-def: $vgpr84
                                        ; implicit-def: $vgpr1_vgpr2
                                        ; implicit-def: $vgpr3
.LBB25_6824:
	s_and_not1_saveexec_b32 s51, s51
	s_cbranch_execz .LBB25_6834
; %bb.6825:
	s_mov_b32 s52, exec_lo
	v_cmpx_lt_i16_e32 5, v3
	s_xor_b32 s52, exec_lo, s52
	s_cbranch_execz .LBB25_6831
; %bb.6826:
	v_cmp_lt_i16_e32 vcc_lo, 6, v3
	s_and_saveexec_b32 s53, vcc_lo
	s_delay_alu instid0(SALU_CYCLE_1)
	s_xor_b32 vcc_lo, exec_lo, s53
	s_cbranch_execz .LBB25_6828
; %bb.6827:
	v_cvt_f64_f32_e32 v[3:4], v84
                                        ; implicit-def: $vgpr84
	flat_store_b64 v[1:2], v[3:4]
                                        ; implicit-def: $vgpr1_vgpr2
.LBB25_6828:
	s_and_not1_saveexec_b32 vcc_lo, vcc_lo
	s_cbranch_execz .LBB25_6830
; %bb.6829:
	flat_store_b32 v[1:2], v84
.LBB25_6830:
	s_or_b32 exec_lo, exec_lo, vcc_lo
                                        ; implicit-def: $vgpr84
                                        ; implicit-def: $vgpr1_vgpr2
.LBB25_6831:
	s_and_not1_saveexec_b32 vcc_lo, s52
	s_cbranch_execz .LBB25_6833
; %bb.6832:
	v_cvt_f16_f32_e32 v3, v84
	flat_store_b16 v[1:2], v3
.LBB25_6833:
	s_or_b32 exec_lo, exec_lo, vcc_lo
.LBB25_6834:
	s_delay_alu instid0(SALU_CYCLE_1)
	s_or_b32 exec_lo, exec_lo, s51
                                        ; implicit-def: $vgpr3
                                        ; implicit-def: $vgpr84
                                        ; implicit-def: $vgpr1_vgpr2
.LBB25_6835:
	s_and_not1_saveexec_b32 s50, s50
	s_cbranch_execz .LBB25_6853
; %bb.6836:
	s_mov_b32 s51, exec_lo
	v_cmpx_lt_i16_e32 1, v3
	s_xor_b32 s51, exec_lo, s51
	s_cbranch_execz .LBB25_6846
; %bb.6837:
	s_mov_b32 s52, exec_lo
	v_cmpx_lt_i16_e32 2, v3
	s_xor_b32 s52, exec_lo, s52
	;; [unrolled: 5-line block ×3, first 2 shown]
	s_cbranch_execz .LBB25_6840
; %bb.6839:
	v_trunc_f32_e32 v3, v84
                                        ; implicit-def: $vgpr84
	s_delay_alu instid0(VALU_DEP_1) | instskip(SKIP_1) | instid1(VALU_DEP_2)
	v_mul_f32_e64 v4, 0x2f800000, |v3|
	v_ashrrev_i32_e32 v6, 31, v3
	v_floor_f32_e32 v4, v4
	s_delay_alu instid0(VALU_DEP_1) | instskip(SKIP_1) | instid1(VALU_DEP_2)
	v_fma_f32 v5, 0xcf800000, v4, |v3|
	v_cvt_u32_f32_e32 v4, v4
	v_cvt_u32_f32_e32 v3, v5
	s_delay_alu instid0(VALU_DEP_2) | instskip(NEXT) | instid1(VALU_DEP_2)
	v_xor_b32_e32 v4, v4, v6
	v_xor_b32_e32 v3, v3, v6
	s_delay_alu instid0(VALU_DEP_1) | instskip(NEXT) | instid1(VALU_DEP_3)
	v_sub_co_u32 v3, vcc_lo, v3, v6
	v_sub_co_ci_u32_e32 v4, vcc_lo, v4, v6, vcc_lo
	flat_store_b64 v[1:2], v[3:4]
                                        ; implicit-def: $vgpr1_vgpr2
.LBB25_6840:
	s_and_not1_saveexec_b32 vcc_lo, s53
	s_cbranch_execz .LBB25_6842
; %bb.6841:
	v_cvt_i32_f32_e32 v3, v84
	flat_store_b32 v[1:2], v3
.LBB25_6842:
	s_or_b32 exec_lo, exec_lo, vcc_lo
                                        ; implicit-def: $vgpr84
                                        ; implicit-def: $vgpr1_vgpr2
.LBB25_6843:
	s_and_not1_saveexec_b32 vcc_lo, s52
	s_cbranch_execz .LBB25_6845
; %bb.6844:
	v_cvt_i32_f32_e32 v3, v84
	flat_store_b16 v[1:2], v3
.LBB25_6845:
	s_or_b32 exec_lo, exec_lo, vcc_lo
                                        ; implicit-def: $vgpr84
                                        ; implicit-def: $vgpr1_vgpr2
                                        ; implicit-def: $vgpr3
.LBB25_6846:
	s_and_not1_saveexec_b32 s51, s51
	s_cbranch_execz .LBB25_6852
; %bb.6847:
	v_cmp_lt_i16_e32 vcc_lo, 0, v3
	s_and_saveexec_b32 s52, vcc_lo
	s_delay_alu instid0(SALU_CYCLE_1)
	s_xor_b32 vcc_lo, exec_lo, s52
	s_cbranch_execz .LBB25_6849
; %bb.6848:
	v_cvt_i32_f32_e32 v3, v84
                                        ; implicit-def: $vgpr84
	flat_store_b8 v[1:2], v3
                                        ; implicit-def: $vgpr1_vgpr2
.LBB25_6849:
	s_and_not1_saveexec_b32 vcc_lo, vcc_lo
	s_cbranch_execz .LBB25_6851
; %bb.6850:
	v_trunc_f32_e32 v3, v84
	s_delay_alu instid0(VALU_DEP_1) | instskip(NEXT) | instid1(VALU_DEP_1)
	v_mul_f32_e64 v4, 0x2f800000, |v3|
	v_floor_f32_e32 v4, v4
	s_delay_alu instid0(VALU_DEP_1) | instskip(SKIP_1) | instid1(VALU_DEP_2)
	v_fma_f32 v4, 0xcf800000, v4, |v3|
	v_ashrrev_i32_e32 v3, 31, v3
	v_cvt_u32_f32_e32 v4, v4
	s_delay_alu instid0(VALU_DEP_1) | instskip(NEXT) | instid1(VALU_DEP_1)
	v_xor_b32_e32 v4, v4, v3
	v_sub_nc_u32_e32 v3, v4, v3
	flat_store_b8 v[1:2], v3
.LBB25_6851:
	s_or_b32 exec_lo, exec_lo, vcc_lo
.LBB25_6852:
	s_delay_alu instid0(SALU_CYCLE_1)
	s_or_b32 exec_lo, exec_lo, s51
.LBB25_6853:
	s_delay_alu instid0(SALU_CYCLE_1) | instskip(NEXT) | instid1(SALU_CYCLE_1)
	s_or_b32 exec_lo, exec_lo, s50
	s_or_b32 s0, s0, exec_lo
	s_or_b32 exec_lo, exec_lo, s47
	s_mov_b32 vcc_lo, 0
	s_and_saveexec_b32 s47, s0
	s_cbranch_execnz .LBB25_3987
	s_branch .LBB25_3988
.LBB25_6854:
	v_bfe_u32 v3, v99, 21, 1
	s_mov_b32 s43, exec_lo
	s_delay_alu instid0(VALU_DEP_1) | instskip(NEXT) | instid1(VALU_DEP_1)
	v_add3_u32 v3, v99, v3, 0x88fffff
	v_lshrrev_b32_e32 v3, 21, v3
	s_or_saveexec_b32 s44, vcc_lo
                                        ; implicit-def: $vcc_lo
	s_delay_alu instid0(SALU_CYCLE_1)
	s_xor_b32 exec_lo, exec_lo, s44
	s_cbranch_execz .LBB25_6019
.LBB25_6855:
	v_add_f32_e64 v3, 0x42800000, |v99|
	s_and_not1_b32 s43, s43, exec_lo
	s_delay_alu instid0(VALU_DEP_1) | instskip(NEXT) | instid1(VALU_DEP_1)
	v_and_b32_e32 v3, 0xff, v3
	v_cmp_ne_u32_e32 vcc_lo, 0, v3
	s_and_b32 s45, vcc_lo, exec_lo
	s_mov_b32 vcc_lo, 0
	s_or_b32 s43, s43, s45
	s_or_b32 exec_lo, exec_lo, s44
	v_mov_b32_e32 v4, vcc_lo
	s_and_saveexec_b32 vcc_lo, s43
	s_cbranch_execnz .LBB25_6020
	s_branch .LBB25_6021
.LBB25_6856:
	v_bfe_u32 v3, v98, 20, 1
	s_mov_b32 s44, exec_lo
	s_delay_alu instid0(VALU_DEP_1) | instskip(NEXT) | instid1(VALU_DEP_1)
	v_add3_u32 v3, v98, v3, 0x487ffff
	v_lshrrev_b32_e32 v3, 20, v3
	s_or_saveexec_b32 s45, vcc_lo
                                        ; implicit-def: $vcc_lo
	s_delay_alu instid0(SALU_CYCLE_1)
	s_xor_b32 exec_lo, exec_lo, s45
	s_cbranch_execz .LBB25_6132
.LBB25_6857:
	v_add_f32_e64 v3, 0x46000000, |v98|
	s_and_not1_b32 s44, s44, exec_lo
	s_delay_alu instid0(VALU_DEP_1) | instskip(NEXT) | instid1(VALU_DEP_1)
	v_and_b32_e32 v3, 0xff, v3
	v_cmp_ne_u32_e32 vcc_lo, 0, v3
	s_and_b32 s46, vcc_lo, exec_lo
	s_mov_b32 vcc_lo, 0
	s_or_b32 s44, s44, s46
	s_or_b32 exec_lo, exec_lo, s45
	v_mov_b32_e32 v4, vcc_lo
	s_and_saveexec_b32 vcc_lo, s44
	s_cbranch_execnz .LBB25_6133
	s_branch .LBB25_6134
.LBB25_6858:
	s_mov_b32 s51, s47
	s_mov_b32 s52, exec_lo
	v_cmpx_lt_i16_e32 25, v3
	s_xor_b32 s52, exec_lo, s52
	s_cbranch_execz .LBB25_6894
; %bb.6859:
	s_mov_b32 s53, s47
	s_mov_b32 s51, exec_lo
	v_cmpx_lt_i16_e32 28, v3
	s_xor_b32 s51, exec_lo, s51
	s_cbranch_execz .LBB25_6877
; %bb.6860:
	;; [unrolled: 6-line block ×3, first 2 shown]
	s_mov_b32 s54, 0
	s_mov_b32 s55, s47
	s_mov_b32 s0, exec_lo
	v_cmpx_lt_i16_e32 45, v3
	s_xor_b32 s0, exec_lo, s0
	s_cbranch_execz .LBB25_6865
; %bb.6862:
	s_mov_b32 s56, -1
	s_mov_b32 s55, exec_lo
	v_cmpx_eq_u16_e32 46, v3
	s_cbranch_execz .LBB25_6864
; %bb.6863:
	v_bfe_u32 v3, v83, 16, 1
	v_cmp_o_f32_e32 vcc_lo, v83, v83
	s_mov_b32 s54, exec_lo
	s_xor_b32 s56, exec_lo, -1
	s_delay_alu instid0(VALU_DEP_2) | instskip(NEXT) | instid1(VALU_DEP_1)
	v_add3_u32 v3, v83, v3, 0x7fff
	v_lshrrev_b32_e32 v3, 16, v3
	s_delay_alu instid0(VALU_DEP_1)
	v_cndmask_b32_e32 v3, 0x7fc0, v3, vcc_lo
	flat_store_b32 v[1:2], v3
.LBB25_6864:
	s_or_b32 exec_lo, exec_lo, s55
	s_delay_alu instid0(SALU_CYCLE_1)
	s_and_not1_b32 vcc_lo, s47, exec_lo
	s_and_b32 s55, s56, exec_lo
	s_and_b32 s54, s54, exec_lo
	s_or_b32 s55, vcc_lo, s55
                                        ; implicit-def: $vgpr3
                                        ; implicit-def: $vgpr1_vgpr2
                                        ; implicit-def: $vgpr83
.LBB25_6865:
	s_and_not1_saveexec_b32 s56, s0
	s_cbranch_execz .LBB25_6871
; %bb.6866:
	s_mov_b32 s58, -1
	s_mov_b32 s0, s54
	s_mov_b32 s57, exec_lo
	v_cmpx_eq_u16_e32 44, v3
	s_cbranch_execz .LBB25_6870
; %bb.6867:
	v_bfe_u32 v4, v83, 23, 8
	v_mov_b32_e32 v3, 0xff
	s_mov_b32 s58, exec_lo
	s_delay_alu instid0(VALU_DEP_2)
	v_cmpx_ne_u32_e32 0xff, v4
; %bb.6868:
	v_and_b32_e32 v3, 0x400000, v83
	v_and_or_b32 v4, 0x3fffff, v83, v4
	s_delay_alu instid0(VALU_DEP_2) | instskip(NEXT) | instid1(VALU_DEP_2)
	v_cmp_ne_u32_e32 vcc_lo, 0, v3
	v_cmp_ne_u32_e64 s0, 0, v4
	v_lshrrev_b32_e32 v3, 23, v83
	s_delay_alu instid0(VALU_DEP_2) | instskip(NEXT) | instid1(SALU_CYCLE_1)
	s_and_b32 s0, vcc_lo, s0
	v_cndmask_b32_e64 v4, 0, 1, s0
	s_delay_alu instid0(VALU_DEP_1)
	v_add_nc_u32_e32 v3, v3, v4
; %bb.6869:
	s_or_b32 exec_lo, exec_lo, s58
	s_delay_alu instid0(SALU_CYCLE_1)
	s_xor_b32 s58, exec_lo, -1
	s_or_b32 s0, s54, exec_lo
	flat_store_b8 v[1:2], v3
.LBB25_6870:
	s_or_b32 exec_lo, exec_lo, s57
	s_delay_alu instid0(SALU_CYCLE_1)
	s_and_not1_b32 vcc_lo, s55, exec_lo
	s_and_b32 s55, s58, exec_lo
	s_and_not1_b32 s54, s54, exec_lo
	s_and_b32 s0, s0, exec_lo
	s_or_b32 s55, vcc_lo, s55
	s_or_b32 s54, s54, s0
.LBB25_6871:
	s_or_b32 exec_lo, exec_lo, s56
	s_delay_alu instid0(SALU_CYCLE_1) | instskip(SKIP_1) | instid1(SALU_CYCLE_1)
	s_and_not1_b32 s0, s47, exec_lo
	s_and_b32 vcc_lo, s55, exec_lo
                                        ; implicit-def: $vgpr3
                                        ; implicit-def: $vgpr83
                                        ; implicit-def: $vgpr1_vgpr2
	s_or_b32 s55, s0, vcc_lo
	s_and_b32 s0, s54, exec_lo
.LBB25_6872:
	s_and_not1_saveexec_b32 s53, s53
	s_cbranch_execz .LBB25_6876
; %bb.6873:
	s_mov_b32 s57, -1
	s_mov_b32 s56, s0
	s_mov_b32 s54, exec_lo
	v_cmpx_eq_u16_e32 29, v3
	s_cbranch_execz .LBB25_6875
; %bb.6874:
	v_trunc_f32_e32 v3, v83
	s_xor_b32 s57, exec_lo, -1
	s_or_b32 s56, s0, exec_lo
	s_delay_alu instid0(VALU_DEP_1) | instskip(NEXT) | instid1(VALU_DEP_1)
	v_mul_f32_e32 v4, 0x2f800000, v3
	v_floor_f32_e32 v4, v4
	s_delay_alu instid0(VALU_DEP_1) | instskip(SKIP_1) | instid1(VALU_DEP_2)
	v_fmamk_f32 v3, v4, 0xcf800000, v3
	v_cvt_u32_f32_e32 v4, v4
	v_cvt_u32_f32_e32 v3, v3
	flat_store_b64 v[1:2], v[3:4]
.LBB25_6875:
	s_or_b32 exec_lo, exec_lo, s54
	s_delay_alu instid0(SALU_CYCLE_1)
	s_and_not1_b32 vcc_lo, s55, exec_lo
	s_and_b32 s54, s57, exec_lo
	s_and_not1_b32 s0, s0, exec_lo
	s_and_b32 s56, s56, exec_lo
	s_or_b32 s55, vcc_lo, s54
	s_or_b32 s0, s0, s56
.LBB25_6876:
	s_or_b32 exec_lo, exec_lo, s53
	s_delay_alu instid0(SALU_CYCLE_1)
	s_and_not1_b32 vcc_lo, s47, exec_lo
	s_and_b32 s53, s55, exec_lo
	s_and_b32 s0, s0, exec_lo
	s_or_b32 s53, vcc_lo, s53
                                        ; implicit-def: $vgpr1_vgpr2
                                        ; implicit-def: $vgpr3
                                        ; implicit-def: $vgpr83
.LBB25_6877:
	s_and_not1_saveexec_b32 s51, s51
	s_cbranch_execz .LBB25_6893
; %bb.6878:
	s_mov_b32 s54, exec_lo
	v_cmpx_lt_i16_e32 26, v3
	s_xor_b32 s54, exec_lo, s54
	s_cbranch_execz .LBB25_6884
; %bb.6879:
	v_cmp_lt_i16_e32 vcc_lo, 27, v3
	s_and_saveexec_b32 s55, vcc_lo
	s_delay_alu instid0(SALU_CYCLE_1)
	s_xor_b32 vcc_lo, exec_lo, s55
	s_cbranch_execz .LBB25_6881
; %bb.6880:
	v_cvt_u32_f32_e32 v3, v83
                                        ; implicit-def: $vgpr83
	flat_store_b32 v[1:2], v3
                                        ; implicit-def: $vgpr1_vgpr2
.LBB25_6881:
	s_and_not1_saveexec_b32 vcc_lo, vcc_lo
	s_cbranch_execz .LBB25_6883
; %bb.6882:
	v_cvt_u32_f32_e32 v3, v83
	flat_store_b16 v[1:2], v3
.LBB25_6883:
	s_or_b32 exec_lo, exec_lo, vcc_lo
                                        ; implicit-def: $vgpr1_vgpr2
                                        ; implicit-def: $vgpr83
.LBB25_6884:
	s_and_not1_saveexec_b32 s54, s54
	s_cbranch_execz .LBB25_6892
; %bb.6885:
	v_and_b32_e32 v3, 0x7fffffff, v83
	v_mov_b32_e32 v4, 0x80
	s_mov_b32 s55, exec_lo
	s_delay_alu instid0(VALU_DEP_2)
	v_cmpx_gt_u32_e32 0x43800000, v3
	s_cbranch_execz .LBB25_6891
; %bb.6886:
	v_cmp_lt_u32_e32 vcc_lo, 0x3bffffff, v3
	s_mov_b32 s56, 0
                                        ; implicit-def: $vgpr3
	s_and_saveexec_b32 s57, vcc_lo
	s_delay_alu instid0(SALU_CYCLE_1)
	s_xor_b32 vcc_lo, exec_lo, s57
	s_cbranch_execnz .LBB25_7612
; %bb.6887:
	s_or_saveexec_b32 s57, vcc_lo
                                        ; implicit-def: $vcc_lo
	s_delay_alu instid0(SALU_CYCLE_1)
	s_xor_b32 exec_lo, exec_lo, s57
	s_cbranch_execnz .LBB25_7613
.LBB25_6888:
	s_or_b32 exec_lo, exec_lo, s57
	v_mov_b32_e32 v4, vcc_lo
	s_and_saveexec_b32 vcc_lo, s56
.LBB25_6889:
	v_lshrrev_b32_e32 v4, 24, v83
	s_delay_alu instid0(VALU_DEP_1)
	v_and_or_b32 v4, 0x80, v4, v3
.LBB25_6890:
	s_or_b32 exec_lo, exec_lo, vcc_lo
.LBB25_6891:
	s_delay_alu instid0(SALU_CYCLE_1)
	s_or_b32 exec_lo, exec_lo, s55
	flat_store_b8 v[1:2], v4
.LBB25_6892:
	s_or_b32 exec_lo, exec_lo, s54
	s_delay_alu instid0(SALU_CYCLE_1)
	s_or_b32 s0, s0, exec_lo
.LBB25_6893:
	s_or_b32 exec_lo, exec_lo, s51
	s_delay_alu instid0(SALU_CYCLE_1)
	s_and_not1_b32 vcc_lo, s47, exec_lo
	s_and_b32 s51, s53, exec_lo
	s_and_b32 s0, s0, exec_lo
	s_or_b32 s51, vcc_lo, s51
                                        ; implicit-def: $vgpr3
                                        ; implicit-def: $vgpr83
                                        ; implicit-def: $vgpr1_vgpr2
.LBB25_6894:
	s_and_not1_saveexec_b32 s52, s52
	s_cbranch_execz .LBB25_6938
; %bb.6895:
	s_mov_b32 s54, s0
	s_mov_b32 s53, exec_lo
	v_cmpx_lt_i16_e32 22, v3
	s_xor_b32 s53, exec_lo, s53
	s_cbranch_execz .LBB25_6927
; %bb.6896:
	s_mov_b32 s54, exec_lo
	v_cmpx_lt_i16_e32 23, v3
	s_xor_b32 s54, exec_lo, s54
	s_cbranch_execz .LBB25_6916
; %bb.6897:
	;; [unrolled: 5-line block ×3, first 2 shown]
	v_and_b32_e32 v3, 0x7fffffff, v83
	v_mov_b32_e32 v4, 0x80
	s_mov_b32 s56, exec_lo
	s_delay_alu instid0(VALU_DEP_2)
	v_cmpx_gt_u32_e32 0x47800000, v3
	s_cbranch_execz .LBB25_6904
; %bb.6899:
	v_cmp_lt_u32_e32 vcc_lo, 0x37ffffff, v3
	s_mov_b32 s57, 0
                                        ; implicit-def: $vgpr3
	s_and_saveexec_b32 s58, vcc_lo
	s_delay_alu instid0(SALU_CYCLE_1)
	s_xor_b32 vcc_lo, exec_lo, s58
	s_cbranch_execnz .LBB25_7736
; %bb.6900:
	s_or_saveexec_b32 s58, vcc_lo
                                        ; implicit-def: $vcc_lo
	s_delay_alu instid0(SALU_CYCLE_1)
	s_xor_b32 exec_lo, exec_lo, s58
	s_cbranch_execnz .LBB25_7737
.LBB25_6901:
	s_or_b32 exec_lo, exec_lo, s58
	v_mov_b32_e32 v4, vcc_lo
	s_and_saveexec_b32 vcc_lo, s57
.LBB25_6902:
	v_lshrrev_b32_e32 v4, 24, v83
	s_delay_alu instid0(VALU_DEP_1)
	v_and_or_b32 v4, 0x80, v4, v3
.LBB25_6903:
	s_or_b32 exec_lo, exec_lo, vcc_lo
.LBB25_6904:
	s_delay_alu instid0(SALU_CYCLE_1)
	s_or_b32 exec_lo, exec_lo, s56
	flat_store_b8 v[1:2], v4
                                        ; implicit-def: $vgpr83
                                        ; implicit-def: $vgpr1_vgpr2
.LBB25_6905:
	s_and_not1_saveexec_b32 s55, s55
	s_cbranch_execz .LBB25_6915
; %bb.6906:
	v_and_b32_e32 v4, 0x7fffffff, v83
	s_mov_b32 s56, exec_lo
                                        ; implicit-def: $vgpr3
	s_delay_alu instid0(VALU_DEP_1)
	v_cmpx_gt_u32_e32 0x43f00000, v4
	s_xor_b32 s56, exec_lo, s56
	s_cbranch_execz .LBB25_6912
; %bb.6907:
	s_mov_b32 s57, exec_lo
                                        ; implicit-def: $vgpr3
	v_cmpx_lt_u32_e32 0x3c7fffff, v4
	s_xor_b32 s57, exec_lo, s57
; %bb.6908:
	v_bfe_u32 v3, v83, 20, 1
	s_delay_alu instid0(VALU_DEP_1) | instskip(NEXT) | instid1(VALU_DEP_1)
	v_add3_u32 v3, v83, v3, 0x407ffff
	v_and_b32_e32 v4, 0xff00000, v3
	v_lshrrev_b32_e32 v3, 20, v3
	s_delay_alu instid0(VALU_DEP_2) | instskip(NEXT) | instid1(VALU_DEP_2)
	v_cmp_ne_u32_e32 vcc_lo, 0x7f00000, v4
	v_cndmask_b32_e32 v3, 0x7e, v3, vcc_lo
; %bb.6909:
	s_and_not1_saveexec_b32 vcc_lo, s57
; %bb.6910:
	v_add_f32_e64 v3, 0x46800000, |v83|
; %bb.6911:
	s_or_b32 exec_lo, exec_lo, vcc_lo
                                        ; implicit-def: $vgpr4
.LBB25_6912:
	s_and_not1_saveexec_b32 s56, s56
; %bb.6913:
	v_mov_b32_e32 v3, 0x7f
	v_cmp_lt_u32_e32 vcc_lo, 0x7f800000, v4
	s_delay_alu instid0(VALU_DEP_2)
	v_cndmask_b32_e32 v3, 0x7e, v3, vcc_lo
; %bb.6914:
	s_or_b32 exec_lo, exec_lo, s56
	v_lshrrev_b32_e32 v4, 24, v83
	s_delay_alu instid0(VALU_DEP_1)
	v_and_or_b32 v3, 0x80, v4, v3
	flat_store_b8 v[1:2], v3
.LBB25_6915:
	s_or_b32 exec_lo, exec_lo, s55
                                        ; implicit-def: $vgpr83
                                        ; implicit-def: $vgpr1_vgpr2
.LBB25_6916:
	s_and_not1_saveexec_b32 s54, s54
	s_cbranch_execz .LBB25_6926
; %bb.6917:
	v_and_b32_e32 v4, 0x7fffffff, v83
	s_mov_b32 s55, exec_lo
                                        ; implicit-def: $vgpr3
	s_delay_alu instid0(VALU_DEP_1)
	v_cmpx_gt_u32_e32 0x47800000, v4
	s_xor_b32 s55, exec_lo, s55
	s_cbranch_execz .LBB25_6923
; %bb.6918:
	v_cmp_lt_u32_e32 vcc_lo, 0x387fffff, v4
                                        ; implicit-def: $vgpr3
	s_and_saveexec_b32 s56, vcc_lo
	s_delay_alu instid0(SALU_CYCLE_1)
	s_xor_b32 vcc_lo, exec_lo, s56
; %bb.6919:
	v_bfe_u32 v3, v83, 21, 1
	s_delay_alu instid0(VALU_DEP_1) | instskip(NEXT) | instid1(VALU_DEP_1)
	v_add3_u32 v3, v83, v3, 0x80fffff
	v_lshrrev_b32_e32 v3, 21, v3
; %bb.6920:
	s_and_not1_saveexec_b32 vcc_lo, vcc_lo
; %bb.6921:
	v_add_f32_e64 v3, 0x43000000, |v83|
; %bb.6922:
	s_or_b32 exec_lo, exec_lo, vcc_lo
                                        ; implicit-def: $vgpr4
.LBB25_6923:
	s_and_not1_saveexec_b32 s55, s55
; %bb.6924:
	v_mov_b32_e32 v3, 0x7f
	v_cmp_lt_u32_e32 vcc_lo, 0x7f800000, v4
	s_delay_alu instid0(VALU_DEP_2)
	v_cndmask_b32_e32 v3, 0x7c, v3, vcc_lo
; %bb.6925:
	s_or_b32 exec_lo, exec_lo, s55
	v_lshrrev_b32_e32 v4, 24, v83
	s_delay_alu instid0(VALU_DEP_1)
	v_and_or_b32 v3, 0x80, v4, v3
	flat_store_b8 v[1:2], v3
.LBB25_6926:
	s_or_b32 exec_lo, exec_lo, s54
	s_delay_alu instid0(SALU_CYCLE_1)
	s_or_b32 s54, s0, exec_lo
                                        ; implicit-def: $vgpr3
                                        ; implicit-def: $vgpr83
                                        ; implicit-def: $vgpr1_vgpr2
.LBB25_6927:
	s_or_saveexec_b32 s53, s53
	s_mov_b32 vcc_lo, s51
	s_xor_b32 exec_lo, exec_lo, s53
	s_cbranch_execz .LBB25_6937
; %bb.6928:
	s_mov_b32 s55, s54
	s_mov_b32 s56, s51
	s_mov_b32 s57, exec_lo
	v_cmpx_lt_i16_e32 14, v3
	s_xor_b32 s57, exec_lo, s57
	s_cbranch_execz .LBB25_6932
; %bb.6929:
	s_mov_b32 s58, -1
	s_mov_b32 s55, s54
	s_mov_b32 s56, exec_lo
	v_cmpx_eq_u16_e32 15, v3
	s_cbranch_execz .LBB25_6931
; %bb.6930:
	v_bfe_u32 v3, v83, 16, 1
	v_cmp_o_f32_e32 vcc_lo, v83, v83
	s_xor_b32 s58, exec_lo, -1
	s_or_b32 s55, s54, exec_lo
	s_delay_alu instid0(VALU_DEP_2) | instskip(NEXT) | instid1(VALU_DEP_1)
	v_add3_u32 v3, v83, v3, 0x7fff
	v_lshrrev_b32_e32 v3, 16, v3
	s_delay_alu instid0(VALU_DEP_1)
	v_cndmask_b32_e32 v3, 0x7fc0, v3, vcc_lo
	flat_store_b16 v[1:2], v3
.LBB25_6931:
	s_or_b32 exec_lo, exec_lo, s56
	s_delay_alu instid0(SALU_CYCLE_1)
	s_and_not1_b32 vcc_lo, s51, exec_lo
	s_and_b32 s56, s58, exec_lo
	s_and_not1_b32 s58, s54, exec_lo
	s_and_b32 s55, s55, exec_lo
	s_or_b32 s56, vcc_lo, s56
	s_or_b32 s55, s58, s55
                                        ; implicit-def: $vgpr3
                                        ; implicit-def: $vgpr83
                                        ; implicit-def: $vgpr1_vgpr2
.LBB25_6932:
	s_and_not1_saveexec_b32 s57, s57
	s_cbranch_execz .LBB25_6936
; %bb.6933:
	s_mov_b32 s59, -1
	s_mov_b32 s58, s55
	s_mov_b32 s60, exec_lo
	v_cmpx_eq_u16_e32 11, v3
	s_cbranch_execz .LBB25_6935
; %bb.6934:
	v_cmp_neq_f32_e32 vcc_lo, 0, v83
	s_xor_b32 s59, exec_lo, -1
	s_or_b32 s58, s55, exec_lo
	v_cndmask_b32_e64 v3, 0, 1, vcc_lo
	flat_store_b8 v[1:2], v3
.LBB25_6935:
	s_or_b32 exec_lo, exec_lo, s60
	s_delay_alu instid0(SALU_CYCLE_1)
	s_and_not1_b32 vcc_lo, s56, exec_lo
	s_and_b32 s56, s59, exec_lo
	s_and_not1_b32 s55, s55, exec_lo
	s_and_b32 s58, s58, exec_lo
	s_or_b32 s56, vcc_lo, s56
	s_or_b32 s55, s55, s58
.LBB25_6936:
	s_or_b32 exec_lo, exec_lo, s57
	s_delay_alu instid0(SALU_CYCLE_1)
	s_and_not1_b32 vcc_lo, s51, exec_lo
	s_and_b32 s56, s56, exec_lo
	s_and_not1_b32 s54, s54, exec_lo
	s_and_b32 s55, s55, exec_lo
	s_or_b32 vcc_lo, vcc_lo, s56
	s_or_b32 s54, s54, s55
.LBB25_6937:
	s_or_b32 exec_lo, exec_lo, s53
	s_delay_alu instid0(SALU_CYCLE_1)
	s_and_not1_b32 s51, s51, exec_lo
	s_and_b32 vcc_lo, vcc_lo, exec_lo
	s_and_not1_b32 s0, s0, exec_lo
	s_and_b32 s53, s54, exec_lo
	s_or_b32 s51, s51, vcc_lo
	s_or_b32 s0, s0, s53
.LBB25_6938:
	s_or_b32 exec_lo, exec_lo, s52
	s_delay_alu instid0(SALU_CYCLE_1)
	s_and_not1_b32 vcc_lo, s47, exec_lo
	s_and_b32 s51, s51, exec_lo
	s_and_b32 s0, s0, exec_lo
	s_or_b32 s51, vcc_lo, s51
                                        ; implicit-def: $vgpr3
                                        ; implicit-def: $vgpr83
                                        ; implicit-def: $vgpr1_vgpr2
	s_and_not1_saveexec_b32 s49, s49
	s_cbranch_execz .LBB25_3993
.LBB25_6939:
	s_mov_b32 s52, exec_lo
	v_cmpx_lt_i16_e32 4, v3
	s_xor_b32 s52, exec_lo, s52
	s_cbranch_execz .LBB25_6961
; %bb.6940:
	s_mov_b32 s53, exec_lo
	v_cmpx_lt_i16_e32 7, v3
	s_xor_b32 s53, exec_lo, s53
	s_cbranch_execz .LBB25_6950
; %bb.6941:
	;; [unrolled: 5-line block ×3, first 2 shown]
	v_cmp_lt_i16_e32 vcc_lo, 9, v3
	s_and_saveexec_b32 s55, vcc_lo
	s_delay_alu instid0(SALU_CYCLE_1)
	s_xor_b32 vcc_lo, exec_lo, s55
	s_cbranch_execz .LBB25_6944
; %bb.6943:
	v_cvt_f64_f32_e32 v[3:4], v83
	v_mov_b32_e32 v5, 0
                                        ; implicit-def: $vgpr83
	s_delay_alu instid0(VALU_DEP_1)
	v_mov_b32_e32 v6, v5
	flat_store_b128 v[1:2], v[3:6]
                                        ; implicit-def: $vgpr1_vgpr2
.LBB25_6944:
	s_and_not1_saveexec_b32 vcc_lo, vcc_lo
	s_cbranch_execz .LBB25_6946
; %bb.6945:
	v_mov_b32_e32 v84, 0
	flat_store_b64 v[1:2], v[83:84]
.LBB25_6946:
	s_or_b32 exec_lo, exec_lo, vcc_lo
                                        ; implicit-def: $vgpr83
                                        ; implicit-def: $vgpr1_vgpr2
.LBB25_6947:
	s_and_not1_saveexec_b32 vcc_lo, s54
	s_cbranch_execz .LBB25_6949
; %bb.6948:
	v_cvt_f16_f32_e32 v3, v83
	s_delay_alu instid0(VALU_DEP_1)
	v_and_b32_e32 v3, 0xffff, v3
	flat_store_b32 v[1:2], v3
.LBB25_6949:
	s_or_b32 exec_lo, exec_lo, vcc_lo
                                        ; implicit-def: $vgpr83
                                        ; implicit-def: $vgpr1_vgpr2
                                        ; implicit-def: $vgpr3
.LBB25_6950:
	s_and_not1_saveexec_b32 s53, s53
	s_cbranch_execz .LBB25_6960
; %bb.6951:
	s_mov_b32 s54, exec_lo
	v_cmpx_lt_i16_e32 5, v3
	s_xor_b32 s54, exec_lo, s54
	s_cbranch_execz .LBB25_6957
; %bb.6952:
	v_cmp_lt_i16_e32 vcc_lo, 6, v3
	s_and_saveexec_b32 s55, vcc_lo
	s_delay_alu instid0(SALU_CYCLE_1)
	s_xor_b32 vcc_lo, exec_lo, s55
	s_cbranch_execz .LBB25_6954
; %bb.6953:
	v_cvt_f64_f32_e32 v[3:4], v83
                                        ; implicit-def: $vgpr83
	flat_store_b64 v[1:2], v[3:4]
                                        ; implicit-def: $vgpr1_vgpr2
.LBB25_6954:
	s_and_not1_saveexec_b32 vcc_lo, vcc_lo
	s_cbranch_execz .LBB25_6956
; %bb.6955:
	flat_store_b32 v[1:2], v83
.LBB25_6956:
	s_or_b32 exec_lo, exec_lo, vcc_lo
                                        ; implicit-def: $vgpr83
                                        ; implicit-def: $vgpr1_vgpr2
.LBB25_6957:
	s_and_not1_saveexec_b32 vcc_lo, s54
	s_cbranch_execz .LBB25_6959
; %bb.6958:
	v_cvt_f16_f32_e32 v3, v83
	flat_store_b16 v[1:2], v3
.LBB25_6959:
	s_or_b32 exec_lo, exec_lo, vcc_lo
.LBB25_6960:
	s_delay_alu instid0(SALU_CYCLE_1)
	s_or_b32 exec_lo, exec_lo, s53
                                        ; implicit-def: $vgpr3
                                        ; implicit-def: $vgpr83
                                        ; implicit-def: $vgpr1_vgpr2
.LBB25_6961:
	s_and_not1_saveexec_b32 s52, s52
	s_cbranch_execz .LBB25_6979
; %bb.6962:
	s_mov_b32 s53, exec_lo
	v_cmpx_lt_i16_e32 1, v3
	s_xor_b32 s53, exec_lo, s53
	s_cbranch_execz .LBB25_6972
; %bb.6963:
	s_mov_b32 s54, exec_lo
	v_cmpx_lt_i16_e32 2, v3
	s_xor_b32 s54, exec_lo, s54
	;; [unrolled: 5-line block ×3, first 2 shown]
	s_cbranch_execz .LBB25_6966
; %bb.6965:
	v_trunc_f32_e32 v3, v83
                                        ; implicit-def: $vgpr83
	s_delay_alu instid0(VALU_DEP_1) | instskip(SKIP_1) | instid1(VALU_DEP_2)
	v_mul_f32_e64 v4, 0x2f800000, |v3|
	v_ashrrev_i32_e32 v6, 31, v3
	v_floor_f32_e32 v4, v4
	s_delay_alu instid0(VALU_DEP_1) | instskip(SKIP_1) | instid1(VALU_DEP_2)
	v_fma_f32 v5, 0xcf800000, v4, |v3|
	v_cvt_u32_f32_e32 v4, v4
	v_cvt_u32_f32_e32 v3, v5
	s_delay_alu instid0(VALU_DEP_2) | instskip(NEXT) | instid1(VALU_DEP_2)
	v_xor_b32_e32 v4, v4, v6
	v_xor_b32_e32 v3, v3, v6
	s_delay_alu instid0(VALU_DEP_1) | instskip(NEXT) | instid1(VALU_DEP_3)
	v_sub_co_u32 v3, vcc_lo, v3, v6
	v_sub_co_ci_u32_e32 v4, vcc_lo, v4, v6, vcc_lo
	flat_store_b64 v[1:2], v[3:4]
                                        ; implicit-def: $vgpr1_vgpr2
.LBB25_6966:
	s_and_not1_saveexec_b32 vcc_lo, s55
	s_cbranch_execz .LBB25_6968
; %bb.6967:
	v_cvt_i32_f32_e32 v3, v83
	flat_store_b32 v[1:2], v3
.LBB25_6968:
	s_or_b32 exec_lo, exec_lo, vcc_lo
                                        ; implicit-def: $vgpr83
                                        ; implicit-def: $vgpr1_vgpr2
.LBB25_6969:
	s_and_not1_saveexec_b32 vcc_lo, s54
	s_cbranch_execz .LBB25_6971
; %bb.6970:
	v_cvt_i32_f32_e32 v3, v83
	flat_store_b16 v[1:2], v3
.LBB25_6971:
	s_or_b32 exec_lo, exec_lo, vcc_lo
                                        ; implicit-def: $vgpr83
                                        ; implicit-def: $vgpr1_vgpr2
                                        ; implicit-def: $vgpr3
.LBB25_6972:
	s_and_not1_saveexec_b32 s53, s53
	s_cbranch_execz .LBB25_6978
; %bb.6973:
	v_cmp_lt_i16_e32 vcc_lo, 0, v3
	s_and_saveexec_b32 s54, vcc_lo
	s_delay_alu instid0(SALU_CYCLE_1)
	s_xor_b32 vcc_lo, exec_lo, s54
	s_cbranch_execz .LBB25_6975
; %bb.6974:
	v_cvt_i32_f32_e32 v3, v83
                                        ; implicit-def: $vgpr83
	flat_store_b8 v[1:2], v3
                                        ; implicit-def: $vgpr1_vgpr2
.LBB25_6975:
	s_and_not1_saveexec_b32 vcc_lo, vcc_lo
	s_cbranch_execz .LBB25_6977
; %bb.6976:
	v_trunc_f32_e32 v3, v83
	s_delay_alu instid0(VALU_DEP_1) | instskip(NEXT) | instid1(VALU_DEP_1)
	v_mul_f32_e64 v4, 0x2f800000, |v3|
	v_floor_f32_e32 v4, v4
	s_delay_alu instid0(VALU_DEP_1) | instskip(SKIP_1) | instid1(VALU_DEP_2)
	v_fma_f32 v4, 0xcf800000, v4, |v3|
	v_ashrrev_i32_e32 v3, 31, v3
	v_cvt_u32_f32_e32 v4, v4
	s_delay_alu instid0(VALU_DEP_1) | instskip(NEXT) | instid1(VALU_DEP_1)
	v_xor_b32_e32 v4, v4, v3
	v_sub_nc_u32_e32 v3, v4, v3
	flat_store_b8 v[1:2], v3
.LBB25_6977:
	s_or_b32 exec_lo, exec_lo, vcc_lo
.LBB25_6978:
	s_delay_alu instid0(SALU_CYCLE_1)
	s_or_b32 exec_lo, exec_lo, s53
.LBB25_6979:
	s_delay_alu instid0(SALU_CYCLE_1) | instskip(NEXT) | instid1(SALU_CYCLE_1)
	s_or_b32 exec_lo, exec_lo, s52
	s_or_b32 s0, s0, exec_lo
	s_or_b32 exec_lo, exec_lo, s49
	s_mov_b32 vcc_lo, 0
	s_and_saveexec_b32 s49, s0
	s_cbranch_execnz .LBB25_3994
	s_branch .LBB25_3995
.LBB25_6980:
	v_bfe_u32 v3, v98, 21, 1
	s_mov_b32 s45, exec_lo
	s_delay_alu instid0(VALU_DEP_1) | instskip(NEXT) | instid1(VALU_DEP_1)
	v_add3_u32 v3, v98, v3, 0x88fffff
	v_lshrrev_b32_e32 v3, 21, v3
	s_or_saveexec_b32 s46, vcc_lo
                                        ; implicit-def: $vcc_lo
	s_delay_alu instid0(SALU_CYCLE_1)
	s_xor_b32 exec_lo, exec_lo, s46
	s_cbranch_execz .LBB25_6145
.LBB25_6981:
	v_add_f32_e64 v3, 0x42800000, |v98|
	s_and_not1_b32 s45, s45, exec_lo
	s_delay_alu instid0(VALU_DEP_1) | instskip(NEXT) | instid1(VALU_DEP_1)
	v_and_b32_e32 v3, 0xff, v3
	v_cmp_ne_u32_e32 vcc_lo, 0, v3
	s_and_b32 s47, vcc_lo, exec_lo
	s_mov_b32 vcc_lo, 0
	s_or_b32 s45, s45, s47
	s_or_b32 exec_lo, exec_lo, s46
	v_mov_b32_e32 v4, vcc_lo
	s_and_saveexec_b32 vcc_lo, s45
	s_cbranch_execnz .LBB25_6146
	s_branch .LBB25_6147
.LBB25_6982:
	v_bfe_u32 v3, v97, 20, 1
	s_mov_b32 s46, exec_lo
	s_delay_alu instid0(VALU_DEP_1) | instskip(NEXT) | instid1(VALU_DEP_1)
	v_add3_u32 v3, v97, v3, 0x487ffff
	v_lshrrev_b32_e32 v3, 20, v3
	s_or_saveexec_b32 s47, vcc_lo
                                        ; implicit-def: $vcc_lo
	s_delay_alu instid0(SALU_CYCLE_1)
	s_xor_b32 exec_lo, exec_lo, s47
	s_cbranch_execz .LBB25_6258
.LBB25_6983:
	v_add_f32_e64 v3, 0x46000000, |v97|
	s_and_not1_b32 s46, s46, exec_lo
	s_delay_alu instid0(VALU_DEP_1) | instskip(NEXT) | instid1(VALU_DEP_1)
	v_and_b32_e32 v3, 0xff, v3
	v_cmp_ne_u32_e32 vcc_lo, 0, v3
	s_and_b32 s48, vcc_lo, exec_lo
	s_mov_b32 vcc_lo, 0
	s_or_b32 s46, s46, s48
	s_or_b32 exec_lo, exec_lo, s47
	v_mov_b32_e32 v4, vcc_lo
	s_and_saveexec_b32 vcc_lo, s46
	s_cbranch_execnz .LBB25_6259
	s_branch .LBB25_6260
.LBB25_6984:
	s_mov_b32 s53, s49
	s_mov_b32 s54, exec_lo
	v_cmpx_lt_i16_e32 25, v3
	s_xor_b32 s54, exec_lo, s54
	s_cbranch_execz .LBB25_7020
; %bb.6985:
	s_mov_b32 s55, s49
	s_mov_b32 s53, exec_lo
	v_cmpx_lt_i16_e32 28, v3
	s_xor_b32 s53, exec_lo, s53
	s_cbranch_execz .LBB25_7003
; %bb.6986:
	;; [unrolled: 6-line block ×3, first 2 shown]
	s_mov_b32 s56, 0
	s_mov_b32 s57, s49
	s_mov_b32 s0, exec_lo
	v_cmpx_lt_i16_e32 45, v3
	s_xor_b32 s0, exec_lo, s0
	s_cbranch_execz .LBB25_6991
; %bb.6988:
	s_mov_b32 s58, -1
	s_mov_b32 s57, exec_lo
	v_cmpx_eq_u16_e32 46, v3
	s_cbranch_execz .LBB25_6990
; %bb.6989:
	v_bfe_u32 v3, v82, 16, 1
	v_cmp_o_f32_e32 vcc_lo, v82, v82
	s_mov_b32 s56, exec_lo
	s_xor_b32 s58, exec_lo, -1
	s_delay_alu instid0(VALU_DEP_2) | instskip(NEXT) | instid1(VALU_DEP_1)
	v_add3_u32 v3, v82, v3, 0x7fff
	v_lshrrev_b32_e32 v3, 16, v3
	s_delay_alu instid0(VALU_DEP_1)
	v_cndmask_b32_e32 v3, 0x7fc0, v3, vcc_lo
	flat_store_b32 v[1:2], v3
.LBB25_6990:
	s_or_b32 exec_lo, exec_lo, s57
	s_delay_alu instid0(SALU_CYCLE_1)
	s_and_not1_b32 vcc_lo, s49, exec_lo
	s_and_b32 s57, s58, exec_lo
	s_and_b32 s56, s56, exec_lo
	s_or_b32 s57, vcc_lo, s57
                                        ; implicit-def: $vgpr3
                                        ; implicit-def: $vgpr1_vgpr2
                                        ; implicit-def: $vgpr82
.LBB25_6991:
	s_and_not1_saveexec_b32 s58, s0
	s_cbranch_execz .LBB25_6997
; %bb.6992:
	s_mov_b32 s60, -1
	s_mov_b32 s0, s56
	s_mov_b32 s59, exec_lo
	v_cmpx_eq_u16_e32 44, v3
	s_cbranch_execz .LBB25_6996
; %bb.6993:
	v_bfe_u32 v4, v82, 23, 8
	v_mov_b32_e32 v3, 0xff
	s_mov_b32 s60, exec_lo
	s_delay_alu instid0(VALU_DEP_2)
	v_cmpx_ne_u32_e32 0xff, v4
; %bb.6994:
	v_and_b32_e32 v3, 0x400000, v82
	v_and_or_b32 v4, 0x3fffff, v82, v4
	s_delay_alu instid0(VALU_DEP_2) | instskip(NEXT) | instid1(VALU_DEP_2)
	v_cmp_ne_u32_e32 vcc_lo, 0, v3
	v_cmp_ne_u32_e64 s0, 0, v4
	v_lshrrev_b32_e32 v3, 23, v82
	s_delay_alu instid0(VALU_DEP_2) | instskip(NEXT) | instid1(SALU_CYCLE_1)
	s_and_b32 s0, vcc_lo, s0
	v_cndmask_b32_e64 v4, 0, 1, s0
	s_delay_alu instid0(VALU_DEP_1)
	v_add_nc_u32_e32 v3, v3, v4
; %bb.6995:
	s_or_b32 exec_lo, exec_lo, s60
	s_delay_alu instid0(SALU_CYCLE_1)
	s_xor_b32 s60, exec_lo, -1
	s_or_b32 s0, s56, exec_lo
	flat_store_b8 v[1:2], v3
.LBB25_6996:
	s_or_b32 exec_lo, exec_lo, s59
	s_delay_alu instid0(SALU_CYCLE_1)
	s_and_not1_b32 vcc_lo, s57, exec_lo
	s_and_b32 s57, s60, exec_lo
	s_and_not1_b32 s56, s56, exec_lo
	s_and_b32 s0, s0, exec_lo
	s_or_b32 s57, vcc_lo, s57
	s_or_b32 s56, s56, s0
.LBB25_6997:
	s_or_b32 exec_lo, exec_lo, s58
	s_delay_alu instid0(SALU_CYCLE_1) | instskip(SKIP_1) | instid1(SALU_CYCLE_1)
	s_and_not1_b32 s0, s49, exec_lo
	s_and_b32 vcc_lo, s57, exec_lo
                                        ; implicit-def: $vgpr3
                                        ; implicit-def: $vgpr82
                                        ; implicit-def: $vgpr1_vgpr2
	s_or_b32 s57, s0, vcc_lo
	s_and_b32 s0, s56, exec_lo
.LBB25_6998:
	s_and_not1_saveexec_b32 s55, s55
	s_cbranch_execz .LBB25_7002
; %bb.6999:
	s_mov_b32 s59, -1
	s_mov_b32 s58, s0
	s_mov_b32 s56, exec_lo
	v_cmpx_eq_u16_e32 29, v3
	s_cbranch_execz .LBB25_7001
; %bb.7000:
	v_trunc_f32_e32 v3, v82
	s_xor_b32 s59, exec_lo, -1
	s_or_b32 s58, s0, exec_lo
	s_delay_alu instid0(VALU_DEP_1) | instskip(NEXT) | instid1(VALU_DEP_1)
	v_mul_f32_e32 v4, 0x2f800000, v3
	v_floor_f32_e32 v4, v4
	s_delay_alu instid0(VALU_DEP_1) | instskip(SKIP_1) | instid1(VALU_DEP_2)
	v_fmamk_f32 v3, v4, 0xcf800000, v3
	v_cvt_u32_f32_e32 v4, v4
	v_cvt_u32_f32_e32 v3, v3
	flat_store_b64 v[1:2], v[3:4]
.LBB25_7001:
	s_or_b32 exec_lo, exec_lo, s56
	s_delay_alu instid0(SALU_CYCLE_1)
	s_and_not1_b32 vcc_lo, s57, exec_lo
	s_and_b32 s56, s59, exec_lo
	s_and_not1_b32 s0, s0, exec_lo
	s_and_b32 s58, s58, exec_lo
	s_or_b32 s57, vcc_lo, s56
	s_or_b32 s0, s0, s58
.LBB25_7002:
	s_or_b32 exec_lo, exec_lo, s55
	s_delay_alu instid0(SALU_CYCLE_1)
	s_and_not1_b32 vcc_lo, s49, exec_lo
	s_and_b32 s55, s57, exec_lo
	s_and_b32 s0, s0, exec_lo
	s_or_b32 s55, vcc_lo, s55
                                        ; implicit-def: $vgpr1_vgpr2
                                        ; implicit-def: $vgpr3
                                        ; implicit-def: $vgpr82
.LBB25_7003:
	s_and_not1_saveexec_b32 s53, s53
	s_cbranch_execz .LBB25_7019
; %bb.7004:
	s_mov_b32 s56, exec_lo
	v_cmpx_lt_i16_e32 26, v3
	s_xor_b32 s56, exec_lo, s56
	s_cbranch_execz .LBB25_7010
; %bb.7005:
	v_cmp_lt_i16_e32 vcc_lo, 27, v3
	s_and_saveexec_b32 s57, vcc_lo
	s_delay_alu instid0(SALU_CYCLE_1)
	s_xor_b32 vcc_lo, exec_lo, s57
	s_cbranch_execz .LBB25_7007
; %bb.7006:
	v_cvt_u32_f32_e32 v3, v82
                                        ; implicit-def: $vgpr82
	flat_store_b32 v[1:2], v3
                                        ; implicit-def: $vgpr1_vgpr2
.LBB25_7007:
	s_and_not1_saveexec_b32 vcc_lo, vcc_lo
	s_cbranch_execz .LBB25_7009
; %bb.7008:
	v_cvt_u32_f32_e32 v3, v82
	flat_store_b16 v[1:2], v3
.LBB25_7009:
	s_or_b32 exec_lo, exec_lo, vcc_lo
                                        ; implicit-def: $vgpr1_vgpr2
                                        ; implicit-def: $vgpr82
.LBB25_7010:
	s_and_not1_saveexec_b32 s56, s56
	s_cbranch_execz .LBB25_7018
; %bb.7011:
	v_and_b32_e32 v3, 0x7fffffff, v82
	v_mov_b32_e32 v4, 0x80
	s_mov_b32 s57, exec_lo
	s_delay_alu instid0(VALU_DEP_2)
	v_cmpx_gt_u32_e32 0x43800000, v3
	s_cbranch_execz .LBB25_7017
; %bb.7012:
	v_cmp_lt_u32_e32 vcc_lo, 0x3bffffff, v3
	s_mov_b32 s58, 0
                                        ; implicit-def: $vgpr3
	s_and_saveexec_b32 s59, vcc_lo
	s_delay_alu instid0(SALU_CYCLE_1)
	s_xor_b32 vcc_lo, exec_lo, s59
	s_cbranch_execnz .LBB25_7738
; %bb.7013:
	s_or_saveexec_b32 s59, vcc_lo
                                        ; implicit-def: $vcc_lo
	s_delay_alu instid0(SALU_CYCLE_1)
	s_xor_b32 exec_lo, exec_lo, s59
	s_cbranch_execnz .LBB25_7739
.LBB25_7014:
	s_or_b32 exec_lo, exec_lo, s59
	v_mov_b32_e32 v4, vcc_lo
	s_and_saveexec_b32 vcc_lo, s58
.LBB25_7015:
	v_lshrrev_b32_e32 v4, 24, v82
	s_delay_alu instid0(VALU_DEP_1)
	v_and_or_b32 v4, 0x80, v4, v3
.LBB25_7016:
	s_or_b32 exec_lo, exec_lo, vcc_lo
.LBB25_7017:
	s_delay_alu instid0(SALU_CYCLE_1)
	s_or_b32 exec_lo, exec_lo, s57
	flat_store_b8 v[1:2], v4
.LBB25_7018:
	s_or_b32 exec_lo, exec_lo, s56
	s_delay_alu instid0(SALU_CYCLE_1)
	s_or_b32 s0, s0, exec_lo
.LBB25_7019:
	s_or_b32 exec_lo, exec_lo, s53
	s_delay_alu instid0(SALU_CYCLE_1)
	s_and_not1_b32 vcc_lo, s49, exec_lo
	s_and_b32 s53, s55, exec_lo
	s_and_b32 s0, s0, exec_lo
	s_or_b32 s53, vcc_lo, s53
                                        ; implicit-def: $vgpr3
                                        ; implicit-def: $vgpr82
                                        ; implicit-def: $vgpr1_vgpr2
.LBB25_7020:
	s_and_not1_saveexec_b32 s54, s54
	s_cbranch_execz .LBB25_7064
; %bb.7021:
	s_mov_b32 s56, s0
	s_mov_b32 s55, exec_lo
	v_cmpx_lt_i16_e32 22, v3
	s_xor_b32 s55, exec_lo, s55
	s_cbranch_execz .LBB25_7053
; %bb.7022:
	s_mov_b32 s56, exec_lo
	v_cmpx_lt_i16_e32 23, v3
	s_xor_b32 s56, exec_lo, s56
	s_cbranch_execz .LBB25_7042
; %bb.7023:
	;; [unrolled: 5-line block ×3, first 2 shown]
	v_and_b32_e32 v3, 0x7fffffff, v82
	v_mov_b32_e32 v4, 0x80
	s_mov_b32 s58, exec_lo
	s_delay_alu instid0(VALU_DEP_2)
	v_cmpx_gt_u32_e32 0x47800000, v3
	s_cbranch_execz .LBB25_7030
; %bb.7025:
	v_cmp_lt_u32_e32 vcc_lo, 0x37ffffff, v3
	s_mov_b32 s59, 0
                                        ; implicit-def: $vgpr3
	s_and_saveexec_b32 s60, vcc_lo
	s_delay_alu instid0(SALU_CYCLE_1)
	s_xor_b32 vcc_lo, exec_lo, s60
	s_cbranch_execnz .LBB25_7862
; %bb.7026:
	s_or_saveexec_b32 s60, vcc_lo
                                        ; implicit-def: $vcc_lo
	s_delay_alu instid0(SALU_CYCLE_1)
	s_xor_b32 exec_lo, exec_lo, s60
	s_cbranch_execnz .LBB25_7863
.LBB25_7027:
	s_or_b32 exec_lo, exec_lo, s60
	v_mov_b32_e32 v4, vcc_lo
	s_and_saveexec_b32 vcc_lo, s59
.LBB25_7028:
	v_lshrrev_b32_e32 v4, 24, v82
	s_delay_alu instid0(VALU_DEP_1)
	v_and_or_b32 v4, 0x80, v4, v3
.LBB25_7029:
	s_or_b32 exec_lo, exec_lo, vcc_lo
.LBB25_7030:
	s_delay_alu instid0(SALU_CYCLE_1)
	s_or_b32 exec_lo, exec_lo, s58
	flat_store_b8 v[1:2], v4
                                        ; implicit-def: $vgpr82
                                        ; implicit-def: $vgpr1_vgpr2
.LBB25_7031:
	s_and_not1_saveexec_b32 s57, s57
	s_cbranch_execz .LBB25_7041
; %bb.7032:
	v_and_b32_e32 v4, 0x7fffffff, v82
	s_mov_b32 s58, exec_lo
                                        ; implicit-def: $vgpr3
	s_delay_alu instid0(VALU_DEP_1)
	v_cmpx_gt_u32_e32 0x43f00000, v4
	s_xor_b32 s58, exec_lo, s58
	s_cbranch_execz .LBB25_7038
; %bb.7033:
	s_mov_b32 s59, exec_lo
                                        ; implicit-def: $vgpr3
	v_cmpx_lt_u32_e32 0x3c7fffff, v4
	s_xor_b32 s59, exec_lo, s59
; %bb.7034:
	v_bfe_u32 v3, v82, 20, 1
	s_delay_alu instid0(VALU_DEP_1) | instskip(NEXT) | instid1(VALU_DEP_1)
	v_add3_u32 v3, v82, v3, 0x407ffff
	v_and_b32_e32 v4, 0xff00000, v3
	v_lshrrev_b32_e32 v3, 20, v3
	s_delay_alu instid0(VALU_DEP_2) | instskip(NEXT) | instid1(VALU_DEP_2)
	v_cmp_ne_u32_e32 vcc_lo, 0x7f00000, v4
	v_cndmask_b32_e32 v3, 0x7e, v3, vcc_lo
; %bb.7035:
	s_and_not1_saveexec_b32 vcc_lo, s59
; %bb.7036:
	v_add_f32_e64 v3, 0x46800000, |v82|
; %bb.7037:
	s_or_b32 exec_lo, exec_lo, vcc_lo
                                        ; implicit-def: $vgpr4
.LBB25_7038:
	s_and_not1_saveexec_b32 s58, s58
; %bb.7039:
	v_mov_b32_e32 v3, 0x7f
	v_cmp_lt_u32_e32 vcc_lo, 0x7f800000, v4
	s_delay_alu instid0(VALU_DEP_2)
	v_cndmask_b32_e32 v3, 0x7e, v3, vcc_lo
; %bb.7040:
	s_or_b32 exec_lo, exec_lo, s58
	v_lshrrev_b32_e32 v4, 24, v82
	s_delay_alu instid0(VALU_DEP_1)
	v_and_or_b32 v3, 0x80, v4, v3
	flat_store_b8 v[1:2], v3
.LBB25_7041:
	s_or_b32 exec_lo, exec_lo, s57
                                        ; implicit-def: $vgpr82
                                        ; implicit-def: $vgpr1_vgpr2
.LBB25_7042:
	s_and_not1_saveexec_b32 s56, s56
	s_cbranch_execz .LBB25_7052
; %bb.7043:
	v_and_b32_e32 v4, 0x7fffffff, v82
	s_mov_b32 s57, exec_lo
                                        ; implicit-def: $vgpr3
	s_delay_alu instid0(VALU_DEP_1)
	v_cmpx_gt_u32_e32 0x47800000, v4
	s_xor_b32 s57, exec_lo, s57
	s_cbranch_execz .LBB25_7049
; %bb.7044:
	v_cmp_lt_u32_e32 vcc_lo, 0x387fffff, v4
                                        ; implicit-def: $vgpr3
	s_and_saveexec_b32 s58, vcc_lo
	s_delay_alu instid0(SALU_CYCLE_1)
	s_xor_b32 vcc_lo, exec_lo, s58
; %bb.7045:
	v_bfe_u32 v3, v82, 21, 1
	s_delay_alu instid0(VALU_DEP_1) | instskip(NEXT) | instid1(VALU_DEP_1)
	v_add3_u32 v3, v82, v3, 0x80fffff
	v_lshrrev_b32_e32 v3, 21, v3
; %bb.7046:
	s_and_not1_saveexec_b32 vcc_lo, vcc_lo
; %bb.7047:
	v_add_f32_e64 v3, 0x43000000, |v82|
; %bb.7048:
	s_or_b32 exec_lo, exec_lo, vcc_lo
                                        ; implicit-def: $vgpr4
.LBB25_7049:
	s_and_not1_saveexec_b32 s57, s57
; %bb.7050:
	v_mov_b32_e32 v3, 0x7f
	v_cmp_lt_u32_e32 vcc_lo, 0x7f800000, v4
	s_delay_alu instid0(VALU_DEP_2)
	v_cndmask_b32_e32 v3, 0x7c, v3, vcc_lo
; %bb.7051:
	s_or_b32 exec_lo, exec_lo, s57
	v_lshrrev_b32_e32 v4, 24, v82
	s_delay_alu instid0(VALU_DEP_1)
	v_and_or_b32 v3, 0x80, v4, v3
	flat_store_b8 v[1:2], v3
.LBB25_7052:
	s_or_b32 exec_lo, exec_lo, s56
	s_delay_alu instid0(SALU_CYCLE_1)
	s_or_b32 s56, s0, exec_lo
                                        ; implicit-def: $vgpr3
                                        ; implicit-def: $vgpr82
                                        ; implicit-def: $vgpr1_vgpr2
.LBB25_7053:
	s_or_saveexec_b32 s55, s55
	s_mov_b32 vcc_lo, s53
	s_xor_b32 exec_lo, exec_lo, s55
	s_cbranch_execz .LBB25_7063
; %bb.7054:
	s_mov_b32 s57, s56
	s_mov_b32 s58, s53
	s_mov_b32 s59, exec_lo
	v_cmpx_lt_i16_e32 14, v3
	s_xor_b32 s59, exec_lo, s59
	s_cbranch_execz .LBB25_7058
; %bb.7055:
	s_mov_b32 s60, -1
	s_mov_b32 s57, s56
	s_mov_b32 s58, exec_lo
	v_cmpx_eq_u16_e32 15, v3
	s_cbranch_execz .LBB25_7057
; %bb.7056:
	v_bfe_u32 v3, v82, 16, 1
	v_cmp_o_f32_e32 vcc_lo, v82, v82
	s_xor_b32 s60, exec_lo, -1
	s_or_b32 s57, s56, exec_lo
	s_delay_alu instid0(VALU_DEP_2) | instskip(NEXT) | instid1(VALU_DEP_1)
	v_add3_u32 v3, v82, v3, 0x7fff
	v_lshrrev_b32_e32 v3, 16, v3
	s_delay_alu instid0(VALU_DEP_1)
	v_cndmask_b32_e32 v3, 0x7fc0, v3, vcc_lo
	flat_store_b16 v[1:2], v3
.LBB25_7057:
	s_or_b32 exec_lo, exec_lo, s58
	s_delay_alu instid0(SALU_CYCLE_1)
	s_and_not1_b32 vcc_lo, s53, exec_lo
	s_and_b32 s58, s60, exec_lo
	s_and_not1_b32 s60, s56, exec_lo
	s_and_b32 s57, s57, exec_lo
	s_or_b32 s58, vcc_lo, s58
	s_or_b32 s57, s60, s57
                                        ; implicit-def: $vgpr3
                                        ; implicit-def: $vgpr82
                                        ; implicit-def: $vgpr1_vgpr2
.LBB25_7058:
	s_and_not1_saveexec_b32 s59, s59
	s_cbranch_execz .LBB25_7062
; %bb.7059:
	s_mov_b32 s61, -1
	s_mov_b32 s60, s57
	s_mov_b32 s62, exec_lo
	v_cmpx_eq_u16_e32 11, v3
	s_cbranch_execz .LBB25_7061
; %bb.7060:
	v_cmp_neq_f32_e32 vcc_lo, 0, v82
	s_xor_b32 s61, exec_lo, -1
	s_or_b32 s60, s57, exec_lo
	v_cndmask_b32_e64 v3, 0, 1, vcc_lo
	flat_store_b8 v[1:2], v3
.LBB25_7061:
	s_or_b32 exec_lo, exec_lo, s62
	s_delay_alu instid0(SALU_CYCLE_1)
	s_and_not1_b32 vcc_lo, s58, exec_lo
	s_and_b32 s58, s61, exec_lo
	s_and_not1_b32 s57, s57, exec_lo
	s_and_b32 s60, s60, exec_lo
	s_or_b32 s58, vcc_lo, s58
	s_or_b32 s57, s57, s60
.LBB25_7062:
	s_or_b32 exec_lo, exec_lo, s59
	s_delay_alu instid0(SALU_CYCLE_1)
	s_and_not1_b32 vcc_lo, s53, exec_lo
	s_and_b32 s58, s58, exec_lo
	s_and_not1_b32 s56, s56, exec_lo
	s_and_b32 s57, s57, exec_lo
	s_or_b32 vcc_lo, vcc_lo, s58
	s_or_b32 s56, s56, s57
.LBB25_7063:
	s_or_b32 exec_lo, exec_lo, s55
	s_delay_alu instid0(SALU_CYCLE_1)
	s_and_not1_b32 s53, s53, exec_lo
	s_and_b32 vcc_lo, vcc_lo, exec_lo
	s_and_not1_b32 s0, s0, exec_lo
	s_and_b32 s55, s56, exec_lo
	s_or_b32 s53, s53, vcc_lo
	s_or_b32 s0, s0, s55
.LBB25_7064:
	s_or_b32 exec_lo, exec_lo, s54
	s_delay_alu instid0(SALU_CYCLE_1)
	s_and_not1_b32 vcc_lo, s49, exec_lo
	s_and_b32 s53, s53, exec_lo
	s_and_b32 s0, s0, exec_lo
	s_or_b32 s53, vcc_lo, s53
                                        ; implicit-def: $vgpr3
                                        ; implicit-def: $vgpr82
                                        ; implicit-def: $vgpr1_vgpr2
	s_and_not1_saveexec_b32 s51, s51
	s_cbranch_execz .LBB25_4000
.LBB25_7065:
	s_mov_b32 s54, exec_lo
	v_cmpx_lt_i16_e32 4, v3
	s_xor_b32 s54, exec_lo, s54
	s_cbranch_execz .LBB25_7087
; %bb.7066:
	s_mov_b32 s55, exec_lo
	v_cmpx_lt_i16_e32 7, v3
	s_xor_b32 s55, exec_lo, s55
	s_cbranch_execz .LBB25_7076
; %bb.7067:
	;; [unrolled: 5-line block ×3, first 2 shown]
	v_cmp_lt_i16_e32 vcc_lo, 9, v3
	s_and_saveexec_b32 s57, vcc_lo
	s_delay_alu instid0(SALU_CYCLE_1)
	s_xor_b32 vcc_lo, exec_lo, s57
	s_cbranch_execz .LBB25_7070
; %bb.7069:
	v_cvt_f64_f32_e32 v[3:4], v82
	v_mov_b32_e32 v5, 0
                                        ; implicit-def: $vgpr82
	s_delay_alu instid0(VALU_DEP_1)
	v_mov_b32_e32 v6, v5
	flat_store_b128 v[1:2], v[3:6]
                                        ; implicit-def: $vgpr1_vgpr2
.LBB25_7070:
	s_and_not1_saveexec_b32 vcc_lo, vcc_lo
	s_cbranch_execz .LBB25_7072
; %bb.7071:
	v_mov_b32_e32 v83, 0
	flat_store_b64 v[1:2], v[82:83]
.LBB25_7072:
	s_or_b32 exec_lo, exec_lo, vcc_lo
                                        ; implicit-def: $vgpr82
                                        ; implicit-def: $vgpr1_vgpr2
.LBB25_7073:
	s_and_not1_saveexec_b32 vcc_lo, s56
	s_cbranch_execz .LBB25_7075
; %bb.7074:
	v_cvt_f16_f32_e32 v3, v82
	s_delay_alu instid0(VALU_DEP_1)
	v_and_b32_e32 v3, 0xffff, v3
	flat_store_b32 v[1:2], v3
.LBB25_7075:
	s_or_b32 exec_lo, exec_lo, vcc_lo
                                        ; implicit-def: $vgpr82
                                        ; implicit-def: $vgpr1_vgpr2
                                        ; implicit-def: $vgpr3
.LBB25_7076:
	s_and_not1_saveexec_b32 s55, s55
	s_cbranch_execz .LBB25_7086
; %bb.7077:
	s_mov_b32 s56, exec_lo
	v_cmpx_lt_i16_e32 5, v3
	s_xor_b32 s56, exec_lo, s56
	s_cbranch_execz .LBB25_7083
; %bb.7078:
	v_cmp_lt_i16_e32 vcc_lo, 6, v3
	s_and_saveexec_b32 s57, vcc_lo
	s_delay_alu instid0(SALU_CYCLE_1)
	s_xor_b32 vcc_lo, exec_lo, s57
	s_cbranch_execz .LBB25_7080
; %bb.7079:
	v_cvt_f64_f32_e32 v[3:4], v82
                                        ; implicit-def: $vgpr82
	flat_store_b64 v[1:2], v[3:4]
                                        ; implicit-def: $vgpr1_vgpr2
.LBB25_7080:
	s_and_not1_saveexec_b32 vcc_lo, vcc_lo
	s_cbranch_execz .LBB25_7082
; %bb.7081:
	flat_store_b32 v[1:2], v82
.LBB25_7082:
	s_or_b32 exec_lo, exec_lo, vcc_lo
                                        ; implicit-def: $vgpr82
                                        ; implicit-def: $vgpr1_vgpr2
.LBB25_7083:
	s_and_not1_saveexec_b32 vcc_lo, s56
	s_cbranch_execz .LBB25_7085
; %bb.7084:
	v_cvt_f16_f32_e32 v3, v82
	flat_store_b16 v[1:2], v3
.LBB25_7085:
	s_or_b32 exec_lo, exec_lo, vcc_lo
.LBB25_7086:
	s_delay_alu instid0(SALU_CYCLE_1)
	s_or_b32 exec_lo, exec_lo, s55
                                        ; implicit-def: $vgpr3
                                        ; implicit-def: $vgpr82
                                        ; implicit-def: $vgpr1_vgpr2
.LBB25_7087:
	s_and_not1_saveexec_b32 s54, s54
	s_cbranch_execz .LBB25_7105
; %bb.7088:
	s_mov_b32 s55, exec_lo
	v_cmpx_lt_i16_e32 1, v3
	s_xor_b32 s55, exec_lo, s55
	s_cbranch_execz .LBB25_7098
; %bb.7089:
	s_mov_b32 s56, exec_lo
	v_cmpx_lt_i16_e32 2, v3
	s_xor_b32 s56, exec_lo, s56
	;; [unrolled: 5-line block ×3, first 2 shown]
	s_cbranch_execz .LBB25_7092
; %bb.7091:
	v_trunc_f32_e32 v3, v82
                                        ; implicit-def: $vgpr82
	s_delay_alu instid0(VALU_DEP_1) | instskip(SKIP_1) | instid1(VALU_DEP_2)
	v_mul_f32_e64 v4, 0x2f800000, |v3|
	v_ashrrev_i32_e32 v6, 31, v3
	v_floor_f32_e32 v4, v4
	s_delay_alu instid0(VALU_DEP_1) | instskip(SKIP_1) | instid1(VALU_DEP_2)
	v_fma_f32 v5, 0xcf800000, v4, |v3|
	v_cvt_u32_f32_e32 v4, v4
	v_cvt_u32_f32_e32 v3, v5
	s_delay_alu instid0(VALU_DEP_2) | instskip(NEXT) | instid1(VALU_DEP_2)
	v_xor_b32_e32 v4, v4, v6
	v_xor_b32_e32 v3, v3, v6
	s_delay_alu instid0(VALU_DEP_1) | instskip(NEXT) | instid1(VALU_DEP_3)
	v_sub_co_u32 v3, vcc_lo, v3, v6
	v_sub_co_ci_u32_e32 v4, vcc_lo, v4, v6, vcc_lo
	flat_store_b64 v[1:2], v[3:4]
                                        ; implicit-def: $vgpr1_vgpr2
.LBB25_7092:
	s_and_not1_saveexec_b32 vcc_lo, s57
	s_cbranch_execz .LBB25_7094
; %bb.7093:
	v_cvt_i32_f32_e32 v3, v82
	flat_store_b32 v[1:2], v3
.LBB25_7094:
	s_or_b32 exec_lo, exec_lo, vcc_lo
                                        ; implicit-def: $vgpr82
                                        ; implicit-def: $vgpr1_vgpr2
.LBB25_7095:
	s_and_not1_saveexec_b32 vcc_lo, s56
	s_cbranch_execz .LBB25_7097
; %bb.7096:
	v_cvt_i32_f32_e32 v3, v82
	flat_store_b16 v[1:2], v3
.LBB25_7097:
	s_or_b32 exec_lo, exec_lo, vcc_lo
                                        ; implicit-def: $vgpr82
                                        ; implicit-def: $vgpr1_vgpr2
                                        ; implicit-def: $vgpr3
.LBB25_7098:
	s_and_not1_saveexec_b32 s55, s55
	s_cbranch_execz .LBB25_7104
; %bb.7099:
	v_cmp_lt_i16_e32 vcc_lo, 0, v3
	s_and_saveexec_b32 s56, vcc_lo
	s_delay_alu instid0(SALU_CYCLE_1)
	s_xor_b32 vcc_lo, exec_lo, s56
	s_cbranch_execz .LBB25_7101
; %bb.7100:
	v_cvt_i32_f32_e32 v3, v82
                                        ; implicit-def: $vgpr82
	flat_store_b8 v[1:2], v3
                                        ; implicit-def: $vgpr1_vgpr2
.LBB25_7101:
	s_and_not1_saveexec_b32 vcc_lo, vcc_lo
	s_cbranch_execz .LBB25_7103
; %bb.7102:
	v_trunc_f32_e32 v3, v82
	s_delay_alu instid0(VALU_DEP_1) | instskip(NEXT) | instid1(VALU_DEP_1)
	v_mul_f32_e64 v4, 0x2f800000, |v3|
	v_floor_f32_e32 v4, v4
	s_delay_alu instid0(VALU_DEP_1) | instskip(SKIP_1) | instid1(VALU_DEP_2)
	v_fma_f32 v4, 0xcf800000, v4, |v3|
	v_ashrrev_i32_e32 v3, 31, v3
	v_cvt_u32_f32_e32 v4, v4
	s_delay_alu instid0(VALU_DEP_1) | instskip(NEXT) | instid1(VALU_DEP_1)
	v_xor_b32_e32 v4, v4, v3
	v_sub_nc_u32_e32 v3, v4, v3
	flat_store_b8 v[1:2], v3
.LBB25_7103:
	s_or_b32 exec_lo, exec_lo, vcc_lo
.LBB25_7104:
	s_delay_alu instid0(SALU_CYCLE_1)
	s_or_b32 exec_lo, exec_lo, s55
.LBB25_7105:
	s_delay_alu instid0(SALU_CYCLE_1) | instskip(NEXT) | instid1(SALU_CYCLE_1)
	s_or_b32 exec_lo, exec_lo, s54
	s_or_b32 s0, s0, exec_lo
	s_or_b32 exec_lo, exec_lo, s51
	s_mov_b32 vcc_lo, 0
	s_and_saveexec_b32 s51, s0
	s_cbranch_execnz .LBB25_4001
	s_branch .LBB25_4002
.LBB25_7106:
	v_bfe_u32 v3, v97, 21, 1
	s_mov_b32 s47, exec_lo
	s_delay_alu instid0(VALU_DEP_1) | instskip(NEXT) | instid1(VALU_DEP_1)
	v_add3_u32 v3, v97, v3, 0x88fffff
	v_lshrrev_b32_e32 v3, 21, v3
	s_or_saveexec_b32 s48, vcc_lo
                                        ; implicit-def: $vcc_lo
	s_delay_alu instid0(SALU_CYCLE_1)
	s_xor_b32 exec_lo, exec_lo, s48
	s_cbranch_execz .LBB25_6271
.LBB25_7107:
	v_add_f32_e64 v3, 0x42800000, |v97|
	s_and_not1_b32 s47, s47, exec_lo
	s_delay_alu instid0(VALU_DEP_1) | instskip(NEXT) | instid1(VALU_DEP_1)
	v_and_b32_e32 v3, 0xff, v3
	v_cmp_ne_u32_e32 vcc_lo, 0, v3
	s_and_b32 s49, vcc_lo, exec_lo
	s_mov_b32 vcc_lo, 0
	s_or_b32 s47, s47, s49
	s_or_b32 exec_lo, exec_lo, s48
	v_mov_b32_e32 v4, vcc_lo
	s_and_saveexec_b32 vcc_lo, s47
	s_cbranch_execnz .LBB25_6272
	s_branch .LBB25_6273
.LBB25_7108:
	v_bfe_u32 v3, v96, 20, 1
	s_mov_b32 s48, exec_lo
	s_delay_alu instid0(VALU_DEP_1) | instskip(NEXT) | instid1(VALU_DEP_1)
	v_add3_u32 v3, v96, v3, 0x487ffff
	v_lshrrev_b32_e32 v3, 20, v3
	s_or_saveexec_b32 s49, vcc_lo
                                        ; implicit-def: $vcc_lo
	s_delay_alu instid0(SALU_CYCLE_1)
	s_xor_b32 exec_lo, exec_lo, s49
	s_cbranch_execz .LBB25_6384
.LBB25_7109:
	v_add_f32_e64 v3, 0x46000000, |v96|
	s_and_not1_b32 s48, s48, exec_lo
	s_delay_alu instid0(VALU_DEP_1) | instskip(NEXT) | instid1(VALU_DEP_1)
	v_and_b32_e32 v3, 0xff, v3
	v_cmp_ne_u32_e32 vcc_lo, 0, v3
	s_and_b32 s50, vcc_lo, exec_lo
	s_mov_b32 vcc_lo, 0
	s_or_b32 s48, s48, s50
	s_or_b32 exec_lo, exec_lo, s49
	v_mov_b32_e32 v4, vcc_lo
	s_and_saveexec_b32 vcc_lo, s48
	s_cbranch_execnz .LBB25_6385
	s_branch .LBB25_6386
.LBB25_7110:
	s_mov_b32 s55, s51
	s_mov_b32 s56, exec_lo
	v_cmpx_lt_i16_e32 25, v3
	s_xor_b32 s56, exec_lo, s56
	s_cbranch_execz .LBB25_7146
; %bb.7111:
	s_mov_b32 s57, s51
	s_mov_b32 s55, exec_lo
	v_cmpx_lt_i16_e32 28, v3
	s_xor_b32 s55, exec_lo, s55
	s_cbranch_execz .LBB25_7129
; %bb.7112:
	s_mov_b32 s59, s51
	s_mov_b32 s57, exec_lo
	v_cmpx_lt_i16_e32 43, v3
	s_xor_b32 s57, exec_lo, s57
	s_cbranch_execz .LBB25_7124
; %bb.7113:
	s_mov_b32 s58, 0
	s_mov_b32 s59, s51
	s_mov_b32 s0, exec_lo
	v_cmpx_lt_i16_e32 45, v3
	s_xor_b32 s0, exec_lo, s0
	s_cbranch_execz .LBB25_7117
; %bb.7114:
	s_mov_b32 s60, -1
	s_mov_b32 s59, exec_lo
	v_cmpx_eq_u16_e32 46, v3
	s_cbranch_execz .LBB25_7116
; %bb.7115:
	v_bfe_u32 v3, v81, 16, 1
	v_cmp_o_f32_e32 vcc_lo, v81, v81
	s_mov_b32 s58, exec_lo
	s_xor_b32 s60, exec_lo, -1
	s_delay_alu instid0(VALU_DEP_2) | instskip(NEXT) | instid1(VALU_DEP_1)
	v_add3_u32 v3, v81, v3, 0x7fff
	v_lshrrev_b32_e32 v3, 16, v3
	s_delay_alu instid0(VALU_DEP_1)
	v_cndmask_b32_e32 v3, 0x7fc0, v3, vcc_lo
	flat_store_b32 v[1:2], v3
.LBB25_7116:
	s_or_b32 exec_lo, exec_lo, s59
	s_delay_alu instid0(SALU_CYCLE_1)
	s_and_not1_b32 vcc_lo, s51, exec_lo
	s_and_b32 s59, s60, exec_lo
	s_and_b32 s58, s58, exec_lo
	s_or_b32 s59, vcc_lo, s59
                                        ; implicit-def: $vgpr3
                                        ; implicit-def: $vgpr1_vgpr2
                                        ; implicit-def: $vgpr81
.LBB25_7117:
	s_and_not1_saveexec_b32 s60, s0
	s_cbranch_execz .LBB25_7123
; %bb.7118:
	s_mov_b32 s62, -1
	s_mov_b32 s0, s58
	s_mov_b32 s61, exec_lo
	v_cmpx_eq_u16_e32 44, v3
	s_cbranch_execz .LBB25_7122
; %bb.7119:
	v_bfe_u32 v4, v81, 23, 8
	v_mov_b32_e32 v3, 0xff
	s_mov_b32 s62, exec_lo
	s_delay_alu instid0(VALU_DEP_2)
	v_cmpx_ne_u32_e32 0xff, v4
; %bb.7120:
	v_and_b32_e32 v3, 0x400000, v81
	v_and_or_b32 v4, 0x3fffff, v81, v4
	s_delay_alu instid0(VALU_DEP_2) | instskip(NEXT) | instid1(VALU_DEP_2)
	v_cmp_ne_u32_e32 vcc_lo, 0, v3
	v_cmp_ne_u32_e64 s0, 0, v4
	v_lshrrev_b32_e32 v3, 23, v81
	s_delay_alu instid0(VALU_DEP_2) | instskip(NEXT) | instid1(SALU_CYCLE_1)
	s_and_b32 s0, vcc_lo, s0
	v_cndmask_b32_e64 v4, 0, 1, s0
	s_delay_alu instid0(VALU_DEP_1)
	v_add_nc_u32_e32 v3, v3, v4
; %bb.7121:
	s_or_b32 exec_lo, exec_lo, s62
	s_delay_alu instid0(SALU_CYCLE_1)
	s_xor_b32 s62, exec_lo, -1
	s_or_b32 s0, s58, exec_lo
	flat_store_b8 v[1:2], v3
.LBB25_7122:
	s_or_b32 exec_lo, exec_lo, s61
	s_delay_alu instid0(SALU_CYCLE_1)
	s_and_not1_b32 vcc_lo, s59, exec_lo
	s_and_b32 s59, s62, exec_lo
	s_and_not1_b32 s58, s58, exec_lo
	s_and_b32 s0, s0, exec_lo
	s_or_b32 s59, vcc_lo, s59
	s_or_b32 s58, s58, s0
.LBB25_7123:
	s_or_b32 exec_lo, exec_lo, s60
	s_delay_alu instid0(SALU_CYCLE_1) | instskip(SKIP_1) | instid1(SALU_CYCLE_1)
	s_and_not1_b32 s0, s51, exec_lo
	s_and_b32 vcc_lo, s59, exec_lo
                                        ; implicit-def: $vgpr3
                                        ; implicit-def: $vgpr81
                                        ; implicit-def: $vgpr1_vgpr2
	s_or_b32 s59, s0, vcc_lo
	s_and_b32 s0, s58, exec_lo
.LBB25_7124:
	s_and_not1_saveexec_b32 s57, s57
	s_cbranch_execz .LBB25_7128
; %bb.7125:
	s_mov_b32 s61, -1
	s_mov_b32 s60, s0
	s_mov_b32 s58, exec_lo
	v_cmpx_eq_u16_e32 29, v3
	s_cbranch_execz .LBB25_7127
; %bb.7126:
	v_trunc_f32_e32 v3, v81
	s_xor_b32 s61, exec_lo, -1
	s_or_b32 s60, s0, exec_lo
	s_delay_alu instid0(VALU_DEP_1) | instskip(NEXT) | instid1(VALU_DEP_1)
	v_mul_f32_e32 v4, 0x2f800000, v3
	v_floor_f32_e32 v4, v4
	s_delay_alu instid0(VALU_DEP_1) | instskip(SKIP_1) | instid1(VALU_DEP_2)
	v_fmamk_f32 v3, v4, 0xcf800000, v3
	v_cvt_u32_f32_e32 v4, v4
	v_cvt_u32_f32_e32 v3, v3
	flat_store_b64 v[1:2], v[3:4]
.LBB25_7127:
	s_or_b32 exec_lo, exec_lo, s58
	s_delay_alu instid0(SALU_CYCLE_1)
	s_and_not1_b32 vcc_lo, s59, exec_lo
	s_and_b32 s58, s61, exec_lo
	s_and_not1_b32 s0, s0, exec_lo
	s_and_b32 s60, s60, exec_lo
	s_or_b32 s59, vcc_lo, s58
	s_or_b32 s0, s0, s60
.LBB25_7128:
	s_or_b32 exec_lo, exec_lo, s57
	s_delay_alu instid0(SALU_CYCLE_1)
	s_and_not1_b32 vcc_lo, s51, exec_lo
	s_and_b32 s57, s59, exec_lo
	s_and_b32 s0, s0, exec_lo
	s_or_b32 s57, vcc_lo, s57
                                        ; implicit-def: $vgpr1_vgpr2
                                        ; implicit-def: $vgpr3
                                        ; implicit-def: $vgpr81
.LBB25_7129:
	s_and_not1_saveexec_b32 s55, s55
	s_cbranch_execz .LBB25_7145
; %bb.7130:
	s_mov_b32 s58, exec_lo
	v_cmpx_lt_i16_e32 26, v3
	s_xor_b32 s58, exec_lo, s58
	s_cbranch_execz .LBB25_7136
; %bb.7131:
	v_cmp_lt_i16_e32 vcc_lo, 27, v3
	s_and_saveexec_b32 s59, vcc_lo
	s_delay_alu instid0(SALU_CYCLE_1)
	s_xor_b32 vcc_lo, exec_lo, s59
	s_cbranch_execz .LBB25_7133
; %bb.7132:
	v_cvt_u32_f32_e32 v3, v81
                                        ; implicit-def: $vgpr81
	flat_store_b32 v[1:2], v3
                                        ; implicit-def: $vgpr1_vgpr2
.LBB25_7133:
	s_and_not1_saveexec_b32 vcc_lo, vcc_lo
	s_cbranch_execz .LBB25_7135
; %bb.7134:
	v_cvt_u32_f32_e32 v3, v81
	flat_store_b16 v[1:2], v3
.LBB25_7135:
	s_or_b32 exec_lo, exec_lo, vcc_lo
                                        ; implicit-def: $vgpr1_vgpr2
                                        ; implicit-def: $vgpr81
.LBB25_7136:
	s_and_not1_saveexec_b32 s58, s58
	s_cbranch_execz .LBB25_7144
; %bb.7137:
	v_and_b32_e32 v3, 0x7fffffff, v81
	v_mov_b32_e32 v4, 0x80
	s_mov_b32 s59, exec_lo
	s_delay_alu instid0(VALU_DEP_2)
	v_cmpx_gt_u32_e32 0x43800000, v3
	s_cbranch_execz .LBB25_7143
; %bb.7138:
	v_cmp_lt_u32_e32 vcc_lo, 0x3bffffff, v3
	s_mov_b32 s60, 0
                                        ; implicit-def: $vgpr3
	s_and_saveexec_b32 s61, vcc_lo
	s_delay_alu instid0(SALU_CYCLE_1)
	s_xor_b32 vcc_lo, exec_lo, s61
	s_cbranch_execnz .LBB25_7864
; %bb.7139:
	s_or_saveexec_b32 s61, vcc_lo
                                        ; implicit-def: $vcc_lo
	s_delay_alu instid0(SALU_CYCLE_1)
	s_xor_b32 exec_lo, exec_lo, s61
	s_cbranch_execnz .LBB25_7865
.LBB25_7140:
	s_or_b32 exec_lo, exec_lo, s61
	v_mov_b32_e32 v4, vcc_lo
	s_and_saveexec_b32 vcc_lo, s60
.LBB25_7141:
	v_lshrrev_b32_e32 v4, 24, v81
	s_delay_alu instid0(VALU_DEP_1)
	v_and_or_b32 v4, 0x80, v4, v3
.LBB25_7142:
	s_or_b32 exec_lo, exec_lo, vcc_lo
.LBB25_7143:
	s_delay_alu instid0(SALU_CYCLE_1)
	s_or_b32 exec_lo, exec_lo, s59
	flat_store_b8 v[1:2], v4
.LBB25_7144:
	s_or_b32 exec_lo, exec_lo, s58
	s_delay_alu instid0(SALU_CYCLE_1)
	s_or_b32 s0, s0, exec_lo
.LBB25_7145:
	s_or_b32 exec_lo, exec_lo, s55
	s_delay_alu instid0(SALU_CYCLE_1)
	s_and_not1_b32 vcc_lo, s51, exec_lo
	s_and_b32 s55, s57, exec_lo
	s_and_b32 s0, s0, exec_lo
	s_or_b32 s55, vcc_lo, s55
                                        ; implicit-def: $vgpr3
                                        ; implicit-def: $vgpr81
                                        ; implicit-def: $vgpr1_vgpr2
.LBB25_7146:
	s_and_not1_saveexec_b32 s56, s56
	s_cbranch_execz .LBB25_7190
; %bb.7147:
	s_mov_b32 s58, s0
	s_mov_b32 s57, exec_lo
	v_cmpx_lt_i16_e32 22, v3
	s_xor_b32 s57, exec_lo, s57
	s_cbranch_execz .LBB25_7179
; %bb.7148:
	s_mov_b32 s58, exec_lo
	v_cmpx_lt_i16_e32 23, v3
	s_xor_b32 s58, exec_lo, s58
	s_cbranch_execz .LBB25_7168
; %bb.7149:
	;; [unrolled: 5-line block ×3, first 2 shown]
	v_and_b32_e32 v3, 0x7fffffff, v81
	v_mov_b32_e32 v4, 0x80
	s_mov_b32 s60, exec_lo
	s_delay_alu instid0(VALU_DEP_2)
	v_cmpx_gt_u32_e32 0x47800000, v3
	s_cbranch_execz .LBB25_7156
; %bb.7151:
	v_cmp_lt_u32_e32 vcc_lo, 0x37ffffff, v3
	s_mov_b32 s61, 0
                                        ; implicit-def: $vgpr3
	s_and_saveexec_b32 s62, vcc_lo
	s_delay_alu instid0(SALU_CYCLE_1)
	s_xor_b32 vcc_lo, exec_lo, s62
	s_cbranch_execnz .LBB25_7988
; %bb.7152:
	s_or_saveexec_b32 s62, vcc_lo
                                        ; implicit-def: $vcc_lo
	s_delay_alu instid0(SALU_CYCLE_1)
	s_xor_b32 exec_lo, exec_lo, s62
	s_cbranch_execnz .LBB25_7989
.LBB25_7153:
	s_or_b32 exec_lo, exec_lo, s62
	v_mov_b32_e32 v4, vcc_lo
	s_and_saveexec_b32 vcc_lo, s61
.LBB25_7154:
	v_lshrrev_b32_e32 v4, 24, v81
	s_delay_alu instid0(VALU_DEP_1)
	v_and_or_b32 v4, 0x80, v4, v3
.LBB25_7155:
	s_or_b32 exec_lo, exec_lo, vcc_lo
.LBB25_7156:
	s_delay_alu instid0(SALU_CYCLE_1)
	s_or_b32 exec_lo, exec_lo, s60
	flat_store_b8 v[1:2], v4
                                        ; implicit-def: $vgpr81
                                        ; implicit-def: $vgpr1_vgpr2
.LBB25_7157:
	s_and_not1_saveexec_b32 s59, s59
	s_cbranch_execz .LBB25_7167
; %bb.7158:
	v_and_b32_e32 v4, 0x7fffffff, v81
	s_mov_b32 s60, exec_lo
                                        ; implicit-def: $vgpr3
	s_delay_alu instid0(VALU_DEP_1)
	v_cmpx_gt_u32_e32 0x43f00000, v4
	s_xor_b32 s60, exec_lo, s60
	s_cbranch_execz .LBB25_7164
; %bb.7159:
	s_mov_b32 s61, exec_lo
                                        ; implicit-def: $vgpr3
	v_cmpx_lt_u32_e32 0x3c7fffff, v4
	s_xor_b32 s61, exec_lo, s61
; %bb.7160:
	v_bfe_u32 v3, v81, 20, 1
	s_delay_alu instid0(VALU_DEP_1) | instskip(NEXT) | instid1(VALU_DEP_1)
	v_add3_u32 v3, v81, v3, 0x407ffff
	v_and_b32_e32 v4, 0xff00000, v3
	v_lshrrev_b32_e32 v3, 20, v3
	s_delay_alu instid0(VALU_DEP_2) | instskip(NEXT) | instid1(VALU_DEP_2)
	v_cmp_ne_u32_e32 vcc_lo, 0x7f00000, v4
	v_cndmask_b32_e32 v3, 0x7e, v3, vcc_lo
; %bb.7161:
	s_and_not1_saveexec_b32 vcc_lo, s61
; %bb.7162:
	v_add_f32_e64 v3, 0x46800000, |v81|
; %bb.7163:
	s_or_b32 exec_lo, exec_lo, vcc_lo
                                        ; implicit-def: $vgpr4
.LBB25_7164:
	s_and_not1_saveexec_b32 s60, s60
; %bb.7165:
	v_mov_b32_e32 v3, 0x7f
	v_cmp_lt_u32_e32 vcc_lo, 0x7f800000, v4
	s_delay_alu instid0(VALU_DEP_2)
	v_cndmask_b32_e32 v3, 0x7e, v3, vcc_lo
; %bb.7166:
	s_or_b32 exec_lo, exec_lo, s60
	v_lshrrev_b32_e32 v4, 24, v81
	s_delay_alu instid0(VALU_DEP_1)
	v_and_or_b32 v3, 0x80, v4, v3
	flat_store_b8 v[1:2], v3
.LBB25_7167:
	s_or_b32 exec_lo, exec_lo, s59
                                        ; implicit-def: $vgpr81
                                        ; implicit-def: $vgpr1_vgpr2
.LBB25_7168:
	s_and_not1_saveexec_b32 s58, s58
	s_cbranch_execz .LBB25_7178
; %bb.7169:
	v_and_b32_e32 v4, 0x7fffffff, v81
	s_mov_b32 s59, exec_lo
                                        ; implicit-def: $vgpr3
	s_delay_alu instid0(VALU_DEP_1)
	v_cmpx_gt_u32_e32 0x47800000, v4
	s_xor_b32 s59, exec_lo, s59
	s_cbranch_execz .LBB25_7175
; %bb.7170:
	v_cmp_lt_u32_e32 vcc_lo, 0x387fffff, v4
                                        ; implicit-def: $vgpr3
	s_and_saveexec_b32 s60, vcc_lo
	s_delay_alu instid0(SALU_CYCLE_1)
	s_xor_b32 vcc_lo, exec_lo, s60
; %bb.7171:
	v_bfe_u32 v3, v81, 21, 1
	s_delay_alu instid0(VALU_DEP_1) | instskip(NEXT) | instid1(VALU_DEP_1)
	v_add3_u32 v3, v81, v3, 0x80fffff
	v_lshrrev_b32_e32 v3, 21, v3
; %bb.7172:
	s_and_not1_saveexec_b32 vcc_lo, vcc_lo
; %bb.7173:
	v_add_f32_e64 v3, 0x43000000, |v81|
; %bb.7174:
	s_or_b32 exec_lo, exec_lo, vcc_lo
                                        ; implicit-def: $vgpr4
.LBB25_7175:
	s_and_not1_saveexec_b32 s59, s59
; %bb.7176:
	v_mov_b32_e32 v3, 0x7f
	v_cmp_lt_u32_e32 vcc_lo, 0x7f800000, v4
	s_delay_alu instid0(VALU_DEP_2)
	v_cndmask_b32_e32 v3, 0x7c, v3, vcc_lo
; %bb.7177:
	s_or_b32 exec_lo, exec_lo, s59
	v_lshrrev_b32_e32 v4, 24, v81
	s_delay_alu instid0(VALU_DEP_1)
	v_and_or_b32 v3, 0x80, v4, v3
	flat_store_b8 v[1:2], v3
.LBB25_7178:
	s_or_b32 exec_lo, exec_lo, s58
	s_delay_alu instid0(SALU_CYCLE_1)
	s_or_b32 s58, s0, exec_lo
                                        ; implicit-def: $vgpr3
                                        ; implicit-def: $vgpr81
                                        ; implicit-def: $vgpr1_vgpr2
.LBB25_7179:
	s_or_saveexec_b32 s57, s57
	s_mov_b32 vcc_lo, s55
	s_xor_b32 exec_lo, exec_lo, s57
	s_cbranch_execz .LBB25_7189
; %bb.7180:
	s_mov_b32 s59, s58
	s_mov_b32 s60, s55
	s_mov_b32 s61, exec_lo
	v_cmpx_lt_i16_e32 14, v3
	s_xor_b32 s61, exec_lo, s61
	s_cbranch_execz .LBB25_7184
; %bb.7181:
	s_mov_b32 s62, -1
	s_mov_b32 s59, s58
	s_mov_b32 s60, exec_lo
	v_cmpx_eq_u16_e32 15, v3
	s_cbranch_execz .LBB25_7183
; %bb.7182:
	v_bfe_u32 v3, v81, 16, 1
	v_cmp_o_f32_e32 vcc_lo, v81, v81
	s_xor_b32 s62, exec_lo, -1
	s_or_b32 s59, s58, exec_lo
	s_delay_alu instid0(VALU_DEP_2) | instskip(NEXT) | instid1(VALU_DEP_1)
	v_add3_u32 v3, v81, v3, 0x7fff
	v_lshrrev_b32_e32 v3, 16, v3
	s_delay_alu instid0(VALU_DEP_1)
	v_cndmask_b32_e32 v3, 0x7fc0, v3, vcc_lo
	flat_store_b16 v[1:2], v3
.LBB25_7183:
	s_or_b32 exec_lo, exec_lo, s60
	s_delay_alu instid0(SALU_CYCLE_1)
	s_and_not1_b32 vcc_lo, s55, exec_lo
	s_and_b32 s60, s62, exec_lo
	s_and_not1_b32 s62, s58, exec_lo
	s_and_b32 s59, s59, exec_lo
	s_or_b32 s60, vcc_lo, s60
	s_or_b32 s59, s62, s59
                                        ; implicit-def: $vgpr3
                                        ; implicit-def: $vgpr81
                                        ; implicit-def: $vgpr1_vgpr2
.LBB25_7184:
	s_and_not1_saveexec_b32 s61, s61
	s_cbranch_execz .LBB25_7188
; %bb.7185:
	s_mov_b32 s63, -1
	s_mov_b32 s62, s59
	s_mov_b32 s64, exec_lo
	v_cmpx_eq_u16_e32 11, v3
	s_cbranch_execz .LBB25_7187
; %bb.7186:
	v_cmp_neq_f32_e32 vcc_lo, 0, v81
	s_xor_b32 s63, exec_lo, -1
	s_or_b32 s62, s59, exec_lo
	v_cndmask_b32_e64 v3, 0, 1, vcc_lo
	flat_store_b8 v[1:2], v3
.LBB25_7187:
	s_or_b32 exec_lo, exec_lo, s64
	s_delay_alu instid0(SALU_CYCLE_1)
	s_and_not1_b32 vcc_lo, s60, exec_lo
	s_and_b32 s60, s63, exec_lo
	s_and_not1_b32 s59, s59, exec_lo
	s_and_b32 s62, s62, exec_lo
	s_or_b32 s60, vcc_lo, s60
	s_or_b32 s59, s59, s62
.LBB25_7188:
	s_or_b32 exec_lo, exec_lo, s61
	s_delay_alu instid0(SALU_CYCLE_1)
	s_and_not1_b32 vcc_lo, s55, exec_lo
	s_and_b32 s60, s60, exec_lo
	s_and_not1_b32 s58, s58, exec_lo
	s_and_b32 s59, s59, exec_lo
	s_or_b32 vcc_lo, vcc_lo, s60
	s_or_b32 s58, s58, s59
.LBB25_7189:
	s_or_b32 exec_lo, exec_lo, s57
	s_delay_alu instid0(SALU_CYCLE_1)
	s_and_not1_b32 s55, s55, exec_lo
	s_and_b32 vcc_lo, vcc_lo, exec_lo
	s_and_not1_b32 s0, s0, exec_lo
	s_and_b32 s57, s58, exec_lo
	s_or_b32 s55, s55, vcc_lo
	s_or_b32 s0, s0, s57
.LBB25_7190:
	s_or_b32 exec_lo, exec_lo, s56
	s_delay_alu instid0(SALU_CYCLE_1)
	s_and_not1_b32 vcc_lo, s51, exec_lo
	s_and_b32 s55, s55, exec_lo
	s_and_b32 s0, s0, exec_lo
	s_or_b32 s55, vcc_lo, s55
                                        ; implicit-def: $vgpr3
                                        ; implicit-def: $vgpr81
                                        ; implicit-def: $vgpr1_vgpr2
	s_and_not1_saveexec_b32 s53, s53
	s_cbranch_execz .LBB25_4007
.LBB25_7191:
	s_mov_b32 s56, exec_lo
	v_cmpx_lt_i16_e32 4, v3
	s_xor_b32 s56, exec_lo, s56
	s_cbranch_execz .LBB25_7213
; %bb.7192:
	s_mov_b32 s57, exec_lo
	v_cmpx_lt_i16_e32 7, v3
	s_xor_b32 s57, exec_lo, s57
	s_cbranch_execz .LBB25_7202
; %bb.7193:
	;; [unrolled: 5-line block ×3, first 2 shown]
	v_cmp_lt_i16_e32 vcc_lo, 9, v3
	s_and_saveexec_b32 s59, vcc_lo
	s_delay_alu instid0(SALU_CYCLE_1)
	s_xor_b32 vcc_lo, exec_lo, s59
	s_cbranch_execz .LBB25_7196
; %bb.7195:
	v_cvt_f64_f32_e32 v[3:4], v81
	v_mov_b32_e32 v5, 0
                                        ; implicit-def: $vgpr81
	s_delay_alu instid0(VALU_DEP_1)
	v_mov_b32_e32 v6, v5
	flat_store_b128 v[1:2], v[3:6]
                                        ; implicit-def: $vgpr1_vgpr2
.LBB25_7196:
	s_and_not1_saveexec_b32 vcc_lo, vcc_lo
	s_cbranch_execz .LBB25_7198
; %bb.7197:
	v_mov_b32_e32 v82, 0
	flat_store_b64 v[1:2], v[81:82]
.LBB25_7198:
	s_or_b32 exec_lo, exec_lo, vcc_lo
                                        ; implicit-def: $vgpr81
                                        ; implicit-def: $vgpr1_vgpr2
.LBB25_7199:
	s_and_not1_saveexec_b32 vcc_lo, s58
	s_cbranch_execz .LBB25_7201
; %bb.7200:
	v_cvt_f16_f32_e32 v3, v81
	s_delay_alu instid0(VALU_DEP_1)
	v_and_b32_e32 v3, 0xffff, v3
	flat_store_b32 v[1:2], v3
.LBB25_7201:
	s_or_b32 exec_lo, exec_lo, vcc_lo
                                        ; implicit-def: $vgpr81
                                        ; implicit-def: $vgpr1_vgpr2
                                        ; implicit-def: $vgpr3
.LBB25_7202:
	s_and_not1_saveexec_b32 s57, s57
	s_cbranch_execz .LBB25_7212
; %bb.7203:
	s_mov_b32 s58, exec_lo
	v_cmpx_lt_i16_e32 5, v3
	s_xor_b32 s58, exec_lo, s58
	s_cbranch_execz .LBB25_7209
; %bb.7204:
	v_cmp_lt_i16_e32 vcc_lo, 6, v3
	s_and_saveexec_b32 s59, vcc_lo
	s_delay_alu instid0(SALU_CYCLE_1)
	s_xor_b32 vcc_lo, exec_lo, s59
	s_cbranch_execz .LBB25_7206
; %bb.7205:
	v_cvt_f64_f32_e32 v[3:4], v81
                                        ; implicit-def: $vgpr81
	flat_store_b64 v[1:2], v[3:4]
                                        ; implicit-def: $vgpr1_vgpr2
.LBB25_7206:
	s_and_not1_saveexec_b32 vcc_lo, vcc_lo
	s_cbranch_execz .LBB25_7208
; %bb.7207:
	flat_store_b32 v[1:2], v81
.LBB25_7208:
	s_or_b32 exec_lo, exec_lo, vcc_lo
                                        ; implicit-def: $vgpr81
                                        ; implicit-def: $vgpr1_vgpr2
.LBB25_7209:
	s_and_not1_saveexec_b32 vcc_lo, s58
	s_cbranch_execz .LBB25_7211
; %bb.7210:
	v_cvt_f16_f32_e32 v3, v81
	flat_store_b16 v[1:2], v3
.LBB25_7211:
	s_or_b32 exec_lo, exec_lo, vcc_lo
.LBB25_7212:
	s_delay_alu instid0(SALU_CYCLE_1)
	s_or_b32 exec_lo, exec_lo, s57
                                        ; implicit-def: $vgpr3
                                        ; implicit-def: $vgpr81
                                        ; implicit-def: $vgpr1_vgpr2
.LBB25_7213:
	s_and_not1_saveexec_b32 s56, s56
	s_cbranch_execz .LBB25_7231
; %bb.7214:
	s_mov_b32 s57, exec_lo
	v_cmpx_lt_i16_e32 1, v3
	s_xor_b32 s57, exec_lo, s57
	s_cbranch_execz .LBB25_7224
; %bb.7215:
	s_mov_b32 s58, exec_lo
	v_cmpx_lt_i16_e32 2, v3
	s_xor_b32 s58, exec_lo, s58
	;; [unrolled: 5-line block ×3, first 2 shown]
	s_cbranch_execz .LBB25_7218
; %bb.7217:
	v_trunc_f32_e32 v3, v81
                                        ; implicit-def: $vgpr81
	s_delay_alu instid0(VALU_DEP_1) | instskip(SKIP_1) | instid1(VALU_DEP_2)
	v_mul_f32_e64 v4, 0x2f800000, |v3|
	v_ashrrev_i32_e32 v6, 31, v3
	v_floor_f32_e32 v4, v4
	s_delay_alu instid0(VALU_DEP_1) | instskip(SKIP_1) | instid1(VALU_DEP_2)
	v_fma_f32 v5, 0xcf800000, v4, |v3|
	v_cvt_u32_f32_e32 v4, v4
	v_cvt_u32_f32_e32 v3, v5
	s_delay_alu instid0(VALU_DEP_2) | instskip(NEXT) | instid1(VALU_DEP_2)
	v_xor_b32_e32 v4, v4, v6
	v_xor_b32_e32 v3, v3, v6
	s_delay_alu instid0(VALU_DEP_1) | instskip(NEXT) | instid1(VALU_DEP_3)
	v_sub_co_u32 v3, vcc_lo, v3, v6
	v_sub_co_ci_u32_e32 v4, vcc_lo, v4, v6, vcc_lo
	flat_store_b64 v[1:2], v[3:4]
                                        ; implicit-def: $vgpr1_vgpr2
.LBB25_7218:
	s_and_not1_saveexec_b32 vcc_lo, s59
	s_cbranch_execz .LBB25_7220
; %bb.7219:
	v_cvt_i32_f32_e32 v3, v81
	flat_store_b32 v[1:2], v3
.LBB25_7220:
	s_or_b32 exec_lo, exec_lo, vcc_lo
                                        ; implicit-def: $vgpr81
                                        ; implicit-def: $vgpr1_vgpr2
.LBB25_7221:
	s_and_not1_saveexec_b32 vcc_lo, s58
	s_cbranch_execz .LBB25_7223
; %bb.7222:
	v_cvt_i32_f32_e32 v3, v81
	flat_store_b16 v[1:2], v3
.LBB25_7223:
	s_or_b32 exec_lo, exec_lo, vcc_lo
                                        ; implicit-def: $vgpr81
                                        ; implicit-def: $vgpr1_vgpr2
                                        ; implicit-def: $vgpr3
.LBB25_7224:
	s_and_not1_saveexec_b32 s57, s57
	s_cbranch_execz .LBB25_7230
; %bb.7225:
	v_cmp_lt_i16_e32 vcc_lo, 0, v3
	s_and_saveexec_b32 s58, vcc_lo
	s_delay_alu instid0(SALU_CYCLE_1)
	s_xor_b32 vcc_lo, exec_lo, s58
	s_cbranch_execz .LBB25_7227
; %bb.7226:
	v_cvt_i32_f32_e32 v3, v81
                                        ; implicit-def: $vgpr81
	flat_store_b8 v[1:2], v3
                                        ; implicit-def: $vgpr1_vgpr2
.LBB25_7227:
	s_and_not1_saveexec_b32 vcc_lo, vcc_lo
	s_cbranch_execz .LBB25_7229
; %bb.7228:
	v_trunc_f32_e32 v3, v81
	s_delay_alu instid0(VALU_DEP_1) | instskip(NEXT) | instid1(VALU_DEP_1)
	v_mul_f32_e64 v4, 0x2f800000, |v3|
	v_floor_f32_e32 v4, v4
	s_delay_alu instid0(VALU_DEP_1) | instskip(SKIP_1) | instid1(VALU_DEP_2)
	v_fma_f32 v4, 0xcf800000, v4, |v3|
	v_ashrrev_i32_e32 v3, 31, v3
	v_cvt_u32_f32_e32 v4, v4
	s_delay_alu instid0(VALU_DEP_1) | instskip(NEXT) | instid1(VALU_DEP_1)
	v_xor_b32_e32 v4, v4, v3
	v_sub_nc_u32_e32 v3, v4, v3
	flat_store_b8 v[1:2], v3
.LBB25_7229:
	s_or_b32 exec_lo, exec_lo, vcc_lo
.LBB25_7230:
	s_delay_alu instid0(SALU_CYCLE_1)
	s_or_b32 exec_lo, exec_lo, s57
.LBB25_7231:
	s_delay_alu instid0(SALU_CYCLE_1) | instskip(NEXT) | instid1(SALU_CYCLE_1)
	s_or_b32 exec_lo, exec_lo, s56
	s_or_b32 s0, s0, exec_lo
	s_or_b32 exec_lo, exec_lo, s53
	s_mov_b32 vcc_lo, 0
	s_and_saveexec_b32 s53, s0
	s_cbranch_execnz .LBB25_4008
	s_branch .LBB25_4009
.LBB25_7232:
	v_bfe_u32 v3, v96, 21, 1
	s_mov_b32 s49, exec_lo
	s_delay_alu instid0(VALU_DEP_1) | instskip(NEXT) | instid1(VALU_DEP_1)
	v_add3_u32 v3, v96, v3, 0x88fffff
	v_lshrrev_b32_e32 v3, 21, v3
	s_or_saveexec_b32 s50, vcc_lo
                                        ; implicit-def: $vcc_lo
	s_delay_alu instid0(SALU_CYCLE_1)
	s_xor_b32 exec_lo, exec_lo, s50
	s_cbranch_execz .LBB25_6397
.LBB25_7233:
	v_add_f32_e64 v3, 0x42800000, |v96|
	s_and_not1_b32 s49, s49, exec_lo
	s_delay_alu instid0(VALU_DEP_1) | instskip(NEXT) | instid1(VALU_DEP_1)
	v_and_b32_e32 v3, 0xff, v3
	v_cmp_ne_u32_e32 vcc_lo, 0, v3
	s_and_b32 s51, vcc_lo, exec_lo
	s_mov_b32 vcc_lo, 0
	s_or_b32 s49, s49, s51
	s_or_b32 exec_lo, exec_lo, s50
	v_mov_b32_e32 v4, vcc_lo
	s_and_saveexec_b32 vcc_lo, s49
	s_cbranch_execnz .LBB25_6398
	s_branch .LBB25_6399
.LBB25_7234:
	v_bfe_u32 v3, v86, 20, 1
	s_mov_b32 s50, exec_lo
	s_delay_alu instid0(VALU_DEP_1) | instskip(NEXT) | instid1(VALU_DEP_1)
	v_add3_u32 v3, v86, v3, 0x487ffff
	v_lshrrev_b32_e32 v3, 20, v3
	s_or_saveexec_b32 s51, vcc_lo
                                        ; implicit-def: $vcc_lo
	s_delay_alu instid0(SALU_CYCLE_1)
	s_xor_b32 exec_lo, exec_lo, s51
	s_cbranch_execz .LBB25_6510
.LBB25_7235:
	v_add_f32_e64 v3, 0x46000000, |v86|
	s_and_not1_b32 s50, s50, exec_lo
	s_delay_alu instid0(VALU_DEP_1) | instskip(NEXT) | instid1(VALU_DEP_1)
	v_and_b32_e32 v3, 0xff, v3
	v_cmp_ne_u32_e32 vcc_lo, 0, v3
	s_and_b32 s52, vcc_lo, exec_lo
	s_mov_b32 vcc_lo, 0
	s_or_b32 s50, s50, s52
	s_or_b32 exec_lo, exec_lo, s51
	v_mov_b32_e32 v4, vcc_lo
	s_and_saveexec_b32 vcc_lo, s50
	s_cbranch_execnz .LBB25_6511
	s_branch .LBB25_6512
.LBB25_7236:
	s_mov_b32 s57, s53
	s_mov_b32 s58, exec_lo
	v_cmpx_lt_i16_e32 25, v3
	s_xor_b32 s58, exec_lo, s58
	s_cbranch_execz .LBB25_7272
; %bb.7237:
	s_mov_b32 s59, s53
	s_mov_b32 s57, exec_lo
	v_cmpx_lt_i16_e32 28, v3
	s_xor_b32 s57, exec_lo, s57
	s_cbranch_execz .LBB25_7255
; %bb.7238:
	;; [unrolled: 6-line block ×3, first 2 shown]
	s_mov_b32 s60, 0
	s_mov_b32 s61, s53
	s_mov_b32 s0, exec_lo
	v_cmpx_lt_i16_e32 45, v3
	s_xor_b32 s0, exec_lo, s0
	s_cbranch_execz .LBB25_7243
; %bb.7240:
	s_mov_b32 s62, -1
	s_mov_b32 s61, exec_lo
	v_cmpx_eq_u16_e32 46, v3
	s_cbranch_execz .LBB25_7242
; %bb.7241:
	v_bfe_u32 v3, v80, 16, 1
	v_cmp_o_f32_e32 vcc_lo, v80, v80
	s_mov_b32 s60, exec_lo
	s_xor_b32 s62, exec_lo, -1
	s_delay_alu instid0(VALU_DEP_2) | instskip(NEXT) | instid1(VALU_DEP_1)
	v_add3_u32 v3, v80, v3, 0x7fff
	v_lshrrev_b32_e32 v3, 16, v3
	s_delay_alu instid0(VALU_DEP_1)
	v_cndmask_b32_e32 v3, 0x7fc0, v3, vcc_lo
	flat_store_b32 v[1:2], v3
.LBB25_7242:
	s_or_b32 exec_lo, exec_lo, s61
	s_delay_alu instid0(SALU_CYCLE_1)
	s_and_not1_b32 vcc_lo, s53, exec_lo
	s_and_b32 s61, s62, exec_lo
	s_and_b32 s60, s60, exec_lo
	s_or_b32 s61, vcc_lo, s61
                                        ; implicit-def: $vgpr3
                                        ; implicit-def: $vgpr1_vgpr2
                                        ; implicit-def: $vgpr80
.LBB25_7243:
	s_and_not1_saveexec_b32 s62, s0
	s_cbranch_execz .LBB25_7249
; %bb.7244:
	s_mov_b32 s64, -1
	s_mov_b32 s0, s60
	s_mov_b32 s63, exec_lo
	v_cmpx_eq_u16_e32 44, v3
	s_cbranch_execz .LBB25_7248
; %bb.7245:
	v_bfe_u32 v4, v80, 23, 8
	v_mov_b32_e32 v3, 0xff
	s_mov_b32 s64, exec_lo
	s_delay_alu instid0(VALU_DEP_2)
	v_cmpx_ne_u32_e32 0xff, v4
; %bb.7246:
	v_and_b32_e32 v3, 0x400000, v80
	v_and_or_b32 v4, 0x3fffff, v80, v4
	s_delay_alu instid0(VALU_DEP_2) | instskip(NEXT) | instid1(VALU_DEP_2)
	v_cmp_ne_u32_e32 vcc_lo, 0, v3
	v_cmp_ne_u32_e64 s0, 0, v4
	v_lshrrev_b32_e32 v3, 23, v80
	s_delay_alu instid0(VALU_DEP_2) | instskip(NEXT) | instid1(SALU_CYCLE_1)
	s_and_b32 s0, vcc_lo, s0
	v_cndmask_b32_e64 v4, 0, 1, s0
	s_delay_alu instid0(VALU_DEP_1)
	v_add_nc_u32_e32 v3, v3, v4
; %bb.7247:
	s_or_b32 exec_lo, exec_lo, s64
	s_delay_alu instid0(SALU_CYCLE_1)
	s_xor_b32 s64, exec_lo, -1
	s_or_b32 s0, s60, exec_lo
	flat_store_b8 v[1:2], v3
.LBB25_7248:
	s_or_b32 exec_lo, exec_lo, s63
	s_delay_alu instid0(SALU_CYCLE_1)
	s_and_not1_b32 vcc_lo, s61, exec_lo
	s_and_b32 s61, s64, exec_lo
	s_and_not1_b32 s60, s60, exec_lo
	s_and_b32 s0, s0, exec_lo
	s_or_b32 s61, vcc_lo, s61
	s_or_b32 s60, s60, s0
.LBB25_7249:
	s_or_b32 exec_lo, exec_lo, s62
	s_delay_alu instid0(SALU_CYCLE_1) | instskip(SKIP_1) | instid1(SALU_CYCLE_1)
	s_and_not1_b32 s0, s53, exec_lo
	s_and_b32 vcc_lo, s61, exec_lo
                                        ; implicit-def: $vgpr3
                                        ; implicit-def: $vgpr80
                                        ; implicit-def: $vgpr1_vgpr2
	s_or_b32 s61, s0, vcc_lo
	s_and_b32 s0, s60, exec_lo
.LBB25_7250:
	s_and_not1_saveexec_b32 s59, s59
	s_cbranch_execz .LBB25_7254
; %bb.7251:
	s_mov_b32 s63, -1
	s_mov_b32 s62, s0
	s_mov_b32 s60, exec_lo
	v_cmpx_eq_u16_e32 29, v3
	s_cbranch_execz .LBB25_7253
; %bb.7252:
	v_trunc_f32_e32 v3, v80
	s_xor_b32 s63, exec_lo, -1
	s_or_b32 s62, s0, exec_lo
	s_delay_alu instid0(VALU_DEP_1) | instskip(NEXT) | instid1(VALU_DEP_1)
	v_mul_f32_e32 v4, 0x2f800000, v3
	v_floor_f32_e32 v4, v4
	s_delay_alu instid0(VALU_DEP_1) | instskip(SKIP_1) | instid1(VALU_DEP_2)
	v_fmamk_f32 v3, v4, 0xcf800000, v3
	v_cvt_u32_f32_e32 v4, v4
	v_cvt_u32_f32_e32 v3, v3
	flat_store_b64 v[1:2], v[3:4]
.LBB25_7253:
	s_or_b32 exec_lo, exec_lo, s60
	s_delay_alu instid0(SALU_CYCLE_1)
	s_and_not1_b32 vcc_lo, s61, exec_lo
	s_and_b32 s60, s63, exec_lo
	s_and_not1_b32 s0, s0, exec_lo
	s_and_b32 s62, s62, exec_lo
	s_or_b32 s61, vcc_lo, s60
	s_or_b32 s0, s0, s62
.LBB25_7254:
	s_or_b32 exec_lo, exec_lo, s59
	s_delay_alu instid0(SALU_CYCLE_1)
	s_and_not1_b32 vcc_lo, s53, exec_lo
	s_and_b32 s59, s61, exec_lo
	s_and_b32 s0, s0, exec_lo
	s_or_b32 s59, vcc_lo, s59
                                        ; implicit-def: $vgpr1_vgpr2
                                        ; implicit-def: $vgpr3
                                        ; implicit-def: $vgpr80
.LBB25_7255:
	s_and_not1_saveexec_b32 s57, s57
	s_cbranch_execz .LBB25_7271
; %bb.7256:
	s_mov_b32 s60, exec_lo
	v_cmpx_lt_i16_e32 26, v3
	s_xor_b32 s60, exec_lo, s60
	s_cbranch_execz .LBB25_7262
; %bb.7257:
	v_cmp_lt_i16_e32 vcc_lo, 27, v3
	s_and_saveexec_b32 s61, vcc_lo
	s_delay_alu instid0(SALU_CYCLE_1)
	s_xor_b32 vcc_lo, exec_lo, s61
	s_cbranch_execz .LBB25_7259
; %bb.7258:
	v_cvt_u32_f32_e32 v3, v80
                                        ; implicit-def: $vgpr80
	flat_store_b32 v[1:2], v3
                                        ; implicit-def: $vgpr1_vgpr2
.LBB25_7259:
	s_and_not1_saveexec_b32 vcc_lo, vcc_lo
	s_cbranch_execz .LBB25_7261
; %bb.7260:
	v_cvt_u32_f32_e32 v3, v80
	flat_store_b16 v[1:2], v3
.LBB25_7261:
	s_or_b32 exec_lo, exec_lo, vcc_lo
                                        ; implicit-def: $vgpr1_vgpr2
                                        ; implicit-def: $vgpr80
.LBB25_7262:
	s_and_not1_saveexec_b32 s60, s60
	s_cbranch_execz .LBB25_7270
; %bb.7263:
	v_and_b32_e32 v3, 0x7fffffff, v80
	v_mov_b32_e32 v4, 0x80
	s_mov_b32 s61, exec_lo
	s_delay_alu instid0(VALU_DEP_2)
	v_cmpx_gt_u32_e32 0x43800000, v3
	s_cbranch_execz .LBB25_7269
; %bb.7264:
	v_cmp_lt_u32_e32 vcc_lo, 0x3bffffff, v3
	s_mov_b32 s62, 0
                                        ; implicit-def: $vgpr3
	s_and_saveexec_b32 s63, vcc_lo
	s_delay_alu instid0(SALU_CYCLE_1)
	s_xor_b32 vcc_lo, exec_lo, s63
	s_cbranch_execnz .LBB25_7990
; %bb.7265:
	s_or_saveexec_b32 s63, vcc_lo
                                        ; implicit-def: $vcc_lo
	s_delay_alu instid0(SALU_CYCLE_1)
	s_xor_b32 exec_lo, exec_lo, s63
	s_cbranch_execnz .LBB25_7991
.LBB25_7266:
	s_or_b32 exec_lo, exec_lo, s63
	v_mov_b32_e32 v4, vcc_lo
	s_and_saveexec_b32 vcc_lo, s62
.LBB25_7267:
	v_lshrrev_b32_e32 v4, 24, v80
	s_delay_alu instid0(VALU_DEP_1)
	v_and_or_b32 v4, 0x80, v4, v3
.LBB25_7268:
	s_or_b32 exec_lo, exec_lo, vcc_lo
.LBB25_7269:
	s_delay_alu instid0(SALU_CYCLE_1)
	s_or_b32 exec_lo, exec_lo, s61
	flat_store_b8 v[1:2], v4
.LBB25_7270:
	s_or_b32 exec_lo, exec_lo, s60
	s_delay_alu instid0(SALU_CYCLE_1)
	s_or_b32 s0, s0, exec_lo
.LBB25_7271:
	s_or_b32 exec_lo, exec_lo, s57
	s_delay_alu instid0(SALU_CYCLE_1)
	s_and_not1_b32 vcc_lo, s53, exec_lo
	s_and_b32 s57, s59, exec_lo
	s_and_b32 s0, s0, exec_lo
	s_or_b32 s57, vcc_lo, s57
                                        ; implicit-def: $vgpr3
                                        ; implicit-def: $vgpr80
                                        ; implicit-def: $vgpr1_vgpr2
.LBB25_7272:
	s_and_not1_saveexec_b32 s58, s58
	s_cbranch_execz .LBB25_7316
; %bb.7273:
	s_mov_b32 s60, s0
	s_mov_b32 s59, exec_lo
	v_cmpx_lt_i16_e32 22, v3
	s_xor_b32 s59, exec_lo, s59
	s_cbranch_execz .LBB25_7305
; %bb.7274:
	s_mov_b32 s60, exec_lo
	v_cmpx_lt_i16_e32 23, v3
	s_xor_b32 s60, exec_lo, s60
	s_cbranch_execz .LBB25_7294
; %bb.7275:
	;; [unrolled: 5-line block ×3, first 2 shown]
	v_and_b32_e32 v3, 0x7fffffff, v80
	v_mov_b32_e32 v4, 0x80
	s_mov_b32 s62, exec_lo
	s_delay_alu instid0(VALU_DEP_2)
	v_cmpx_gt_u32_e32 0x47800000, v3
	s_cbranch_execz .LBB25_7282
; %bb.7277:
	v_cmp_lt_u32_e32 vcc_lo, 0x37ffffff, v3
	s_mov_b32 s63, 0
                                        ; implicit-def: $vgpr3
	s_and_saveexec_b32 s64, vcc_lo
	s_delay_alu instid0(SALU_CYCLE_1)
	s_xor_b32 vcc_lo, exec_lo, s64
	s_cbranch_execnz .LBB25_7992
; %bb.7278:
	s_or_saveexec_b32 s64, vcc_lo
                                        ; implicit-def: $vcc_lo
	s_delay_alu instid0(SALU_CYCLE_1)
	s_xor_b32 exec_lo, exec_lo, s64
	s_cbranch_execnz .LBB25_7993
.LBB25_7279:
	s_or_b32 exec_lo, exec_lo, s64
	v_mov_b32_e32 v4, vcc_lo
	s_and_saveexec_b32 vcc_lo, s63
.LBB25_7280:
	v_lshrrev_b32_e32 v4, 24, v80
	s_delay_alu instid0(VALU_DEP_1)
	v_and_or_b32 v4, 0x80, v4, v3
.LBB25_7281:
	s_or_b32 exec_lo, exec_lo, vcc_lo
.LBB25_7282:
	s_delay_alu instid0(SALU_CYCLE_1)
	s_or_b32 exec_lo, exec_lo, s62
	flat_store_b8 v[1:2], v4
                                        ; implicit-def: $vgpr80
                                        ; implicit-def: $vgpr1_vgpr2
.LBB25_7283:
	s_and_not1_saveexec_b32 s61, s61
	s_cbranch_execz .LBB25_7293
; %bb.7284:
	v_and_b32_e32 v4, 0x7fffffff, v80
	s_mov_b32 s62, exec_lo
                                        ; implicit-def: $vgpr3
	s_delay_alu instid0(VALU_DEP_1)
	v_cmpx_gt_u32_e32 0x43f00000, v4
	s_xor_b32 s62, exec_lo, s62
	s_cbranch_execz .LBB25_7290
; %bb.7285:
	s_mov_b32 s63, exec_lo
                                        ; implicit-def: $vgpr3
	v_cmpx_lt_u32_e32 0x3c7fffff, v4
	s_xor_b32 s63, exec_lo, s63
; %bb.7286:
	v_bfe_u32 v3, v80, 20, 1
	s_delay_alu instid0(VALU_DEP_1) | instskip(NEXT) | instid1(VALU_DEP_1)
	v_add3_u32 v3, v80, v3, 0x407ffff
	v_and_b32_e32 v4, 0xff00000, v3
	v_lshrrev_b32_e32 v3, 20, v3
	s_delay_alu instid0(VALU_DEP_2) | instskip(NEXT) | instid1(VALU_DEP_2)
	v_cmp_ne_u32_e32 vcc_lo, 0x7f00000, v4
	v_cndmask_b32_e32 v3, 0x7e, v3, vcc_lo
; %bb.7287:
	s_and_not1_saveexec_b32 vcc_lo, s63
; %bb.7288:
	v_add_f32_e64 v3, 0x46800000, |v80|
; %bb.7289:
	s_or_b32 exec_lo, exec_lo, vcc_lo
                                        ; implicit-def: $vgpr4
.LBB25_7290:
	s_and_not1_saveexec_b32 s62, s62
; %bb.7291:
	v_mov_b32_e32 v3, 0x7f
	v_cmp_lt_u32_e32 vcc_lo, 0x7f800000, v4
	s_delay_alu instid0(VALU_DEP_2)
	v_cndmask_b32_e32 v3, 0x7e, v3, vcc_lo
; %bb.7292:
	s_or_b32 exec_lo, exec_lo, s62
	v_lshrrev_b32_e32 v4, 24, v80
	s_delay_alu instid0(VALU_DEP_1)
	v_and_or_b32 v3, 0x80, v4, v3
	flat_store_b8 v[1:2], v3
.LBB25_7293:
	s_or_b32 exec_lo, exec_lo, s61
                                        ; implicit-def: $vgpr80
                                        ; implicit-def: $vgpr1_vgpr2
.LBB25_7294:
	s_and_not1_saveexec_b32 s60, s60
	s_cbranch_execz .LBB25_7304
; %bb.7295:
	v_and_b32_e32 v4, 0x7fffffff, v80
	s_mov_b32 s61, exec_lo
                                        ; implicit-def: $vgpr3
	s_delay_alu instid0(VALU_DEP_1)
	v_cmpx_gt_u32_e32 0x47800000, v4
	s_xor_b32 s61, exec_lo, s61
	s_cbranch_execz .LBB25_7301
; %bb.7296:
	v_cmp_lt_u32_e32 vcc_lo, 0x387fffff, v4
                                        ; implicit-def: $vgpr3
	s_and_saveexec_b32 s62, vcc_lo
	s_delay_alu instid0(SALU_CYCLE_1)
	s_xor_b32 vcc_lo, exec_lo, s62
; %bb.7297:
	v_bfe_u32 v3, v80, 21, 1
	s_delay_alu instid0(VALU_DEP_1) | instskip(NEXT) | instid1(VALU_DEP_1)
	v_add3_u32 v3, v80, v3, 0x80fffff
	v_lshrrev_b32_e32 v3, 21, v3
; %bb.7298:
	s_and_not1_saveexec_b32 vcc_lo, vcc_lo
; %bb.7299:
	v_add_f32_e64 v3, 0x43000000, |v80|
; %bb.7300:
	s_or_b32 exec_lo, exec_lo, vcc_lo
                                        ; implicit-def: $vgpr4
.LBB25_7301:
	s_and_not1_saveexec_b32 s61, s61
; %bb.7302:
	v_mov_b32_e32 v3, 0x7f
	v_cmp_lt_u32_e32 vcc_lo, 0x7f800000, v4
	s_delay_alu instid0(VALU_DEP_2)
	v_cndmask_b32_e32 v3, 0x7c, v3, vcc_lo
; %bb.7303:
	s_or_b32 exec_lo, exec_lo, s61
	v_lshrrev_b32_e32 v4, 24, v80
	s_delay_alu instid0(VALU_DEP_1)
	v_and_or_b32 v3, 0x80, v4, v3
	flat_store_b8 v[1:2], v3
.LBB25_7304:
	s_or_b32 exec_lo, exec_lo, s60
	s_delay_alu instid0(SALU_CYCLE_1)
	s_or_b32 s60, s0, exec_lo
                                        ; implicit-def: $vgpr3
                                        ; implicit-def: $vgpr80
                                        ; implicit-def: $vgpr1_vgpr2
.LBB25_7305:
	s_or_saveexec_b32 s59, s59
	s_mov_b32 vcc_lo, s57
	s_xor_b32 exec_lo, exec_lo, s59
	s_cbranch_execz .LBB25_7315
; %bb.7306:
	s_mov_b32 s61, s60
	s_mov_b32 s62, s57
	s_mov_b32 s63, exec_lo
	v_cmpx_lt_i16_e32 14, v3
	s_xor_b32 s63, exec_lo, s63
	s_cbranch_execz .LBB25_7310
; %bb.7307:
	s_mov_b32 s64, -1
	s_mov_b32 s61, s60
	s_mov_b32 s62, exec_lo
	v_cmpx_eq_u16_e32 15, v3
	s_cbranch_execz .LBB25_7309
; %bb.7308:
	v_bfe_u32 v3, v80, 16, 1
	v_cmp_o_f32_e32 vcc_lo, v80, v80
	s_xor_b32 s64, exec_lo, -1
	s_or_b32 s61, s60, exec_lo
	s_delay_alu instid0(VALU_DEP_2) | instskip(NEXT) | instid1(VALU_DEP_1)
	v_add3_u32 v3, v80, v3, 0x7fff
	v_lshrrev_b32_e32 v3, 16, v3
	s_delay_alu instid0(VALU_DEP_1)
	v_cndmask_b32_e32 v3, 0x7fc0, v3, vcc_lo
	flat_store_b16 v[1:2], v3
.LBB25_7309:
	s_or_b32 exec_lo, exec_lo, s62
	s_delay_alu instid0(SALU_CYCLE_1)
	s_and_not1_b32 vcc_lo, s57, exec_lo
	s_and_b32 s62, s64, exec_lo
	s_and_not1_b32 s64, s60, exec_lo
	s_and_b32 s61, s61, exec_lo
	s_or_b32 s62, vcc_lo, s62
	s_or_b32 s61, s64, s61
                                        ; implicit-def: $vgpr3
                                        ; implicit-def: $vgpr80
                                        ; implicit-def: $vgpr1_vgpr2
.LBB25_7310:
	s_and_not1_saveexec_b32 s63, s63
	s_cbranch_execz .LBB25_7314
; %bb.7311:
	s_mov_b32 s65, -1
	s_mov_b32 s64, s61
	s_mov_b32 s66, exec_lo
	v_cmpx_eq_u16_e32 11, v3
	s_cbranch_execz .LBB25_7313
; %bb.7312:
	v_cmp_neq_f32_e32 vcc_lo, 0, v80
	s_xor_b32 s65, exec_lo, -1
	s_or_b32 s64, s61, exec_lo
	v_cndmask_b32_e64 v3, 0, 1, vcc_lo
	flat_store_b8 v[1:2], v3
.LBB25_7313:
	s_or_b32 exec_lo, exec_lo, s66
	s_delay_alu instid0(SALU_CYCLE_1)
	s_and_not1_b32 vcc_lo, s62, exec_lo
	s_and_b32 s62, s65, exec_lo
	s_and_not1_b32 s61, s61, exec_lo
	s_and_b32 s64, s64, exec_lo
	s_or_b32 s62, vcc_lo, s62
	s_or_b32 s61, s61, s64
.LBB25_7314:
	s_or_b32 exec_lo, exec_lo, s63
	s_delay_alu instid0(SALU_CYCLE_1)
	s_and_not1_b32 vcc_lo, s57, exec_lo
	s_and_b32 s62, s62, exec_lo
	s_and_not1_b32 s60, s60, exec_lo
	s_and_b32 s61, s61, exec_lo
	s_or_b32 vcc_lo, vcc_lo, s62
	s_or_b32 s60, s60, s61
.LBB25_7315:
	s_or_b32 exec_lo, exec_lo, s59
	s_delay_alu instid0(SALU_CYCLE_1)
	s_and_not1_b32 s57, s57, exec_lo
	s_and_b32 vcc_lo, vcc_lo, exec_lo
	s_and_not1_b32 s0, s0, exec_lo
	s_and_b32 s59, s60, exec_lo
	s_or_b32 s57, s57, vcc_lo
	s_or_b32 s0, s0, s59
.LBB25_7316:
	s_or_b32 exec_lo, exec_lo, s58
	s_delay_alu instid0(SALU_CYCLE_1)
	s_and_not1_b32 vcc_lo, s53, exec_lo
	s_and_b32 s57, s57, exec_lo
	s_and_b32 s0, s0, exec_lo
	s_or_b32 s57, vcc_lo, s57
                                        ; implicit-def: $vgpr3
                                        ; implicit-def: $vgpr80
                                        ; implicit-def: $vgpr1_vgpr2
	s_and_not1_saveexec_b32 s55, s55
	s_cbranch_execz .LBB25_4014
.LBB25_7317:
	s_mov_b32 s58, exec_lo
	v_cmpx_lt_i16_e32 4, v3
	s_xor_b32 s58, exec_lo, s58
	s_cbranch_execz .LBB25_7339
; %bb.7318:
	s_mov_b32 s59, exec_lo
	v_cmpx_lt_i16_e32 7, v3
	s_xor_b32 s59, exec_lo, s59
	s_cbranch_execz .LBB25_7328
; %bb.7319:
	;; [unrolled: 5-line block ×3, first 2 shown]
	v_cmp_lt_i16_e32 vcc_lo, 9, v3
	s_and_saveexec_b32 s61, vcc_lo
	s_delay_alu instid0(SALU_CYCLE_1)
	s_xor_b32 vcc_lo, exec_lo, s61
	s_cbranch_execz .LBB25_7322
; %bb.7321:
	v_cvt_f64_f32_e32 v[3:4], v80
	v_mov_b32_e32 v5, 0
                                        ; implicit-def: $vgpr80
	s_delay_alu instid0(VALU_DEP_1)
	v_mov_b32_e32 v6, v5
	flat_store_b128 v[1:2], v[3:6]
                                        ; implicit-def: $vgpr1_vgpr2
.LBB25_7322:
	s_and_not1_saveexec_b32 vcc_lo, vcc_lo
	s_cbranch_execz .LBB25_7324
; %bb.7323:
	v_mov_b32_e32 v81, 0
	flat_store_b64 v[1:2], v[80:81]
.LBB25_7324:
	s_or_b32 exec_lo, exec_lo, vcc_lo
                                        ; implicit-def: $vgpr80
                                        ; implicit-def: $vgpr1_vgpr2
.LBB25_7325:
	s_and_not1_saveexec_b32 vcc_lo, s60
	s_cbranch_execz .LBB25_7327
; %bb.7326:
	v_cvt_f16_f32_e32 v3, v80
	s_delay_alu instid0(VALU_DEP_1)
	v_and_b32_e32 v3, 0xffff, v3
	flat_store_b32 v[1:2], v3
.LBB25_7327:
	s_or_b32 exec_lo, exec_lo, vcc_lo
                                        ; implicit-def: $vgpr80
                                        ; implicit-def: $vgpr1_vgpr2
                                        ; implicit-def: $vgpr3
.LBB25_7328:
	s_and_not1_saveexec_b32 s59, s59
	s_cbranch_execz .LBB25_7338
; %bb.7329:
	s_mov_b32 s60, exec_lo
	v_cmpx_lt_i16_e32 5, v3
	s_xor_b32 s60, exec_lo, s60
	s_cbranch_execz .LBB25_7335
; %bb.7330:
	v_cmp_lt_i16_e32 vcc_lo, 6, v3
	s_and_saveexec_b32 s61, vcc_lo
	s_delay_alu instid0(SALU_CYCLE_1)
	s_xor_b32 vcc_lo, exec_lo, s61
	s_cbranch_execz .LBB25_7332
; %bb.7331:
	v_cvt_f64_f32_e32 v[3:4], v80
                                        ; implicit-def: $vgpr80
	flat_store_b64 v[1:2], v[3:4]
                                        ; implicit-def: $vgpr1_vgpr2
.LBB25_7332:
	s_and_not1_saveexec_b32 vcc_lo, vcc_lo
	s_cbranch_execz .LBB25_7334
; %bb.7333:
	flat_store_b32 v[1:2], v80
.LBB25_7334:
	s_or_b32 exec_lo, exec_lo, vcc_lo
                                        ; implicit-def: $vgpr80
                                        ; implicit-def: $vgpr1_vgpr2
.LBB25_7335:
	s_and_not1_saveexec_b32 vcc_lo, s60
	s_cbranch_execz .LBB25_7337
; %bb.7336:
	v_cvt_f16_f32_e32 v3, v80
	flat_store_b16 v[1:2], v3
.LBB25_7337:
	s_or_b32 exec_lo, exec_lo, vcc_lo
.LBB25_7338:
	s_delay_alu instid0(SALU_CYCLE_1)
	s_or_b32 exec_lo, exec_lo, s59
                                        ; implicit-def: $vgpr3
                                        ; implicit-def: $vgpr80
                                        ; implicit-def: $vgpr1_vgpr2
.LBB25_7339:
	s_and_not1_saveexec_b32 s58, s58
	s_cbranch_execz .LBB25_7357
; %bb.7340:
	s_mov_b32 s59, exec_lo
	v_cmpx_lt_i16_e32 1, v3
	s_xor_b32 s59, exec_lo, s59
	s_cbranch_execz .LBB25_7350
; %bb.7341:
	s_mov_b32 s60, exec_lo
	v_cmpx_lt_i16_e32 2, v3
	s_xor_b32 s60, exec_lo, s60
	;; [unrolled: 5-line block ×3, first 2 shown]
	s_cbranch_execz .LBB25_7344
; %bb.7343:
	v_trunc_f32_e32 v3, v80
                                        ; implicit-def: $vgpr80
	s_delay_alu instid0(VALU_DEP_1) | instskip(SKIP_1) | instid1(VALU_DEP_2)
	v_mul_f32_e64 v4, 0x2f800000, |v3|
	v_ashrrev_i32_e32 v6, 31, v3
	v_floor_f32_e32 v4, v4
	s_delay_alu instid0(VALU_DEP_1) | instskip(SKIP_1) | instid1(VALU_DEP_2)
	v_fma_f32 v5, 0xcf800000, v4, |v3|
	v_cvt_u32_f32_e32 v4, v4
	v_cvt_u32_f32_e32 v3, v5
	s_delay_alu instid0(VALU_DEP_2) | instskip(NEXT) | instid1(VALU_DEP_2)
	v_xor_b32_e32 v4, v4, v6
	v_xor_b32_e32 v3, v3, v6
	s_delay_alu instid0(VALU_DEP_1) | instskip(NEXT) | instid1(VALU_DEP_3)
	v_sub_co_u32 v3, vcc_lo, v3, v6
	v_sub_co_ci_u32_e32 v4, vcc_lo, v4, v6, vcc_lo
	flat_store_b64 v[1:2], v[3:4]
                                        ; implicit-def: $vgpr1_vgpr2
.LBB25_7344:
	s_and_not1_saveexec_b32 vcc_lo, s61
	s_cbranch_execz .LBB25_7346
; %bb.7345:
	v_cvt_i32_f32_e32 v3, v80
	flat_store_b32 v[1:2], v3
.LBB25_7346:
	s_or_b32 exec_lo, exec_lo, vcc_lo
                                        ; implicit-def: $vgpr80
                                        ; implicit-def: $vgpr1_vgpr2
.LBB25_7347:
	s_and_not1_saveexec_b32 vcc_lo, s60
	s_cbranch_execz .LBB25_7349
; %bb.7348:
	v_cvt_i32_f32_e32 v3, v80
	flat_store_b16 v[1:2], v3
.LBB25_7349:
	s_or_b32 exec_lo, exec_lo, vcc_lo
                                        ; implicit-def: $vgpr80
                                        ; implicit-def: $vgpr1_vgpr2
                                        ; implicit-def: $vgpr3
.LBB25_7350:
	s_and_not1_saveexec_b32 s59, s59
	s_cbranch_execz .LBB25_7356
; %bb.7351:
	v_cmp_lt_i16_e32 vcc_lo, 0, v3
	s_and_saveexec_b32 s60, vcc_lo
	s_delay_alu instid0(SALU_CYCLE_1)
	s_xor_b32 vcc_lo, exec_lo, s60
	s_cbranch_execz .LBB25_7353
; %bb.7352:
	v_cvt_i32_f32_e32 v3, v80
                                        ; implicit-def: $vgpr80
	flat_store_b8 v[1:2], v3
                                        ; implicit-def: $vgpr1_vgpr2
.LBB25_7353:
	s_and_not1_saveexec_b32 vcc_lo, vcc_lo
	s_cbranch_execz .LBB25_7355
; %bb.7354:
	v_trunc_f32_e32 v3, v80
	s_delay_alu instid0(VALU_DEP_1) | instskip(NEXT) | instid1(VALU_DEP_1)
	v_mul_f32_e64 v4, 0x2f800000, |v3|
	v_floor_f32_e32 v4, v4
	s_delay_alu instid0(VALU_DEP_1) | instskip(SKIP_1) | instid1(VALU_DEP_2)
	v_fma_f32 v4, 0xcf800000, v4, |v3|
	v_ashrrev_i32_e32 v3, 31, v3
	v_cvt_u32_f32_e32 v4, v4
	s_delay_alu instid0(VALU_DEP_1) | instskip(NEXT) | instid1(VALU_DEP_1)
	v_xor_b32_e32 v4, v4, v3
	v_sub_nc_u32_e32 v3, v4, v3
	flat_store_b8 v[1:2], v3
.LBB25_7355:
	s_or_b32 exec_lo, exec_lo, vcc_lo
.LBB25_7356:
	s_delay_alu instid0(SALU_CYCLE_1)
	s_or_b32 exec_lo, exec_lo, s59
.LBB25_7357:
	s_delay_alu instid0(SALU_CYCLE_1) | instskip(NEXT) | instid1(SALU_CYCLE_1)
	s_or_b32 exec_lo, exec_lo, s58
	s_or_b32 s0, s0, exec_lo
	s_or_b32 exec_lo, exec_lo, s55
	s_mov_b32 vcc_lo, 0
	s_and_saveexec_b32 s55, s0
	s_cbranch_execnz .LBB25_4015
	s_branch .LBB25_4016
.LBB25_7358:
	v_bfe_u32 v3, v86, 21, 1
	s_mov_b32 s51, exec_lo
	s_delay_alu instid0(VALU_DEP_1) | instskip(NEXT) | instid1(VALU_DEP_1)
	v_add3_u32 v3, v86, v3, 0x88fffff
	v_lshrrev_b32_e32 v3, 21, v3
	s_or_saveexec_b32 s52, vcc_lo
                                        ; implicit-def: $vcc_lo
	s_delay_alu instid0(SALU_CYCLE_1)
	s_xor_b32 exec_lo, exec_lo, s52
	s_cbranch_execz .LBB25_6523
.LBB25_7359:
	v_add_f32_e64 v3, 0x42800000, |v86|
	s_and_not1_b32 s51, s51, exec_lo
	s_delay_alu instid0(VALU_DEP_1) | instskip(NEXT) | instid1(VALU_DEP_1)
	v_and_b32_e32 v3, 0xff, v3
	v_cmp_ne_u32_e32 vcc_lo, 0, v3
	s_and_b32 s53, vcc_lo, exec_lo
	s_mov_b32 vcc_lo, 0
	s_or_b32 s51, s51, s53
	s_or_b32 exec_lo, exec_lo, s52
	v_mov_b32_e32 v4, vcc_lo
	s_and_saveexec_b32 vcc_lo, s51
	s_cbranch_execnz .LBB25_6524
	s_branch .LBB25_6525
.LBB25_7360:
	v_bfe_u32 v3, v85, 20, 1
	s_mov_b32 s52, exec_lo
	s_delay_alu instid0(VALU_DEP_1) | instskip(NEXT) | instid1(VALU_DEP_1)
	v_add3_u32 v3, v85, v3, 0x487ffff
	v_lshrrev_b32_e32 v3, 20, v3
	s_or_saveexec_b32 s53, vcc_lo
                                        ; implicit-def: $vcc_lo
	s_delay_alu instid0(SALU_CYCLE_1)
	s_xor_b32 exec_lo, exec_lo, s53
	s_cbranch_execz .LBB25_6636
.LBB25_7361:
	v_add_f32_e64 v3, 0x46000000, |v85|
	s_and_not1_b32 s52, s52, exec_lo
	s_delay_alu instid0(VALU_DEP_1) | instskip(NEXT) | instid1(VALU_DEP_1)
	v_and_b32_e32 v3, 0xff, v3
	v_cmp_ne_u32_e32 vcc_lo, 0, v3
	s_and_b32 s54, vcc_lo, exec_lo
	s_mov_b32 vcc_lo, 0
	s_or_b32 s52, s52, s54
	s_or_b32 exec_lo, exec_lo, s53
	v_mov_b32_e32 v4, vcc_lo
	s_and_saveexec_b32 vcc_lo, s52
	s_cbranch_execnz .LBB25_6637
	s_branch .LBB25_6638
.LBB25_7362:
	s_mov_b32 s59, s55
	s_mov_b32 s60, exec_lo
	v_cmpx_lt_i16_e32 25, v3
	s_xor_b32 s60, exec_lo, s60
	s_cbranch_execz .LBB25_7398
; %bb.7363:
	s_mov_b32 s61, s55
	s_mov_b32 s59, exec_lo
	v_cmpx_lt_i16_e32 28, v3
	s_xor_b32 s59, exec_lo, s59
	s_cbranch_execz .LBB25_7381
; %bb.7364:
	;; [unrolled: 6-line block ×3, first 2 shown]
	s_mov_b32 s62, 0
	s_mov_b32 s63, s55
	s_mov_b32 s0, exec_lo
	v_cmpx_lt_i16_e32 45, v3
	s_xor_b32 s0, exec_lo, s0
	s_cbranch_execz .LBB25_7369
; %bb.7366:
	s_mov_b32 s64, -1
	s_mov_b32 s63, exec_lo
	v_cmpx_eq_u16_e32 46, v3
	s_cbranch_execz .LBB25_7368
; %bb.7367:
	v_bfe_u32 v3, v70, 16, 1
	v_cmp_o_f32_e32 vcc_lo, v70, v70
	s_mov_b32 s62, exec_lo
	s_xor_b32 s64, exec_lo, -1
	s_delay_alu instid0(VALU_DEP_2) | instskip(NEXT) | instid1(VALU_DEP_1)
	v_add3_u32 v3, v70, v3, 0x7fff
	v_lshrrev_b32_e32 v3, 16, v3
	s_delay_alu instid0(VALU_DEP_1)
	v_cndmask_b32_e32 v3, 0x7fc0, v3, vcc_lo
	flat_store_b32 v[1:2], v3
.LBB25_7368:
	s_or_b32 exec_lo, exec_lo, s63
	s_delay_alu instid0(SALU_CYCLE_1)
	s_and_not1_b32 vcc_lo, s55, exec_lo
	s_and_b32 s63, s64, exec_lo
	s_and_b32 s62, s62, exec_lo
	s_or_b32 s63, vcc_lo, s63
                                        ; implicit-def: $vgpr3
                                        ; implicit-def: $vgpr1_vgpr2
                                        ; implicit-def: $vgpr70
.LBB25_7369:
	s_and_not1_saveexec_b32 s64, s0
	s_cbranch_execz .LBB25_7375
; %bb.7370:
	s_mov_b32 s66, -1
	s_mov_b32 s0, s62
	s_mov_b32 s65, exec_lo
	v_cmpx_eq_u16_e32 44, v3
	s_cbranch_execz .LBB25_7374
; %bb.7371:
	v_bfe_u32 v4, v70, 23, 8
	v_mov_b32_e32 v3, 0xff
	s_mov_b32 s66, exec_lo
	s_delay_alu instid0(VALU_DEP_2)
	v_cmpx_ne_u32_e32 0xff, v4
; %bb.7372:
	v_and_b32_e32 v3, 0x400000, v70
	v_and_or_b32 v4, 0x3fffff, v70, v4
	s_delay_alu instid0(VALU_DEP_2) | instskip(NEXT) | instid1(VALU_DEP_2)
	v_cmp_ne_u32_e32 vcc_lo, 0, v3
	v_cmp_ne_u32_e64 s0, 0, v4
	v_lshrrev_b32_e32 v3, 23, v70
	s_delay_alu instid0(VALU_DEP_2) | instskip(NEXT) | instid1(SALU_CYCLE_1)
	s_and_b32 s0, vcc_lo, s0
	v_cndmask_b32_e64 v4, 0, 1, s0
	s_delay_alu instid0(VALU_DEP_1)
	v_add_nc_u32_e32 v3, v3, v4
; %bb.7373:
	s_or_b32 exec_lo, exec_lo, s66
	s_delay_alu instid0(SALU_CYCLE_1)
	s_xor_b32 s66, exec_lo, -1
	s_or_b32 s0, s62, exec_lo
	flat_store_b8 v[1:2], v3
.LBB25_7374:
	s_or_b32 exec_lo, exec_lo, s65
	s_delay_alu instid0(SALU_CYCLE_1)
	s_and_not1_b32 vcc_lo, s63, exec_lo
	s_and_b32 s63, s66, exec_lo
	s_and_not1_b32 s62, s62, exec_lo
	s_and_b32 s0, s0, exec_lo
	s_or_b32 s63, vcc_lo, s63
	s_or_b32 s62, s62, s0
.LBB25_7375:
	s_or_b32 exec_lo, exec_lo, s64
	s_delay_alu instid0(SALU_CYCLE_1) | instskip(SKIP_1) | instid1(SALU_CYCLE_1)
	s_and_not1_b32 s0, s55, exec_lo
	s_and_b32 vcc_lo, s63, exec_lo
                                        ; implicit-def: $vgpr3
                                        ; implicit-def: $vgpr70
                                        ; implicit-def: $vgpr1_vgpr2
	s_or_b32 s63, s0, vcc_lo
	s_and_b32 s0, s62, exec_lo
.LBB25_7376:
	s_and_not1_saveexec_b32 s61, s61
	s_cbranch_execz .LBB25_7380
; %bb.7377:
	s_mov_b32 s65, -1
	s_mov_b32 s64, s0
	s_mov_b32 s62, exec_lo
	v_cmpx_eq_u16_e32 29, v3
	s_cbranch_execz .LBB25_7379
; %bb.7378:
	v_trunc_f32_e32 v3, v70
	s_xor_b32 s65, exec_lo, -1
	s_or_b32 s64, s0, exec_lo
	s_delay_alu instid0(VALU_DEP_1) | instskip(NEXT) | instid1(VALU_DEP_1)
	v_mul_f32_e32 v4, 0x2f800000, v3
	v_floor_f32_e32 v4, v4
	s_delay_alu instid0(VALU_DEP_1) | instskip(SKIP_1) | instid1(VALU_DEP_2)
	v_fmamk_f32 v3, v4, 0xcf800000, v3
	v_cvt_u32_f32_e32 v4, v4
	v_cvt_u32_f32_e32 v3, v3
	flat_store_b64 v[1:2], v[3:4]
.LBB25_7379:
	s_or_b32 exec_lo, exec_lo, s62
	s_delay_alu instid0(SALU_CYCLE_1)
	s_and_not1_b32 vcc_lo, s63, exec_lo
	s_and_b32 s62, s65, exec_lo
	s_and_not1_b32 s0, s0, exec_lo
	s_and_b32 s64, s64, exec_lo
	s_or_b32 s63, vcc_lo, s62
	s_or_b32 s0, s0, s64
.LBB25_7380:
	s_or_b32 exec_lo, exec_lo, s61
	s_delay_alu instid0(SALU_CYCLE_1)
	s_and_not1_b32 vcc_lo, s55, exec_lo
	s_and_b32 s61, s63, exec_lo
	s_and_b32 s0, s0, exec_lo
	s_or_b32 s61, vcc_lo, s61
                                        ; implicit-def: $vgpr1_vgpr2
                                        ; implicit-def: $vgpr3
                                        ; implicit-def: $vgpr70
.LBB25_7381:
	s_and_not1_saveexec_b32 s59, s59
	s_cbranch_execz .LBB25_7397
; %bb.7382:
	s_mov_b32 s62, exec_lo
	v_cmpx_lt_i16_e32 26, v3
	s_xor_b32 s62, exec_lo, s62
	s_cbranch_execz .LBB25_7388
; %bb.7383:
	v_cmp_lt_i16_e32 vcc_lo, 27, v3
	v_cvt_u32_f32_e32 v3, v70
	s_and_saveexec_b32 s63, vcc_lo
	s_delay_alu instid0(SALU_CYCLE_1)
	s_xor_b32 vcc_lo, exec_lo, s63
	s_cbranch_execz .LBB25_7385
; %bb.7384:
	flat_store_b32 v[1:2], v3
                                        ; implicit-def: $vgpr1_vgpr2
                                        ; implicit-def: $vgpr3
.LBB25_7385:
	s_and_not1_saveexec_b32 vcc_lo, vcc_lo
	s_cbranch_execz .LBB25_7387
; %bb.7386:
	flat_store_b16 v[1:2], v3
.LBB25_7387:
	s_or_b32 exec_lo, exec_lo, vcc_lo
                                        ; implicit-def: $vgpr1_vgpr2
                                        ; implicit-def: $vgpr70
.LBB25_7388:
	s_and_not1_saveexec_b32 s62, s62
	s_cbranch_execz .LBB25_7396
; %bb.7389:
	v_and_b32_e32 v3, 0x7fffffff, v70
	v_mov_b32_e32 v4, 0x80
	s_mov_b32 s63, exec_lo
	s_delay_alu instid0(VALU_DEP_2)
	v_cmpx_gt_u32_e32 0x43800000, v3
	s_cbranch_execz .LBB25_7395
; %bb.7390:
	v_cmp_lt_u32_e32 vcc_lo, 0x3bffffff, v3
	s_mov_b32 s64, 0
                                        ; implicit-def: $vgpr3
	s_and_saveexec_b32 s65, vcc_lo
	s_delay_alu instid0(SALU_CYCLE_1)
	s_xor_b32 vcc_lo, exec_lo, s65
	s_cbranch_execnz .LBB25_7994
; %bb.7391:
	s_or_saveexec_b32 s65, vcc_lo
                                        ; implicit-def: $vcc_lo
	s_delay_alu instid0(SALU_CYCLE_1)
	s_xor_b32 exec_lo, exec_lo, s65
	s_cbranch_execnz .LBB25_7995
.LBB25_7392:
	s_or_b32 exec_lo, exec_lo, s65
	v_mov_b32_e32 v4, vcc_lo
	s_and_saveexec_b32 vcc_lo, s64
.LBB25_7393:
	v_lshrrev_b32_e32 v4, 24, v70
	s_delay_alu instid0(VALU_DEP_1)
	v_and_or_b32 v4, 0x80, v4, v3
.LBB25_7394:
	s_or_b32 exec_lo, exec_lo, vcc_lo
.LBB25_7395:
	s_delay_alu instid0(SALU_CYCLE_1)
	s_or_b32 exec_lo, exec_lo, s63
	flat_store_b8 v[1:2], v4
.LBB25_7396:
	s_or_b32 exec_lo, exec_lo, s62
	s_delay_alu instid0(SALU_CYCLE_1)
	s_or_b32 s0, s0, exec_lo
.LBB25_7397:
	s_or_b32 exec_lo, exec_lo, s59
	s_delay_alu instid0(SALU_CYCLE_1)
	s_and_not1_b32 vcc_lo, s55, exec_lo
	s_and_b32 s59, s61, exec_lo
	s_and_b32 s0, s0, exec_lo
	s_or_b32 s59, vcc_lo, s59
                                        ; implicit-def: $vgpr3
                                        ; implicit-def: $vgpr70
                                        ; implicit-def: $vgpr1_vgpr2
.LBB25_7398:
	s_and_not1_saveexec_b32 s60, s60
	s_cbranch_execz .LBB25_7442
; %bb.7399:
	s_mov_b32 s62, s0
	s_mov_b32 s61, exec_lo
	v_cmpx_lt_i16_e32 22, v3
	s_xor_b32 s61, exec_lo, s61
	s_cbranch_execz .LBB25_7431
; %bb.7400:
	s_mov_b32 s62, exec_lo
	v_cmpx_lt_i16_e32 23, v3
	s_xor_b32 s62, exec_lo, s62
	s_cbranch_execz .LBB25_7420
; %bb.7401:
	;; [unrolled: 5-line block ×3, first 2 shown]
	v_and_b32_e32 v3, 0x7fffffff, v70
	v_mov_b32_e32 v4, 0x80
	s_mov_b32 s64, exec_lo
	s_delay_alu instid0(VALU_DEP_2)
	v_cmpx_gt_u32_e32 0x47800000, v3
	s_cbranch_execz .LBB25_7408
; %bb.7403:
	v_cmp_lt_u32_e32 vcc_lo, 0x37ffffff, v3
	s_mov_b32 s65, 0
                                        ; implicit-def: $vgpr3
	s_and_saveexec_b32 s66, vcc_lo
	s_delay_alu instid0(SALU_CYCLE_1)
	s_xor_b32 vcc_lo, exec_lo, s66
	s_cbranch_execnz .LBB25_7996
; %bb.7404:
	s_or_saveexec_b32 s66, vcc_lo
                                        ; implicit-def: $vcc_lo
	s_delay_alu instid0(SALU_CYCLE_1)
	s_xor_b32 exec_lo, exec_lo, s66
	s_cbranch_execnz .LBB25_7997
.LBB25_7405:
	s_or_b32 exec_lo, exec_lo, s66
	v_mov_b32_e32 v4, vcc_lo
	s_and_saveexec_b32 vcc_lo, s65
.LBB25_7406:
	v_lshrrev_b32_e32 v4, 24, v70
	s_delay_alu instid0(VALU_DEP_1)
	v_and_or_b32 v4, 0x80, v4, v3
.LBB25_7407:
	s_or_b32 exec_lo, exec_lo, vcc_lo
.LBB25_7408:
	s_delay_alu instid0(SALU_CYCLE_1)
	s_or_b32 exec_lo, exec_lo, s64
	flat_store_b8 v[1:2], v4
                                        ; implicit-def: $vgpr70
                                        ; implicit-def: $vgpr1_vgpr2
.LBB25_7409:
	s_and_not1_saveexec_b32 s63, s63
	s_cbranch_execz .LBB25_7419
; %bb.7410:
	v_and_b32_e32 v4, 0x7fffffff, v70
	s_mov_b32 s64, exec_lo
                                        ; implicit-def: $vgpr3
	s_delay_alu instid0(VALU_DEP_1)
	v_cmpx_gt_u32_e32 0x43f00000, v4
	s_xor_b32 s64, exec_lo, s64
	s_cbranch_execz .LBB25_7416
; %bb.7411:
	s_mov_b32 s65, exec_lo
                                        ; implicit-def: $vgpr3
	v_cmpx_lt_u32_e32 0x3c7fffff, v4
	s_xor_b32 s65, exec_lo, s65
; %bb.7412:
	v_bfe_u32 v3, v70, 20, 1
	s_delay_alu instid0(VALU_DEP_1) | instskip(NEXT) | instid1(VALU_DEP_1)
	v_add3_u32 v3, v70, v3, 0x407ffff
	v_and_b32_e32 v4, 0xff00000, v3
	v_lshrrev_b32_e32 v3, 20, v3
	s_delay_alu instid0(VALU_DEP_2) | instskip(NEXT) | instid1(VALU_DEP_2)
	v_cmp_ne_u32_e32 vcc_lo, 0x7f00000, v4
	v_cndmask_b32_e32 v3, 0x7e, v3, vcc_lo
; %bb.7413:
	s_and_not1_saveexec_b32 vcc_lo, s65
; %bb.7414:
	v_add_f32_e64 v3, 0x46800000, |v70|
; %bb.7415:
	s_or_b32 exec_lo, exec_lo, vcc_lo
                                        ; implicit-def: $vgpr4
.LBB25_7416:
	s_and_not1_saveexec_b32 s64, s64
; %bb.7417:
	v_mov_b32_e32 v3, 0x7f
	v_cmp_lt_u32_e32 vcc_lo, 0x7f800000, v4
	s_delay_alu instid0(VALU_DEP_2)
	v_cndmask_b32_e32 v3, 0x7e, v3, vcc_lo
; %bb.7418:
	s_or_b32 exec_lo, exec_lo, s64
	v_lshrrev_b32_e32 v4, 24, v70
	s_delay_alu instid0(VALU_DEP_1)
	v_and_or_b32 v3, 0x80, v4, v3
	flat_store_b8 v[1:2], v3
.LBB25_7419:
	s_or_b32 exec_lo, exec_lo, s63
                                        ; implicit-def: $vgpr70
                                        ; implicit-def: $vgpr1_vgpr2
.LBB25_7420:
	s_and_not1_saveexec_b32 s62, s62
	s_cbranch_execz .LBB25_7430
; %bb.7421:
	v_and_b32_e32 v4, 0x7fffffff, v70
	s_mov_b32 s63, exec_lo
                                        ; implicit-def: $vgpr3
	s_delay_alu instid0(VALU_DEP_1)
	v_cmpx_gt_u32_e32 0x47800000, v4
	s_xor_b32 s63, exec_lo, s63
	s_cbranch_execz .LBB25_7427
; %bb.7422:
	v_cmp_lt_u32_e32 vcc_lo, 0x387fffff, v4
                                        ; implicit-def: $vgpr3
	s_and_saveexec_b32 s64, vcc_lo
	s_delay_alu instid0(SALU_CYCLE_1)
	s_xor_b32 vcc_lo, exec_lo, s64
; %bb.7423:
	v_bfe_u32 v3, v70, 21, 1
	s_delay_alu instid0(VALU_DEP_1) | instskip(NEXT) | instid1(VALU_DEP_1)
	v_add3_u32 v3, v70, v3, 0x80fffff
	v_lshrrev_b32_e32 v3, 21, v3
; %bb.7424:
	s_and_not1_saveexec_b32 vcc_lo, vcc_lo
; %bb.7425:
	v_add_f32_e64 v3, 0x43000000, |v70|
; %bb.7426:
	s_or_b32 exec_lo, exec_lo, vcc_lo
                                        ; implicit-def: $vgpr4
.LBB25_7427:
	s_and_not1_saveexec_b32 s63, s63
; %bb.7428:
	v_mov_b32_e32 v3, 0x7f
	v_cmp_lt_u32_e32 vcc_lo, 0x7f800000, v4
	s_delay_alu instid0(VALU_DEP_2)
	v_cndmask_b32_e32 v3, 0x7c, v3, vcc_lo
; %bb.7429:
	s_or_b32 exec_lo, exec_lo, s63
	v_lshrrev_b32_e32 v4, 24, v70
	s_delay_alu instid0(VALU_DEP_1)
	v_and_or_b32 v3, 0x80, v4, v3
	flat_store_b8 v[1:2], v3
.LBB25_7430:
	s_or_b32 exec_lo, exec_lo, s62
	s_delay_alu instid0(SALU_CYCLE_1)
	s_or_b32 s62, s0, exec_lo
                                        ; implicit-def: $vgpr3
                                        ; implicit-def: $vgpr70
                                        ; implicit-def: $vgpr1_vgpr2
.LBB25_7431:
	s_or_saveexec_b32 s61, s61
	s_mov_b32 vcc_lo, s59
	s_xor_b32 exec_lo, exec_lo, s61
	s_cbranch_execz .LBB25_7441
; %bb.7432:
	s_mov_b32 s63, s62
	s_mov_b32 s64, s59
	s_mov_b32 s65, exec_lo
	v_cmpx_lt_i16_e32 14, v3
	s_xor_b32 s65, exec_lo, s65
	s_cbranch_execz .LBB25_7436
; %bb.7433:
	s_mov_b32 s66, -1
	s_mov_b32 s63, s62
	s_mov_b32 s64, exec_lo
	v_cmpx_eq_u16_e32 15, v3
	s_cbranch_execz .LBB25_7435
; %bb.7434:
	v_bfe_u32 v3, v70, 16, 1
	v_cmp_o_f32_e32 vcc_lo, v70, v70
	s_xor_b32 s66, exec_lo, -1
	s_or_b32 s63, s62, exec_lo
	s_delay_alu instid0(VALU_DEP_2) | instskip(NEXT) | instid1(VALU_DEP_1)
	v_add3_u32 v3, v70, v3, 0x7fff
	v_lshrrev_b32_e32 v3, 16, v3
	s_delay_alu instid0(VALU_DEP_1)
	v_cndmask_b32_e32 v3, 0x7fc0, v3, vcc_lo
	flat_store_b16 v[1:2], v3
.LBB25_7435:
	s_or_b32 exec_lo, exec_lo, s64
	s_delay_alu instid0(SALU_CYCLE_1)
	s_and_not1_b32 vcc_lo, s59, exec_lo
	s_and_b32 s64, s66, exec_lo
	s_and_not1_b32 s66, s62, exec_lo
	s_and_b32 s63, s63, exec_lo
	s_or_b32 s64, vcc_lo, s64
	s_or_b32 s63, s66, s63
                                        ; implicit-def: $vgpr3
                                        ; implicit-def: $vgpr70
                                        ; implicit-def: $vgpr1_vgpr2
.LBB25_7436:
	s_and_not1_saveexec_b32 s65, s65
	s_cbranch_execz .LBB25_7440
; %bb.7437:
	s_mov_b32 s67, -1
	s_mov_b32 s66, s63
	s_mov_b32 s68, exec_lo
	v_cmpx_eq_u16_e32 11, v3
	s_cbranch_execz .LBB25_7439
; %bb.7438:
	v_cmp_neq_f32_e32 vcc_lo, 0, v70
	s_xor_b32 s67, exec_lo, -1
	s_or_b32 s66, s63, exec_lo
	v_cndmask_b32_e64 v3, 0, 1, vcc_lo
	flat_store_b8 v[1:2], v3
.LBB25_7439:
	s_or_b32 exec_lo, exec_lo, s68
	s_delay_alu instid0(SALU_CYCLE_1)
	s_and_not1_b32 vcc_lo, s64, exec_lo
	s_and_b32 s64, s67, exec_lo
	s_and_not1_b32 s63, s63, exec_lo
	s_and_b32 s66, s66, exec_lo
	s_or_b32 s64, vcc_lo, s64
	s_or_b32 s63, s63, s66
.LBB25_7440:
	s_or_b32 exec_lo, exec_lo, s65
	s_delay_alu instid0(SALU_CYCLE_1)
	s_and_not1_b32 vcc_lo, s59, exec_lo
	s_and_b32 s64, s64, exec_lo
	s_and_not1_b32 s62, s62, exec_lo
	s_and_b32 s63, s63, exec_lo
	s_or_b32 vcc_lo, vcc_lo, s64
	s_or_b32 s62, s62, s63
.LBB25_7441:
	s_or_b32 exec_lo, exec_lo, s61
	s_delay_alu instid0(SALU_CYCLE_1)
	s_and_not1_b32 s59, s59, exec_lo
	s_and_b32 vcc_lo, vcc_lo, exec_lo
	s_and_not1_b32 s0, s0, exec_lo
	s_and_b32 s61, s62, exec_lo
	s_or_b32 s59, s59, vcc_lo
	s_or_b32 s0, s0, s61
.LBB25_7442:
	s_or_b32 exec_lo, exec_lo, s60
	s_delay_alu instid0(SALU_CYCLE_1)
	s_and_not1_b32 vcc_lo, s55, exec_lo
	s_and_b32 s59, s59, exec_lo
	s_and_b32 s0, s0, exec_lo
	s_or_b32 s59, vcc_lo, s59
                                        ; implicit-def: $vgpr3
                                        ; implicit-def: $vgpr70
                                        ; implicit-def: $vgpr1_vgpr2
	s_and_not1_saveexec_b32 s57, s57
	s_cbranch_execz .LBB25_4021
.LBB25_7443:
	s_mov_b32 s60, exec_lo
	v_cmpx_lt_i16_e32 4, v3
	s_xor_b32 s60, exec_lo, s60
	s_cbranch_execz .LBB25_7465
; %bb.7444:
	s_mov_b32 s61, exec_lo
	v_cmpx_lt_i16_e32 7, v3
	s_xor_b32 s61, exec_lo, s61
	s_cbranch_execz .LBB25_7454
; %bb.7445:
	;; [unrolled: 5-line block ×3, first 2 shown]
	v_cmp_lt_i16_e32 vcc_lo, 9, v3
	s_and_saveexec_b32 s63, vcc_lo
	s_delay_alu instid0(SALU_CYCLE_1)
	s_xor_b32 vcc_lo, exec_lo, s63
	s_cbranch_execz .LBB25_7448
; %bb.7447:
	v_cvt_f64_f32_e32 v[3:4], v70
	v_mov_b32_e32 v5, 0
                                        ; implicit-def: $vgpr70
	s_delay_alu instid0(VALU_DEP_1)
	v_mov_b32_e32 v6, v5
	flat_store_b128 v[1:2], v[3:6]
                                        ; implicit-def: $vgpr1_vgpr2
.LBB25_7448:
	s_and_not1_saveexec_b32 vcc_lo, vcc_lo
	s_cbranch_execz .LBB25_7450
; %bb.7449:
	v_mov_b32_e32 v71, 0
	flat_store_b64 v[1:2], v[70:71]
.LBB25_7450:
	s_or_b32 exec_lo, exec_lo, vcc_lo
                                        ; implicit-def: $vgpr70
                                        ; implicit-def: $vgpr1_vgpr2
.LBB25_7451:
	s_and_not1_saveexec_b32 vcc_lo, s62
	s_cbranch_execz .LBB25_7453
; %bb.7452:
	v_cvt_f16_f32_e32 v3, v70
	s_delay_alu instid0(VALU_DEP_1)
	v_and_b32_e32 v3, 0xffff, v3
	flat_store_b32 v[1:2], v3
.LBB25_7453:
	s_or_b32 exec_lo, exec_lo, vcc_lo
                                        ; implicit-def: $vgpr70
                                        ; implicit-def: $vgpr1_vgpr2
                                        ; implicit-def: $vgpr3
.LBB25_7454:
	s_and_not1_saveexec_b32 s61, s61
	s_cbranch_execz .LBB25_7464
; %bb.7455:
	s_mov_b32 s62, exec_lo
	v_cmpx_lt_i16_e32 5, v3
	s_xor_b32 s62, exec_lo, s62
	s_cbranch_execz .LBB25_7461
; %bb.7456:
	v_cmp_lt_i16_e32 vcc_lo, 6, v3
	s_and_saveexec_b32 s63, vcc_lo
	s_delay_alu instid0(SALU_CYCLE_1)
	s_xor_b32 vcc_lo, exec_lo, s63
	s_cbranch_execz .LBB25_7458
; %bb.7457:
	v_cvt_f64_f32_e32 v[3:4], v70
                                        ; implicit-def: $vgpr70
	flat_store_b64 v[1:2], v[3:4]
                                        ; implicit-def: $vgpr1_vgpr2
.LBB25_7458:
	s_and_not1_saveexec_b32 vcc_lo, vcc_lo
	s_cbranch_execz .LBB25_7460
; %bb.7459:
	flat_store_b32 v[1:2], v70
.LBB25_7460:
	s_or_b32 exec_lo, exec_lo, vcc_lo
                                        ; implicit-def: $vgpr70
                                        ; implicit-def: $vgpr1_vgpr2
.LBB25_7461:
	s_and_not1_saveexec_b32 vcc_lo, s62
	s_cbranch_execz .LBB25_7463
; %bb.7462:
	v_cvt_f16_f32_e32 v3, v70
	flat_store_b16 v[1:2], v3
.LBB25_7463:
	s_or_b32 exec_lo, exec_lo, vcc_lo
.LBB25_7464:
	s_delay_alu instid0(SALU_CYCLE_1)
	s_or_b32 exec_lo, exec_lo, s61
                                        ; implicit-def: $vgpr3
                                        ; implicit-def: $vgpr70
                                        ; implicit-def: $vgpr1_vgpr2
.LBB25_7465:
	s_and_not1_saveexec_b32 s60, s60
	s_cbranch_execz .LBB25_7483
; %bb.7466:
	s_mov_b32 s61, exec_lo
	v_cmpx_lt_i16_e32 1, v3
	s_xor_b32 s61, exec_lo, s61
	s_cbranch_execz .LBB25_7476
; %bb.7467:
	s_mov_b32 s62, exec_lo
	v_cmpx_lt_i16_e32 2, v3
	s_xor_b32 s62, exec_lo, s62
	;; [unrolled: 5-line block ×3, first 2 shown]
	s_cbranch_execz .LBB25_7470
; %bb.7469:
	v_trunc_f32_e32 v3, v70
                                        ; implicit-def: $vgpr70
	s_delay_alu instid0(VALU_DEP_1) | instskip(SKIP_1) | instid1(VALU_DEP_2)
	v_mul_f32_e64 v4, 0x2f800000, |v3|
	v_ashrrev_i32_e32 v6, 31, v3
	v_floor_f32_e32 v4, v4
	s_delay_alu instid0(VALU_DEP_1) | instskip(SKIP_1) | instid1(VALU_DEP_2)
	v_fma_f32 v5, 0xcf800000, v4, |v3|
	v_cvt_u32_f32_e32 v4, v4
	v_cvt_u32_f32_e32 v3, v5
	s_delay_alu instid0(VALU_DEP_2) | instskip(NEXT) | instid1(VALU_DEP_2)
	v_xor_b32_e32 v4, v4, v6
	v_xor_b32_e32 v3, v3, v6
	s_delay_alu instid0(VALU_DEP_1) | instskip(NEXT) | instid1(VALU_DEP_3)
	v_sub_co_u32 v3, vcc_lo, v3, v6
	v_sub_co_ci_u32_e32 v4, vcc_lo, v4, v6, vcc_lo
	flat_store_b64 v[1:2], v[3:4]
                                        ; implicit-def: $vgpr1_vgpr2
.LBB25_7470:
	s_and_not1_saveexec_b32 vcc_lo, s63
	s_cbranch_execz .LBB25_7472
; %bb.7471:
	v_cvt_i32_f32_e32 v3, v70
	flat_store_b32 v[1:2], v3
.LBB25_7472:
	s_or_b32 exec_lo, exec_lo, vcc_lo
                                        ; implicit-def: $vgpr70
                                        ; implicit-def: $vgpr1_vgpr2
.LBB25_7473:
	s_and_not1_saveexec_b32 vcc_lo, s62
	s_cbranch_execz .LBB25_7475
; %bb.7474:
	v_cvt_i32_f32_e32 v3, v70
	flat_store_b16 v[1:2], v3
.LBB25_7475:
	s_or_b32 exec_lo, exec_lo, vcc_lo
                                        ; implicit-def: $vgpr70
                                        ; implicit-def: $vgpr1_vgpr2
                                        ; implicit-def: $vgpr3
.LBB25_7476:
	s_and_not1_saveexec_b32 s61, s61
	s_cbranch_execz .LBB25_7482
; %bb.7477:
	v_cmp_lt_i16_e32 vcc_lo, 0, v3
	s_and_saveexec_b32 s62, vcc_lo
	s_delay_alu instid0(SALU_CYCLE_1)
	s_xor_b32 vcc_lo, exec_lo, s62
	s_cbranch_execz .LBB25_7479
; %bb.7478:
	v_cvt_i32_f32_e32 v3, v70
                                        ; implicit-def: $vgpr70
	flat_store_b8 v[1:2], v3
                                        ; implicit-def: $vgpr1_vgpr2
.LBB25_7479:
	s_and_not1_saveexec_b32 vcc_lo, vcc_lo
	s_cbranch_execz .LBB25_7481
; %bb.7480:
	v_trunc_f32_e32 v3, v70
	s_delay_alu instid0(VALU_DEP_1) | instskip(NEXT) | instid1(VALU_DEP_1)
	v_mul_f32_e64 v4, 0x2f800000, |v3|
	v_floor_f32_e32 v4, v4
	s_delay_alu instid0(VALU_DEP_1) | instskip(SKIP_1) | instid1(VALU_DEP_2)
	v_fma_f32 v4, 0xcf800000, v4, |v3|
	v_ashrrev_i32_e32 v3, 31, v3
	v_cvt_u32_f32_e32 v4, v4
	s_delay_alu instid0(VALU_DEP_1) | instskip(NEXT) | instid1(VALU_DEP_1)
	v_xor_b32_e32 v4, v4, v3
	v_sub_nc_u32_e32 v3, v4, v3
	flat_store_b8 v[1:2], v3
.LBB25_7481:
	s_or_b32 exec_lo, exec_lo, vcc_lo
.LBB25_7482:
	s_delay_alu instid0(SALU_CYCLE_1)
	s_or_b32 exec_lo, exec_lo, s61
.LBB25_7483:
	s_delay_alu instid0(SALU_CYCLE_1) | instskip(NEXT) | instid1(SALU_CYCLE_1)
	s_or_b32 exec_lo, exec_lo, s60
	s_or_b32 s0, s0, exec_lo
	s_or_b32 exec_lo, exec_lo, s57
	s_mov_b32 vcc_lo, 0
	s_and_saveexec_b32 s57, s0
	s_cbranch_execnz .LBB25_4022
	s_branch .LBB25_4023
.LBB25_7484:
	v_bfe_u32 v3, v85, 21, 1
	s_mov_b32 s53, exec_lo
	s_delay_alu instid0(VALU_DEP_1) | instskip(NEXT) | instid1(VALU_DEP_1)
	v_add3_u32 v3, v85, v3, 0x88fffff
	v_lshrrev_b32_e32 v3, 21, v3
	s_or_saveexec_b32 s54, vcc_lo
                                        ; implicit-def: $vcc_lo
	s_delay_alu instid0(SALU_CYCLE_1)
	s_xor_b32 exec_lo, exec_lo, s54
	s_cbranch_execz .LBB25_6649
.LBB25_7485:
	v_add_f32_e64 v3, 0x42800000, |v85|
	s_and_not1_b32 s53, s53, exec_lo
	s_delay_alu instid0(VALU_DEP_1) | instskip(NEXT) | instid1(VALU_DEP_1)
	v_and_b32_e32 v3, 0xff, v3
	v_cmp_ne_u32_e32 vcc_lo, 0, v3
	s_and_b32 s55, vcc_lo, exec_lo
	s_mov_b32 vcc_lo, 0
	s_or_b32 s53, s53, s55
	s_or_b32 exec_lo, exec_lo, s54
	v_mov_b32_e32 v4, vcc_lo
	s_and_saveexec_b32 vcc_lo, s53
	s_cbranch_execnz .LBB25_6650
	s_branch .LBB25_6651
.LBB25_7486:
	v_bfe_u32 v3, v84, 20, 1
	s_mov_b32 s54, exec_lo
	s_delay_alu instid0(VALU_DEP_1) | instskip(NEXT) | instid1(VALU_DEP_1)
	v_add3_u32 v3, v84, v3, 0x487ffff
	v_lshrrev_b32_e32 v3, 20, v3
	s_or_saveexec_b32 s55, vcc_lo
                                        ; implicit-def: $vcc_lo
	s_delay_alu instid0(SALU_CYCLE_1)
	s_xor_b32 exec_lo, exec_lo, s55
	s_cbranch_execz .LBB25_6762
.LBB25_7487:
	v_add_f32_e64 v3, 0x46000000, |v84|
	s_and_not1_b32 s54, s54, exec_lo
	s_delay_alu instid0(VALU_DEP_1) | instskip(NEXT) | instid1(VALU_DEP_1)
	v_and_b32_e32 v3, 0xff, v3
	v_cmp_ne_u32_e32 vcc_lo, 0, v3
	s_and_b32 s56, vcc_lo, exec_lo
	s_mov_b32 vcc_lo, 0
	s_or_b32 s54, s54, s56
	s_or_b32 exec_lo, exec_lo, s55
	v_mov_b32_e32 v4, vcc_lo
	s_and_saveexec_b32 vcc_lo, s54
	s_cbranch_execnz .LBB25_6763
	s_branch .LBB25_6764
.LBB25_7488:
	s_mov_b32 s61, s57
	s_mov_b32 s62, exec_lo
	v_cmpx_lt_i16_e32 25, v3
	s_xor_b32 s62, exec_lo, s62
	s_cbranch_execz .LBB25_7524
; %bb.7489:
	s_mov_b32 s63, s57
	s_mov_b32 s61, exec_lo
	v_cmpx_lt_i16_e32 28, v3
	s_xor_b32 s61, exec_lo, s61
	s_cbranch_execz .LBB25_7507
; %bb.7490:
	;; [unrolled: 6-line block ×3, first 2 shown]
	s_mov_b32 s64, 0
	s_mov_b32 s65, s57
	s_mov_b32 s0, exec_lo
	v_cmpx_lt_i16_e32 45, v3
	s_xor_b32 s0, exec_lo, s0
	s_cbranch_execz .LBB25_7495
; %bb.7492:
	s_mov_b32 s66, -1
	s_mov_b32 s65, exec_lo
	v_cmpx_eq_u16_e32 46, v3
	s_cbranch_execz .LBB25_7494
; %bb.7493:
	v_bfe_u32 v3, v69, 16, 1
	v_cmp_o_f32_e32 vcc_lo, v69, v69
	s_mov_b32 s64, exec_lo
	s_xor_b32 s66, exec_lo, -1
	s_delay_alu instid0(VALU_DEP_2) | instskip(NEXT) | instid1(VALU_DEP_1)
	v_add3_u32 v3, v69, v3, 0x7fff
	v_lshrrev_b32_e32 v3, 16, v3
	s_delay_alu instid0(VALU_DEP_1)
	v_cndmask_b32_e32 v3, 0x7fc0, v3, vcc_lo
	flat_store_b32 v[1:2], v3
.LBB25_7494:
	s_or_b32 exec_lo, exec_lo, s65
	s_delay_alu instid0(SALU_CYCLE_1)
	s_and_not1_b32 vcc_lo, s57, exec_lo
	s_and_b32 s65, s66, exec_lo
	s_and_b32 s64, s64, exec_lo
	s_or_b32 s65, vcc_lo, s65
                                        ; implicit-def: $vgpr3
                                        ; implicit-def: $vgpr1_vgpr2
                                        ; implicit-def: $vgpr69
.LBB25_7495:
	s_and_not1_saveexec_b32 s66, s0
	s_cbranch_execz .LBB25_7501
; %bb.7496:
	s_mov_b32 s68, -1
	s_mov_b32 s0, s64
	s_mov_b32 s67, exec_lo
	v_cmpx_eq_u16_e32 44, v3
	s_cbranch_execz .LBB25_7500
; %bb.7497:
	v_bfe_u32 v4, v69, 23, 8
	v_mov_b32_e32 v3, 0xff
	s_mov_b32 s68, exec_lo
	s_delay_alu instid0(VALU_DEP_2)
	v_cmpx_ne_u32_e32 0xff, v4
; %bb.7498:
	v_and_b32_e32 v3, 0x400000, v69
	v_and_or_b32 v4, 0x3fffff, v69, v4
	s_delay_alu instid0(VALU_DEP_2) | instskip(NEXT) | instid1(VALU_DEP_2)
	v_cmp_ne_u32_e32 vcc_lo, 0, v3
	v_cmp_ne_u32_e64 s0, 0, v4
	v_lshrrev_b32_e32 v3, 23, v69
	s_delay_alu instid0(VALU_DEP_2) | instskip(NEXT) | instid1(SALU_CYCLE_1)
	s_and_b32 s0, vcc_lo, s0
	v_cndmask_b32_e64 v4, 0, 1, s0
	s_delay_alu instid0(VALU_DEP_1)
	v_add_nc_u32_e32 v3, v3, v4
; %bb.7499:
	s_or_b32 exec_lo, exec_lo, s68
	s_delay_alu instid0(SALU_CYCLE_1)
	s_xor_b32 s68, exec_lo, -1
	s_or_b32 s0, s64, exec_lo
	flat_store_b8 v[1:2], v3
.LBB25_7500:
	s_or_b32 exec_lo, exec_lo, s67
	s_delay_alu instid0(SALU_CYCLE_1)
	s_and_not1_b32 vcc_lo, s65, exec_lo
	s_and_b32 s65, s68, exec_lo
	s_and_not1_b32 s64, s64, exec_lo
	s_and_b32 s0, s0, exec_lo
	s_or_b32 s65, vcc_lo, s65
	s_or_b32 s64, s64, s0
.LBB25_7501:
	s_or_b32 exec_lo, exec_lo, s66
	s_delay_alu instid0(SALU_CYCLE_1) | instskip(SKIP_1) | instid1(SALU_CYCLE_1)
	s_and_not1_b32 s0, s57, exec_lo
	s_and_b32 vcc_lo, s65, exec_lo
                                        ; implicit-def: $vgpr3
                                        ; implicit-def: $vgpr69
                                        ; implicit-def: $vgpr1_vgpr2
	s_or_b32 s65, s0, vcc_lo
	s_and_b32 s0, s64, exec_lo
.LBB25_7502:
	s_and_not1_saveexec_b32 s63, s63
	s_cbranch_execz .LBB25_7506
; %bb.7503:
	s_mov_b32 s67, -1
	s_mov_b32 s66, s0
	s_mov_b32 s64, exec_lo
	v_cmpx_eq_u16_e32 29, v3
	s_cbranch_execz .LBB25_7505
; %bb.7504:
	v_trunc_f32_e32 v3, v69
	s_xor_b32 s67, exec_lo, -1
	s_or_b32 s66, s0, exec_lo
	s_delay_alu instid0(VALU_DEP_1) | instskip(NEXT) | instid1(VALU_DEP_1)
	v_mul_f32_e32 v4, 0x2f800000, v3
	v_floor_f32_e32 v4, v4
	s_delay_alu instid0(VALU_DEP_1) | instskip(SKIP_1) | instid1(VALU_DEP_2)
	v_fmamk_f32 v3, v4, 0xcf800000, v3
	v_cvt_u32_f32_e32 v4, v4
	v_cvt_u32_f32_e32 v3, v3
	flat_store_b64 v[1:2], v[3:4]
.LBB25_7505:
	s_or_b32 exec_lo, exec_lo, s64
	s_delay_alu instid0(SALU_CYCLE_1)
	s_and_not1_b32 vcc_lo, s65, exec_lo
	s_and_b32 s64, s67, exec_lo
	s_and_not1_b32 s0, s0, exec_lo
	s_and_b32 s66, s66, exec_lo
	s_or_b32 s65, vcc_lo, s64
	s_or_b32 s0, s0, s66
.LBB25_7506:
	s_or_b32 exec_lo, exec_lo, s63
	s_delay_alu instid0(SALU_CYCLE_1)
	s_and_not1_b32 vcc_lo, s57, exec_lo
	s_and_b32 s63, s65, exec_lo
	s_and_b32 s0, s0, exec_lo
	s_or_b32 s63, vcc_lo, s63
                                        ; implicit-def: $vgpr1_vgpr2
                                        ; implicit-def: $vgpr3
                                        ; implicit-def: $vgpr69
.LBB25_7507:
	s_and_not1_saveexec_b32 s61, s61
	s_cbranch_execz .LBB25_7523
; %bb.7508:
	s_mov_b32 s64, exec_lo
	v_cmpx_lt_i16_e32 26, v3
	s_xor_b32 s64, exec_lo, s64
	s_cbranch_execz .LBB25_7514
; %bb.7509:
	v_cmp_lt_i16_e32 vcc_lo, 27, v3
	v_cvt_u32_f32_e32 v3, v69
	s_and_saveexec_b32 s65, vcc_lo
	s_delay_alu instid0(SALU_CYCLE_1)
	s_xor_b32 vcc_lo, exec_lo, s65
	s_cbranch_execz .LBB25_7511
; %bb.7510:
	flat_store_b32 v[1:2], v3
                                        ; implicit-def: $vgpr1_vgpr2
                                        ; implicit-def: $vgpr3
.LBB25_7511:
	s_and_not1_saveexec_b32 vcc_lo, vcc_lo
	s_cbranch_execz .LBB25_7513
; %bb.7512:
	flat_store_b16 v[1:2], v3
.LBB25_7513:
	s_or_b32 exec_lo, exec_lo, vcc_lo
                                        ; implicit-def: $vgpr1_vgpr2
                                        ; implicit-def: $vgpr69
.LBB25_7514:
	s_and_not1_saveexec_b32 s64, s64
	s_cbranch_execz .LBB25_7522
; %bb.7515:
	v_and_b32_e32 v3, 0x7fffffff, v69
	v_mov_b32_e32 v4, 0x80
	s_mov_b32 s65, exec_lo
	s_delay_alu instid0(VALU_DEP_2)
	v_cmpx_gt_u32_e32 0x43800000, v3
	s_cbranch_execz .LBB25_7521
; %bb.7516:
	v_cmp_lt_u32_e32 vcc_lo, 0x3bffffff, v3
	s_mov_b32 s66, 0
                                        ; implicit-def: $vgpr3
	s_and_saveexec_b32 s67, vcc_lo
	s_delay_alu instid0(SALU_CYCLE_1)
	s_xor_b32 vcc_lo, exec_lo, s67
	s_cbranch_execnz .LBB25_7998
; %bb.7517:
	s_or_saveexec_b32 s67, vcc_lo
                                        ; implicit-def: $vcc_lo
	s_delay_alu instid0(SALU_CYCLE_1)
	s_xor_b32 exec_lo, exec_lo, s67
	s_cbranch_execnz .LBB25_7999
.LBB25_7518:
	s_or_b32 exec_lo, exec_lo, s67
	v_mov_b32_e32 v4, vcc_lo
	s_and_saveexec_b32 vcc_lo, s66
.LBB25_7519:
	v_lshrrev_b32_e32 v4, 24, v69
	s_delay_alu instid0(VALU_DEP_1)
	v_and_or_b32 v4, 0x80, v4, v3
.LBB25_7520:
	s_or_b32 exec_lo, exec_lo, vcc_lo
.LBB25_7521:
	s_delay_alu instid0(SALU_CYCLE_1)
	s_or_b32 exec_lo, exec_lo, s65
	flat_store_b8 v[1:2], v4
.LBB25_7522:
	s_or_b32 exec_lo, exec_lo, s64
	s_delay_alu instid0(SALU_CYCLE_1)
	s_or_b32 s0, s0, exec_lo
.LBB25_7523:
	s_or_b32 exec_lo, exec_lo, s61
	s_delay_alu instid0(SALU_CYCLE_1)
	s_and_not1_b32 vcc_lo, s57, exec_lo
	s_and_b32 s61, s63, exec_lo
	s_and_b32 s0, s0, exec_lo
	s_or_b32 s61, vcc_lo, s61
                                        ; implicit-def: $vgpr3
                                        ; implicit-def: $vgpr69
                                        ; implicit-def: $vgpr1_vgpr2
.LBB25_7524:
	s_and_not1_saveexec_b32 s62, s62
	s_cbranch_execz .LBB25_7568
; %bb.7525:
	s_mov_b32 s64, s0
	s_mov_b32 s63, exec_lo
	v_cmpx_lt_i16_e32 22, v3
	s_xor_b32 s63, exec_lo, s63
	s_cbranch_execz .LBB25_7557
; %bb.7526:
	s_mov_b32 s64, exec_lo
	v_cmpx_lt_i16_e32 23, v3
	s_xor_b32 s64, exec_lo, s64
	s_cbranch_execz .LBB25_7546
; %bb.7527:
	;; [unrolled: 5-line block ×3, first 2 shown]
	v_and_b32_e32 v3, 0x7fffffff, v69
	v_mov_b32_e32 v4, 0x80
	s_mov_b32 s66, exec_lo
	s_delay_alu instid0(VALU_DEP_2)
	v_cmpx_gt_u32_e32 0x47800000, v3
	s_cbranch_execz .LBB25_7534
; %bb.7529:
	v_cmp_lt_u32_e32 vcc_lo, 0x37ffffff, v3
	s_mov_b32 s67, 0
                                        ; implicit-def: $vgpr3
	s_and_saveexec_b32 s68, vcc_lo
	s_delay_alu instid0(SALU_CYCLE_1)
	s_xor_b32 vcc_lo, exec_lo, s68
	s_cbranch_execnz .LBB25_8000
; %bb.7530:
	s_or_saveexec_b32 s68, vcc_lo
                                        ; implicit-def: $vcc_lo
	s_delay_alu instid0(SALU_CYCLE_1)
	s_xor_b32 exec_lo, exec_lo, s68
	s_cbranch_execnz .LBB25_8001
.LBB25_7531:
	s_or_b32 exec_lo, exec_lo, s68
	v_mov_b32_e32 v4, vcc_lo
	s_and_saveexec_b32 vcc_lo, s67
.LBB25_7532:
	v_lshrrev_b32_e32 v4, 24, v69
	s_delay_alu instid0(VALU_DEP_1)
	v_and_or_b32 v4, 0x80, v4, v3
.LBB25_7533:
	s_or_b32 exec_lo, exec_lo, vcc_lo
.LBB25_7534:
	s_delay_alu instid0(SALU_CYCLE_1)
	s_or_b32 exec_lo, exec_lo, s66
	flat_store_b8 v[1:2], v4
                                        ; implicit-def: $vgpr69
                                        ; implicit-def: $vgpr1_vgpr2
.LBB25_7535:
	s_and_not1_saveexec_b32 s65, s65
	s_cbranch_execz .LBB25_7545
; %bb.7536:
	v_and_b32_e32 v4, 0x7fffffff, v69
	s_mov_b32 s66, exec_lo
                                        ; implicit-def: $vgpr3
	s_delay_alu instid0(VALU_DEP_1)
	v_cmpx_gt_u32_e32 0x43f00000, v4
	s_xor_b32 s66, exec_lo, s66
	s_cbranch_execz .LBB25_7542
; %bb.7537:
	s_mov_b32 s67, exec_lo
                                        ; implicit-def: $vgpr3
	v_cmpx_lt_u32_e32 0x3c7fffff, v4
	s_xor_b32 s67, exec_lo, s67
; %bb.7538:
	v_bfe_u32 v3, v69, 20, 1
	s_delay_alu instid0(VALU_DEP_1) | instskip(NEXT) | instid1(VALU_DEP_1)
	v_add3_u32 v3, v69, v3, 0x407ffff
	v_and_b32_e32 v4, 0xff00000, v3
	v_lshrrev_b32_e32 v3, 20, v3
	s_delay_alu instid0(VALU_DEP_2) | instskip(NEXT) | instid1(VALU_DEP_2)
	v_cmp_ne_u32_e32 vcc_lo, 0x7f00000, v4
	v_cndmask_b32_e32 v3, 0x7e, v3, vcc_lo
; %bb.7539:
	s_and_not1_saveexec_b32 vcc_lo, s67
; %bb.7540:
	v_add_f32_e64 v3, 0x46800000, |v69|
; %bb.7541:
	s_or_b32 exec_lo, exec_lo, vcc_lo
                                        ; implicit-def: $vgpr4
.LBB25_7542:
	s_and_not1_saveexec_b32 s66, s66
; %bb.7543:
	v_mov_b32_e32 v3, 0x7f
	v_cmp_lt_u32_e32 vcc_lo, 0x7f800000, v4
	s_delay_alu instid0(VALU_DEP_2)
	v_cndmask_b32_e32 v3, 0x7e, v3, vcc_lo
; %bb.7544:
	s_or_b32 exec_lo, exec_lo, s66
	v_lshrrev_b32_e32 v4, 24, v69
	s_delay_alu instid0(VALU_DEP_1)
	v_and_or_b32 v3, 0x80, v4, v3
	flat_store_b8 v[1:2], v3
.LBB25_7545:
	s_or_b32 exec_lo, exec_lo, s65
                                        ; implicit-def: $vgpr69
                                        ; implicit-def: $vgpr1_vgpr2
.LBB25_7546:
	s_and_not1_saveexec_b32 s64, s64
	s_cbranch_execz .LBB25_7556
; %bb.7547:
	v_and_b32_e32 v4, 0x7fffffff, v69
	s_mov_b32 s65, exec_lo
                                        ; implicit-def: $vgpr3
	s_delay_alu instid0(VALU_DEP_1)
	v_cmpx_gt_u32_e32 0x47800000, v4
	s_xor_b32 s65, exec_lo, s65
	s_cbranch_execz .LBB25_7553
; %bb.7548:
	v_cmp_lt_u32_e32 vcc_lo, 0x387fffff, v4
                                        ; implicit-def: $vgpr3
	s_and_saveexec_b32 s66, vcc_lo
	s_delay_alu instid0(SALU_CYCLE_1)
	s_xor_b32 vcc_lo, exec_lo, s66
; %bb.7549:
	v_bfe_u32 v3, v69, 21, 1
	s_delay_alu instid0(VALU_DEP_1) | instskip(NEXT) | instid1(VALU_DEP_1)
	v_add3_u32 v3, v69, v3, 0x80fffff
	v_lshrrev_b32_e32 v3, 21, v3
; %bb.7550:
	s_and_not1_saveexec_b32 vcc_lo, vcc_lo
; %bb.7551:
	v_add_f32_e64 v3, 0x43000000, |v69|
; %bb.7552:
	s_or_b32 exec_lo, exec_lo, vcc_lo
                                        ; implicit-def: $vgpr4
.LBB25_7553:
	s_and_not1_saveexec_b32 s65, s65
; %bb.7554:
	v_mov_b32_e32 v3, 0x7f
	v_cmp_lt_u32_e32 vcc_lo, 0x7f800000, v4
	s_delay_alu instid0(VALU_DEP_2)
	v_cndmask_b32_e32 v3, 0x7c, v3, vcc_lo
; %bb.7555:
	s_or_b32 exec_lo, exec_lo, s65
	v_lshrrev_b32_e32 v4, 24, v69
	s_delay_alu instid0(VALU_DEP_1)
	v_and_or_b32 v3, 0x80, v4, v3
	flat_store_b8 v[1:2], v3
.LBB25_7556:
	s_or_b32 exec_lo, exec_lo, s64
	s_delay_alu instid0(SALU_CYCLE_1)
	s_or_b32 s64, s0, exec_lo
                                        ; implicit-def: $vgpr3
                                        ; implicit-def: $vgpr69
                                        ; implicit-def: $vgpr1_vgpr2
.LBB25_7557:
	s_or_saveexec_b32 s63, s63
	s_mov_b32 vcc_lo, s61
	s_xor_b32 exec_lo, exec_lo, s63
	s_cbranch_execz .LBB25_7567
; %bb.7558:
	s_mov_b32 s65, s64
	s_mov_b32 s66, s61
	s_mov_b32 s67, exec_lo
	v_cmpx_lt_i16_e32 14, v3
	s_xor_b32 s67, exec_lo, s67
	s_cbranch_execz .LBB25_7562
; %bb.7559:
	s_mov_b32 s68, -1
	s_mov_b32 s65, s64
	s_mov_b32 s66, exec_lo
	v_cmpx_eq_u16_e32 15, v3
	s_cbranch_execz .LBB25_7561
; %bb.7560:
	v_bfe_u32 v3, v69, 16, 1
	v_cmp_o_f32_e32 vcc_lo, v69, v69
	s_xor_b32 s68, exec_lo, -1
	s_or_b32 s65, s64, exec_lo
	s_delay_alu instid0(VALU_DEP_2) | instskip(NEXT) | instid1(VALU_DEP_1)
	v_add3_u32 v3, v69, v3, 0x7fff
	v_lshrrev_b32_e32 v3, 16, v3
	s_delay_alu instid0(VALU_DEP_1)
	v_cndmask_b32_e32 v3, 0x7fc0, v3, vcc_lo
	flat_store_b16 v[1:2], v3
.LBB25_7561:
	s_or_b32 exec_lo, exec_lo, s66
	s_delay_alu instid0(SALU_CYCLE_1)
	s_and_not1_b32 vcc_lo, s61, exec_lo
	s_and_b32 s66, s68, exec_lo
	s_and_not1_b32 s68, s64, exec_lo
	s_and_b32 s65, s65, exec_lo
	s_or_b32 s66, vcc_lo, s66
	s_or_b32 s65, s68, s65
                                        ; implicit-def: $vgpr3
                                        ; implicit-def: $vgpr69
                                        ; implicit-def: $vgpr1_vgpr2
.LBB25_7562:
	s_and_not1_saveexec_b32 s67, s67
	s_cbranch_execz .LBB25_7566
; %bb.7563:
	s_mov_b32 s69, -1
	s_mov_b32 s68, s65
	s_mov_b32 s70, exec_lo
	v_cmpx_eq_u16_e32 11, v3
	s_cbranch_execz .LBB25_7565
; %bb.7564:
	v_cmp_neq_f32_e32 vcc_lo, 0, v69
	s_xor_b32 s69, exec_lo, -1
	s_or_b32 s68, s65, exec_lo
	v_cndmask_b32_e64 v3, 0, 1, vcc_lo
	flat_store_b8 v[1:2], v3
.LBB25_7565:
	s_or_b32 exec_lo, exec_lo, s70
	s_delay_alu instid0(SALU_CYCLE_1)
	s_and_not1_b32 vcc_lo, s66, exec_lo
	s_and_b32 s66, s69, exec_lo
	s_and_not1_b32 s65, s65, exec_lo
	s_and_b32 s68, s68, exec_lo
	s_or_b32 s66, vcc_lo, s66
	s_or_b32 s65, s65, s68
.LBB25_7566:
	s_or_b32 exec_lo, exec_lo, s67
	s_delay_alu instid0(SALU_CYCLE_1)
	s_and_not1_b32 vcc_lo, s61, exec_lo
	s_and_b32 s66, s66, exec_lo
	s_and_not1_b32 s64, s64, exec_lo
	s_and_b32 s65, s65, exec_lo
	s_or_b32 vcc_lo, vcc_lo, s66
	s_or_b32 s64, s64, s65
.LBB25_7567:
	s_or_b32 exec_lo, exec_lo, s63
	s_delay_alu instid0(SALU_CYCLE_1)
	s_and_not1_b32 s61, s61, exec_lo
	s_and_b32 vcc_lo, vcc_lo, exec_lo
	s_and_not1_b32 s0, s0, exec_lo
	s_and_b32 s63, s64, exec_lo
	s_or_b32 s61, s61, vcc_lo
	s_or_b32 s0, s0, s63
.LBB25_7568:
	s_or_b32 exec_lo, exec_lo, s62
	s_delay_alu instid0(SALU_CYCLE_1)
	s_and_not1_b32 vcc_lo, s57, exec_lo
	s_and_b32 s61, s61, exec_lo
	s_and_b32 s0, s0, exec_lo
	s_or_b32 s61, vcc_lo, s61
                                        ; implicit-def: $vgpr3
                                        ; implicit-def: $vgpr69
                                        ; implicit-def: $vgpr1_vgpr2
	s_and_not1_saveexec_b32 s59, s59
	s_cbranch_execz .LBB25_4028
.LBB25_7569:
	s_mov_b32 s62, exec_lo
	v_cmpx_lt_i16_e32 4, v3
	s_xor_b32 s62, exec_lo, s62
	s_cbranch_execz .LBB25_7591
; %bb.7570:
	s_mov_b32 s63, exec_lo
	v_cmpx_lt_i16_e32 7, v3
	s_xor_b32 s63, exec_lo, s63
	s_cbranch_execz .LBB25_7580
; %bb.7571:
	;; [unrolled: 5-line block ×3, first 2 shown]
	v_cmp_lt_i16_e32 vcc_lo, 9, v3
	s_and_saveexec_b32 s65, vcc_lo
	s_delay_alu instid0(SALU_CYCLE_1)
	s_xor_b32 vcc_lo, exec_lo, s65
	s_cbranch_execz .LBB25_7574
; %bb.7573:
	v_cvt_f64_f32_e32 v[3:4], v69
	v_mov_b32_e32 v5, 0
                                        ; implicit-def: $vgpr69
	s_delay_alu instid0(VALU_DEP_1)
	v_mov_b32_e32 v6, v5
	flat_store_b128 v[1:2], v[3:6]
                                        ; implicit-def: $vgpr1_vgpr2
.LBB25_7574:
	s_and_not1_saveexec_b32 vcc_lo, vcc_lo
	s_cbranch_execz .LBB25_7576
; %bb.7575:
	v_mov_b32_e32 v70, 0
	flat_store_b64 v[1:2], v[69:70]
.LBB25_7576:
	s_or_b32 exec_lo, exec_lo, vcc_lo
                                        ; implicit-def: $vgpr69
                                        ; implicit-def: $vgpr1_vgpr2
.LBB25_7577:
	s_and_not1_saveexec_b32 vcc_lo, s64
	s_cbranch_execz .LBB25_7579
; %bb.7578:
	v_cvt_f16_f32_e32 v3, v69
	s_delay_alu instid0(VALU_DEP_1)
	v_and_b32_e32 v3, 0xffff, v3
	flat_store_b32 v[1:2], v3
.LBB25_7579:
	s_or_b32 exec_lo, exec_lo, vcc_lo
                                        ; implicit-def: $vgpr69
                                        ; implicit-def: $vgpr1_vgpr2
                                        ; implicit-def: $vgpr3
.LBB25_7580:
	s_and_not1_saveexec_b32 s63, s63
	s_cbranch_execz .LBB25_7590
; %bb.7581:
	s_mov_b32 s64, exec_lo
	v_cmpx_lt_i16_e32 5, v3
	s_xor_b32 s64, exec_lo, s64
	s_cbranch_execz .LBB25_7587
; %bb.7582:
	v_cmp_lt_i16_e32 vcc_lo, 6, v3
	s_and_saveexec_b32 s65, vcc_lo
	s_delay_alu instid0(SALU_CYCLE_1)
	s_xor_b32 vcc_lo, exec_lo, s65
	s_cbranch_execz .LBB25_7584
; %bb.7583:
	v_cvt_f64_f32_e32 v[3:4], v69
                                        ; implicit-def: $vgpr69
	flat_store_b64 v[1:2], v[3:4]
                                        ; implicit-def: $vgpr1_vgpr2
.LBB25_7584:
	s_and_not1_saveexec_b32 vcc_lo, vcc_lo
	s_cbranch_execz .LBB25_7586
; %bb.7585:
	flat_store_b32 v[1:2], v69
.LBB25_7586:
	s_or_b32 exec_lo, exec_lo, vcc_lo
                                        ; implicit-def: $vgpr69
                                        ; implicit-def: $vgpr1_vgpr2
.LBB25_7587:
	s_and_not1_saveexec_b32 vcc_lo, s64
	s_cbranch_execz .LBB25_7589
; %bb.7588:
	v_cvt_f16_f32_e32 v3, v69
	flat_store_b16 v[1:2], v3
.LBB25_7589:
	s_or_b32 exec_lo, exec_lo, vcc_lo
.LBB25_7590:
	s_delay_alu instid0(SALU_CYCLE_1)
	s_or_b32 exec_lo, exec_lo, s63
                                        ; implicit-def: $vgpr3
                                        ; implicit-def: $vgpr69
                                        ; implicit-def: $vgpr1_vgpr2
.LBB25_7591:
	s_and_not1_saveexec_b32 s62, s62
	s_cbranch_execz .LBB25_7609
; %bb.7592:
	s_mov_b32 s63, exec_lo
	v_cmpx_lt_i16_e32 1, v3
	s_xor_b32 s63, exec_lo, s63
	s_cbranch_execz .LBB25_7602
; %bb.7593:
	s_mov_b32 s64, exec_lo
	v_cmpx_lt_i16_e32 2, v3
	s_xor_b32 s64, exec_lo, s64
	;; [unrolled: 5-line block ×3, first 2 shown]
	s_cbranch_execz .LBB25_7596
; %bb.7595:
	v_trunc_f32_e32 v3, v69
                                        ; implicit-def: $vgpr69
	s_delay_alu instid0(VALU_DEP_1) | instskip(SKIP_1) | instid1(VALU_DEP_2)
	v_mul_f32_e64 v4, 0x2f800000, |v3|
	v_ashrrev_i32_e32 v6, 31, v3
	v_floor_f32_e32 v4, v4
	s_delay_alu instid0(VALU_DEP_1) | instskip(SKIP_1) | instid1(VALU_DEP_2)
	v_fma_f32 v5, 0xcf800000, v4, |v3|
	v_cvt_u32_f32_e32 v4, v4
	v_cvt_u32_f32_e32 v3, v5
	s_delay_alu instid0(VALU_DEP_2) | instskip(NEXT) | instid1(VALU_DEP_2)
	v_xor_b32_e32 v4, v4, v6
	v_xor_b32_e32 v3, v3, v6
	s_delay_alu instid0(VALU_DEP_1) | instskip(NEXT) | instid1(VALU_DEP_3)
	v_sub_co_u32 v3, vcc_lo, v3, v6
	v_sub_co_ci_u32_e32 v4, vcc_lo, v4, v6, vcc_lo
	flat_store_b64 v[1:2], v[3:4]
                                        ; implicit-def: $vgpr1_vgpr2
.LBB25_7596:
	s_and_not1_saveexec_b32 vcc_lo, s65
	s_cbranch_execz .LBB25_7598
; %bb.7597:
	v_cvt_i32_f32_e32 v3, v69
	flat_store_b32 v[1:2], v3
.LBB25_7598:
	s_or_b32 exec_lo, exec_lo, vcc_lo
                                        ; implicit-def: $vgpr69
                                        ; implicit-def: $vgpr1_vgpr2
.LBB25_7599:
	s_and_not1_saveexec_b32 vcc_lo, s64
	s_cbranch_execz .LBB25_7601
; %bb.7600:
	v_cvt_i32_f32_e32 v3, v69
	flat_store_b16 v[1:2], v3
.LBB25_7601:
	s_or_b32 exec_lo, exec_lo, vcc_lo
                                        ; implicit-def: $vgpr69
                                        ; implicit-def: $vgpr1_vgpr2
                                        ; implicit-def: $vgpr3
.LBB25_7602:
	s_and_not1_saveexec_b32 s63, s63
	s_cbranch_execz .LBB25_7608
; %bb.7603:
	v_cmp_lt_i16_e32 vcc_lo, 0, v3
	s_and_saveexec_b32 s64, vcc_lo
	s_delay_alu instid0(SALU_CYCLE_1)
	s_xor_b32 vcc_lo, exec_lo, s64
	s_cbranch_execz .LBB25_7605
; %bb.7604:
	v_cvt_i32_f32_e32 v3, v69
                                        ; implicit-def: $vgpr69
	flat_store_b8 v[1:2], v3
                                        ; implicit-def: $vgpr1_vgpr2
.LBB25_7605:
	s_and_not1_saveexec_b32 vcc_lo, vcc_lo
	s_cbranch_execz .LBB25_7607
; %bb.7606:
	v_trunc_f32_e32 v3, v69
	s_delay_alu instid0(VALU_DEP_1) | instskip(NEXT) | instid1(VALU_DEP_1)
	v_mul_f32_e64 v4, 0x2f800000, |v3|
	v_floor_f32_e32 v4, v4
	s_delay_alu instid0(VALU_DEP_1) | instskip(SKIP_1) | instid1(VALU_DEP_2)
	v_fma_f32 v4, 0xcf800000, v4, |v3|
	v_ashrrev_i32_e32 v3, 31, v3
	v_cvt_u32_f32_e32 v4, v4
	s_delay_alu instid0(VALU_DEP_1) | instskip(NEXT) | instid1(VALU_DEP_1)
	v_xor_b32_e32 v4, v4, v3
	v_sub_nc_u32_e32 v3, v4, v3
	flat_store_b8 v[1:2], v3
.LBB25_7607:
	s_or_b32 exec_lo, exec_lo, vcc_lo
.LBB25_7608:
	s_delay_alu instid0(SALU_CYCLE_1)
	s_or_b32 exec_lo, exec_lo, s63
.LBB25_7609:
	s_delay_alu instid0(SALU_CYCLE_1) | instskip(NEXT) | instid1(SALU_CYCLE_1)
	s_or_b32 exec_lo, exec_lo, s62
	s_or_b32 s0, s0, exec_lo
	s_or_b32 exec_lo, exec_lo, s59
	s_mov_b32 vcc_lo, 0
	s_and_saveexec_b32 s59, s0
	s_cbranch_execnz .LBB25_4029
	s_branch .LBB25_4030
.LBB25_7610:
	v_bfe_u32 v3, v84, 21, 1
	s_mov_b32 s55, exec_lo
	s_delay_alu instid0(VALU_DEP_1) | instskip(NEXT) | instid1(VALU_DEP_1)
	v_add3_u32 v3, v84, v3, 0x88fffff
	v_lshrrev_b32_e32 v3, 21, v3
	s_or_saveexec_b32 s56, vcc_lo
                                        ; implicit-def: $vcc_lo
	s_delay_alu instid0(SALU_CYCLE_1)
	s_xor_b32 exec_lo, exec_lo, s56
	s_cbranch_execz .LBB25_6775
.LBB25_7611:
	v_add_f32_e64 v3, 0x42800000, |v84|
	s_and_not1_b32 s55, s55, exec_lo
	s_delay_alu instid0(VALU_DEP_1) | instskip(NEXT) | instid1(VALU_DEP_1)
	v_and_b32_e32 v3, 0xff, v3
	v_cmp_ne_u32_e32 vcc_lo, 0, v3
	s_and_b32 s57, vcc_lo, exec_lo
	s_mov_b32 vcc_lo, 0
	s_or_b32 s55, s55, s57
	s_or_b32 exec_lo, exec_lo, s56
	v_mov_b32_e32 v4, vcc_lo
	s_and_saveexec_b32 vcc_lo, s55
	s_cbranch_execnz .LBB25_6776
	s_branch .LBB25_6777
.LBB25_7612:
	v_bfe_u32 v3, v83, 20, 1
	s_mov_b32 s56, exec_lo
	s_delay_alu instid0(VALU_DEP_1) | instskip(NEXT) | instid1(VALU_DEP_1)
	v_add3_u32 v3, v83, v3, 0x487ffff
	v_lshrrev_b32_e32 v3, 20, v3
	s_or_saveexec_b32 s57, vcc_lo
                                        ; implicit-def: $vcc_lo
	s_delay_alu instid0(SALU_CYCLE_1)
	s_xor_b32 exec_lo, exec_lo, s57
	s_cbranch_execz .LBB25_6888
.LBB25_7613:
	v_add_f32_e64 v3, 0x46000000, |v83|
	s_and_not1_b32 s56, s56, exec_lo
	s_delay_alu instid0(VALU_DEP_1) | instskip(NEXT) | instid1(VALU_DEP_1)
	v_and_b32_e32 v3, 0xff, v3
	v_cmp_ne_u32_e32 vcc_lo, 0, v3
	s_and_b32 s58, vcc_lo, exec_lo
	s_mov_b32 vcc_lo, 0
	s_or_b32 s56, s56, s58
	s_or_b32 exec_lo, exec_lo, s57
	v_mov_b32_e32 v4, vcc_lo
	s_and_saveexec_b32 vcc_lo, s56
	s_cbranch_execnz .LBB25_6889
	s_branch .LBB25_6890
.LBB25_7614:
	s_mov_b32 s63, s59
	s_mov_b32 s64, exec_lo
	v_cmpx_lt_i16_e32 25, v3
	s_xor_b32 s64, exec_lo, s64
	s_cbranch_execz .LBB25_7650
; %bb.7615:
	s_mov_b32 s65, s59
	s_mov_b32 s63, exec_lo
	v_cmpx_lt_i16_e32 28, v3
	s_xor_b32 s63, exec_lo, s63
	s_cbranch_execz .LBB25_7633
; %bb.7616:
	s_mov_b32 s67, s59
	s_mov_b32 s65, exec_lo
	v_cmpx_lt_i16_e32 43, v3
	s_xor_b32 s65, exec_lo, s65
	s_cbranch_execz .LBB25_7628
; %bb.7617:
	s_mov_b32 s66, 0
	s_mov_b32 s67, s59
	s_mov_b32 s0, exec_lo
	v_cmpx_lt_i16_e32 45, v3
	s_xor_b32 s0, exec_lo, s0
	s_cbranch_execz .LBB25_7621
; %bb.7618:
	s_mov_b32 s68, -1
	s_mov_b32 s67, exec_lo
	v_cmpx_eq_u16_e32 46, v3
	s_cbranch_execz .LBB25_7620
; %bb.7619:
	v_bfe_u32 v3, v68, 16, 1
	v_cmp_o_f32_e32 vcc_lo, v68, v68
	s_mov_b32 s66, exec_lo
	s_xor_b32 s68, exec_lo, -1
	s_delay_alu instid0(VALU_DEP_2) | instskip(NEXT) | instid1(VALU_DEP_1)
	v_add3_u32 v3, v68, v3, 0x7fff
	v_lshrrev_b32_e32 v3, 16, v3
	s_delay_alu instid0(VALU_DEP_1)
	v_cndmask_b32_e32 v3, 0x7fc0, v3, vcc_lo
	flat_store_b32 v[1:2], v3
.LBB25_7620:
	s_or_b32 exec_lo, exec_lo, s67
	s_delay_alu instid0(SALU_CYCLE_1)
	s_and_not1_b32 vcc_lo, s59, exec_lo
	s_and_b32 s67, s68, exec_lo
	s_and_b32 s66, s66, exec_lo
	s_or_b32 s67, vcc_lo, s67
                                        ; implicit-def: $vgpr3
                                        ; implicit-def: $vgpr1_vgpr2
                                        ; implicit-def: $vgpr68
.LBB25_7621:
	s_and_not1_saveexec_b32 s68, s0
	s_cbranch_execz .LBB25_7627
; %bb.7622:
	s_mov_b32 s70, -1
	s_mov_b32 s0, s66
	s_mov_b32 s69, exec_lo
	v_cmpx_eq_u16_e32 44, v3
	s_cbranch_execz .LBB25_7626
; %bb.7623:
	v_bfe_u32 v4, v68, 23, 8
	v_mov_b32_e32 v3, 0xff
	s_mov_b32 s70, exec_lo
	s_delay_alu instid0(VALU_DEP_2)
	v_cmpx_ne_u32_e32 0xff, v4
; %bb.7624:
	v_and_b32_e32 v3, 0x400000, v68
	v_and_or_b32 v4, 0x3fffff, v68, v4
	s_delay_alu instid0(VALU_DEP_2) | instskip(NEXT) | instid1(VALU_DEP_2)
	v_cmp_ne_u32_e32 vcc_lo, 0, v3
	v_cmp_ne_u32_e64 s0, 0, v4
	v_lshrrev_b32_e32 v3, 23, v68
	s_delay_alu instid0(VALU_DEP_2) | instskip(NEXT) | instid1(SALU_CYCLE_1)
	s_and_b32 s0, vcc_lo, s0
	v_cndmask_b32_e64 v4, 0, 1, s0
	s_delay_alu instid0(VALU_DEP_1)
	v_add_nc_u32_e32 v3, v3, v4
; %bb.7625:
	s_or_b32 exec_lo, exec_lo, s70
	s_delay_alu instid0(SALU_CYCLE_1)
	s_xor_b32 s70, exec_lo, -1
	s_or_b32 s0, s66, exec_lo
	flat_store_b8 v[1:2], v3
.LBB25_7626:
	s_or_b32 exec_lo, exec_lo, s69
	s_delay_alu instid0(SALU_CYCLE_1)
	s_and_not1_b32 vcc_lo, s67, exec_lo
	s_and_b32 s67, s70, exec_lo
	s_and_not1_b32 s66, s66, exec_lo
	s_and_b32 s0, s0, exec_lo
	s_or_b32 s67, vcc_lo, s67
	s_or_b32 s66, s66, s0
.LBB25_7627:
	s_or_b32 exec_lo, exec_lo, s68
	s_delay_alu instid0(SALU_CYCLE_1) | instskip(SKIP_1) | instid1(SALU_CYCLE_1)
	s_and_not1_b32 s0, s59, exec_lo
	s_and_b32 vcc_lo, s67, exec_lo
                                        ; implicit-def: $vgpr3
                                        ; implicit-def: $vgpr68
                                        ; implicit-def: $vgpr1_vgpr2
	s_or_b32 s67, s0, vcc_lo
	s_and_b32 s0, s66, exec_lo
.LBB25_7628:
	s_and_not1_saveexec_b32 s65, s65
	s_cbranch_execz .LBB25_7632
; %bb.7629:
	s_mov_b32 s69, -1
	s_mov_b32 s68, s0
	s_mov_b32 s66, exec_lo
	v_cmpx_eq_u16_e32 29, v3
	s_cbranch_execz .LBB25_7631
; %bb.7630:
	v_trunc_f32_e32 v3, v68
	s_xor_b32 s69, exec_lo, -1
	s_or_b32 s68, s0, exec_lo
	s_delay_alu instid0(VALU_DEP_1) | instskip(NEXT) | instid1(VALU_DEP_1)
	v_mul_f32_e32 v4, 0x2f800000, v3
	v_floor_f32_e32 v4, v4
	s_delay_alu instid0(VALU_DEP_1) | instskip(SKIP_1) | instid1(VALU_DEP_2)
	v_fmamk_f32 v3, v4, 0xcf800000, v3
	v_cvt_u32_f32_e32 v4, v4
	v_cvt_u32_f32_e32 v3, v3
	flat_store_b64 v[1:2], v[3:4]
.LBB25_7631:
	s_or_b32 exec_lo, exec_lo, s66
	s_delay_alu instid0(SALU_CYCLE_1)
	s_and_not1_b32 vcc_lo, s67, exec_lo
	s_and_b32 s66, s69, exec_lo
	s_and_not1_b32 s0, s0, exec_lo
	s_and_b32 s68, s68, exec_lo
	s_or_b32 s67, vcc_lo, s66
	s_or_b32 s0, s0, s68
.LBB25_7632:
	s_or_b32 exec_lo, exec_lo, s65
	s_delay_alu instid0(SALU_CYCLE_1)
	s_and_not1_b32 vcc_lo, s59, exec_lo
	s_and_b32 s65, s67, exec_lo
	s_and_b32 s0, s0, exec_lo
	s_or_b32 s65, vcc_lo, s65
                                        ; implicit-def: $vgpr1_vgpr2
                                        ; implicit-def: $vgpr3
                                        ; implicit-def: $vgpr68
.LBB25_7633:
	s_and_not1_saveexec_b32 s63, s63
	s_cbranch_execz .LBB25_7649
; %bb.7634:
	s_mov_b32 s66, exec_lo
	v_cmpx_lt_i16_e32 26, v3
	s_xor_b32 s66, exec_lo, s66
	s_cbranch_execz .LBB25_7640
; %bb.7635:
	v_cmp_lt_i16_e32 vcc_lo, 27, v3
	s_and_saveexec_b32 s67, vcc_lo
	s_delay_alu instid0(SALU_CYCLE_1)
	s_xor_b32 vcc_lo, exec_lo, s67
	s_cbranch_execz .LBB25_7637
; %bb.7636:
	v_cvt_u32_f32_e32 v3, v68
                                        ; implicit-def: $vgpr68
	flat_store_b32 v[1:2], v3
                                        ; implicit-def: $vgpr1_vgpr2
.LBB25_7637:
	s_and_not1_saveexec_b32 vcc_lo, vcc_lo
	s_cbranch_execz .LBB25_7639
; %bb.7638:
	v_cvt_u32_f32_e32 v3, v68
	flat_store_b16 v[1:2], v3
.LBB25_7639:
	s_or_b32 exec_lo, exec_lo, vcc_lo
                                        ; implicit-def: $vgpr1_vgpr2
                                        ; implicit-def: $vgpr68
.LBB25_7640:
	s_and_not1_saveexec_b32 s66, s66
	s_cbranch_execz .LBB25_7648
; %bb.7641:
	v_and_b32_e32 v3, 0x7fffffff, v68
	v_mov_b32_e32 v4, 0x80
	s_mov_b32 s67, exec_lo
	s_delay_alu instid0(VALU_DEP_2)
	v_cmpx_gt_u32_e32 0x43800000, v3
	s_cbranch_execz .LBB25_7647
; %bb.7642:
	v_cmp_lt_u32_e32 vcc_lo, 0x3bffffff, v3
	s_mov_b32 s68, 0
                                        ; implicit-def: $vgpr3
	s_and_saveexec_b32 s69, vcc_lo
	s_delay_alu instid0(SALU_CYCLE_1)
	s_xor_b32 vcc_lo, exec_lo, s69
	s_cbranch_execnz .LBB25_8002
; %bb.7643:
	s_or_saveexec_b32 s69, vcc_lo
                                        ; implicit-def: $vcc_lo
	s_delay_alu instid0(SALU_CYCLE_1)
	s_xor_b32 exec_lo, exec_lo, s69
	s_cbranch_execnz .LBB25_8003
.LBB25_7644:
	s_or_b32 exec_lo, exec_lo, s69
	v_mov_b32_e32 v4, vcc_lo
	s_and_saveexec_b32 vcc_lo, s68
.LBB25_7645:
	v_lshrrev_b32_e32 v4, 24, v68
	s_delay_alu instid0(VALU_DEP_1)
	v_and_or_b32 v4, 0x80, v4, v3
.LBB25_7646:
	s_or_b32 exec_lo, exec_lo, vcc_lo
.LBB25_7647:
	s_delay_alu instid0(SALU_CYCLE_1)
	s_or_b32 exec_lo, exec_lo, s67
	flat_store_b8 v[1:2], v4
.LBB25_7648:
	s_or_b32 exec_lo, exec_lo, s66
	s_delay_alu instid0(SALU_CYCLE_1)
	s_or_b32 s0, s0, exec_lo
.LBB25_7649:
	s_or_b32 exec_lo, exec_lo, s63
	s_delay_alu instid0(SALU_CYCLE_1)
	s_and_not1_b32 vcc_lo, s59, exec_lo
	s_and_b32 s63, s65, exec_lo
	s_and_b32 s0, s0, exec_lo
	s_or_b32 s63, vcc_lo, s63
                                        ; implicit-def: $vgpr3
                                        ; implicit-def: $vgpr68
                                        ; implicit-def: $vgpr1_vgpr2
.LBB25_7650:
	s_and_not1_saveexec_b32 s64, s64
	s_cbranch_execz .LBB25_7694
; %bb.7651:
	s_mov_b32 s66, s0
	s_mov_b32 s65, exec_lo
	v_cmpx_lt_i16_e32 22, v3
	s_xor_b32 s65, exec_lo, s65
	s_cbranch_execz .LBB25_7683
; %bb.7652:
	s_mov_b32 s66, exec_lo
	v_cmpx_lt_i16_e32 23, v3
	s_xor_b32 s66, exec_lo, s66
	s_cbranch_execz .LBB25_7672
; %bb.7653:
	;; [unrolled: 5-line block ×3, first 2 shown]
	v_and_b32_e32 v3, 0x7fffffff, v68
	v_mov_b32_e32 v4, 0x80
	s_mov_b32 s68, exec_lo
	s_delay_alu instid0(VALU_DEP_2)
	v_cmpx_gt_u32_e32 0x47800000, v3
	s_cbranch_execz .LBB25_7660
; %bb.7655:
	v_cmp_lt_u32_e32 vcc_lo, 0x37ffffff, v3
	s_mov_b32 s69, 0
                                        ; implicit-def: $vgpr3
	s_and_saveexec_b32 s70, vcc_lo
	s_delay_alu instid0(SALU_CYCLE_1)
	s_xor_b32 vcc_lo, exec_lo, s70
	s_cbranch_execnz .LBB25_8004
; %bb.7656:
	s_or_saveexec_b32 s70, vcc_lo
                                        ; implicit-def: $vcc_lo
	s_delay_alu instid0(SALU_CYCLE_1)
	s_xor_b32 exec_lo, exec_lo, s70
	s_cbranch_execnz .LBB25_8005
.LBB25_7657:
	s_or_b32 exec_lo, exec_lo, s70
	v_mov_b32_e32 v4, vcc_lo
	s_and_saveexec_b32 vcc_lo, s69
.LBB25_7658:
	v_lshrrev_b32_e32 v4, 24, v68
	s_delay_alu instid0(VALU_DEP_1)
	v_and_or_b32 v4, 0x80, v4, v3
.LBB25_7659:
	s_or_b32 exec_lo, exec_lo, vcc_lo
.LBB25_7660:
	s_delay_alu instid0(SALU_CYCLE_1)
	s_or_b32 exec_lo, exec_lo, s68
	flat_store_b8 v[1:2], v4
                                        ; implicit-def: $vgpr68
                                        ; implicit-def: $vgpr1_vgpr2
.LBB25_7661:
	s_and_not1_saveexec_b32 s67, s67
	s_cbranch_execz .LBB25_7671
; %bb.7662:
	v_and_b32_e32 v4, 0x7fffffff, v68
	s_mov_b32 s68, exec_lo
                                        ; implicit-def: $vgpr3
	s_delay_alu instid0(VALU_DEP_1)
	v_cmpx_gt_u32_e32 0x43f00000, v4
	s_xor_b32 s68, exec_lo, s68
	s_cbranch_execz .LBB25_7668
; %bb.7663:
	s_mov_b32 s69, exec_lo
                                        ; implicit-def: $vgpr3
	v_cmpx_lt_u32_e32 0x3c7fffff, v4
	s_xor_b32 s69, exec_lo, s69
; %bb.7664:
	v_bfe_u32 v3, v68, 20, 1
	s_delay_alu instid0(VALU_DEP_1) | instskip(NEXT) | instid1(VALU_DEP_1)
	v_add3_u32 v3, v68, v3, 0x407ffff
	v_and_b32_e32 v4, 0xff00000, v3
	v_lshrrev_b32_e32 v3, 20, v3
	s_delay_alu instid0(VALU_DEP_2) | instskip(NEXT) | instid1(VALU_DEP_2)
	v_cmp_ne_u32_e32 vcc_lo, 0x7f00000, v4
	v_cndmask_b32_e32 v3, 0x7e, v3, vcc_lo
; %bb.7665:
	s_and_not1_saveexec_b32 vcc_lo, s69
; %bb.7666:
	v_add_f32_e64 v3, 0x46800000, |v68|
; %bb.7667:
	s_or_b32 exec_lo, exec_lo, vcc_lo
                                        ; implicit-def: $vgpr4
.LBB25_7668:
	s_and_not1_saveexec_b32 s68, s68
; %bb.7669:
	v_mov_b32_e32 v3, 0x7f
	v_cmp_lt_u32_e32 vcc_lo, 0x7f800000, v4
	s_delay_alu instid0(VALU_DEP_2)
	v_cndmask_b32_e32 v3, 0x7e, v3, vcc_lo
; %bb.7670:
	s_or_b32 exec_lo, exec_lo, s68
	v_lshrrev_b32_e32 v4, 24, v68
	s_delay_alu instid0(VALU_DEP_1)
	v_and_or_b32 v3, 0x80, v4, v3
	flat_store_b8 v[1:2], v3
.LBB25_7671:
	s_or_b32 exec_lo, exec_lo, s67
                                        ; implicit-def: $vgpr68
                                        ; implicit-def: $vgpr1_vgpr2
.LBB25_7672:
	s_and_not1_saveexec_b32 s66, s66
	s_cbranch_execz .LBB25_7682
; %bb.7673:
	v_and_b32_e32 v4, 0x7fffffff, v68
	s_mov_b32 s67, exec_lo
                                        ; implicit-def: $vgpr3
	s_delay_alu instid0(VALU_DEP_1)
	v_cmpx_gt_u32_e32 0x47800000, v4
	s_xor_b32 s67, exec_lo, s67
	s_cbranch_execz .LBB25_7679
; %bb.7674:
	v_cmp_lt_u32_e32 vcc_lo, 0x387fffff, v4
                                        ; implicit-def: $vgpr3
	s_and_saveexec_b32 s68, vcc_lo
	s_delay_alu instid0(SALU_CYCLE_1)
	s_xor_b32 vcc_lo, exec_lo, s68
; %bb.7675:
	v_bfe_u32 v3, v68, 21, 1
	s_delay_alu instid0(VALU_DEP_1) | instskip(NEXT) | instid1(VALU_DEP_1)
	v_add3_u32 v3, v68, v3, 0x80fffff
	v_lshrrev_b32_e32 v3, 21, v3
; %bb.7676:
	s_and_not1_saveexec_b32 vcc_lo, vcc_lo
; %bb.7677:
	v_add_f32_e64 v3, 0x43000000, |v68|
; %bb.7678:
	s_or_b32 exec_lo, exec_lo, vcc_lo
                                        ; implicit-def: $vgpr4
.LBB25_7679:
	s_and_not1_saveexec_b32 s67, s67
; %bb.7680:
	v_mov_b32_e32 v3, 0x7f
	v_cmp_lt_u32_e32 vcc_lo, 0x7f800000, v4
	s_delay_alu instid0(VALU_DEP_2)
	v_cndmask_b32_e32 v3, 0x7c, v3, vcc_lo
; %bb.7681:
	s_or_b32 exec_lo, exec_lo, s67
	v_lshrrev_b32_e32 v4, 24, v68
	s_delay_alu instid0(VALU_DEP_1)
	v_and_or_b32 v3, 0x80, v4, v3
	flat_store_b8 v[1:2], v3
.LBB25_7682:
	s_or_b32 exec_lo, exec_lo, s66
	s_delay_alu instid0(SALU_CYCLE_1)
	s_or_b32 s66, s0, exec_lo
                                        ; implicit-def: $vgpr3
                                        ; implicit-def: $vgpr68
                                        ; implicit-def: $vgpr1_vgpr2
.LBB25_7683:
	s_or_saveexec_b32 s65, s65
	s_mov_b32 vcc_lo, s63
	s_xor_b32 exec_lo, exec_lo, s65
	s_cbranch_execz .LBB25_7693
; %bb.7684:
	s_mov_b32 s67, s66
	s_mov_b32 s68, s63
	s_mov_b32 s69, exec_lo
	v_cmpx_lt_i16_e32 14, v3
	s_xor_b32 s69, exec_lo, s69
	s_cbranch_execz .LBB25_7688
; %bb.7685:
	s_mov_b32 s70, -1
	s_mov_b32 s67, s66
	s_mov_b32 s68, exec_lo
	v_cmpx_eq_u16_e32 15, v3
	s_cbranch_execz .LBB25_7687
; %bb.7686:
	v_bfe_u32 v3, v68, 16, 1
	v_cmp_o_f32_e32 vcc_lo, v68, v68
	s_xor_b32 s70, exec_lo, -1
	s_or_b32 s67, s66, exec_lo
	s_delay_alu instid0(VALU_DEP_2) | instskip(NEXT) | instid1(VALU_DEP_1)
	v_add3_u32 v3, v68, v3, 0x7fff
	v_lshrrev_b32_e32 v3, 16, v3
	s_delay_alu instid0(VALU_DEP_1)
	v_cndmask_b32_e32 v3, 0x7fc0, v3, vcc_lo
	flat_store_b16 v[1:2], v3
.LBB25_7687:
	s_or_b32 exec_lo, exec_lo, s68
	s_delay_alu instid0(SALU_CYCLE_1)
	s_and_not1_b32 vcc_lo, s63, exec_lo
	s_and_b32 s68, s70, exec_lo
	s_and_not1_b32 s70, s66, exec_lo
	s_and_b32 s67, s67, exec_lo
	s_or_b32 s68, vcc_lo, s68
	s_or_b32 s67, s70, s67
                                        ; implicit-def: $vgpr3
                                        ; implicit-def: $vgpr68
                                        ; implicit-def: $vgpr1_vgpr2
.LBB25_7688:
	s_and_not1_saveexec_b32 s69, s69
	s_cbranch_execz .LBB25_7692
; %bb.7689:
	s_mov_b32 s71, -1
	s_mov_b32 s70, s67
	s_mov_b32 s72, exec_lo
	v_cmpx_eq_u16_e32 11, v3
	s_cbranch_execz .LBB25_7691
; %bb.7690:
	v_cmp_neq_f32_e32 vcc_lo, 0, v68
	s_xor_b32 s71, exec_lo, -1
	s_or_b32 s70, s67, exec_lo
	v_cndmask_b32_e64 v3, 0, 1, vcc_lo
	flat_store_b8 v[1:2], v3
.LBB25_7691:
	s_or_b32 exec_lo, exec_lo, s72
	s_delay_alu instid0(SALU_CYCLE_1)
	s_and_not1_b32 vcc_lo, s68, exec_lo
	s_and_b32 s68, s71, exec_lo
	s_and_not1_b32 s67, s67, exec_lo
	s_and_b32 s70, s70, exec_lo
	s_or_b32 s68, vcc_lo, s68
	s_or_b32 s67, s67, s70
.LBB25_7692:
	s_or_b32 exec_lo, exec_lo, s69
	s_delay_alu instid0(SALU_CYCLE_1)
	s_and_not1_b32 vcc_lo, s63, exec_lo
	s_and_b32 s68, s68, exec_lo
	s_and_not1_b32 s66, s66, exec_lo
	s_and_b32 s67, s67, exec_lo
	s_or_b32 vcc_lo, vcc_lo, s68
	s_or_b32 s66, s66, s67
.LBB25_7693:
	s_or_b32 exec_lo, exec_lo, s65
	s_delay_alu instid0(SALU_CYCLE_1)
	s_and_not1_b32 s63, s63, exec_lo
	s_and_b32 vcc_lo, vcc_lo, exec_lo
	s_and_not1_b32 s0, s0, exec_lo
	s_and_b32 s65, s66, exec_lo
	s_or_b32 s63, s63, vcc_lo
	s_or_b32 s0, s0, s65
.LBB25_7694:
	s_or_b32 exec_lo, exec_lo, s64
	s_delay_alu instid0(SALU_CYCLE_1)
	s_and_not1_b32 vcc_lo, s59, exec_lo
	s_and_b32 s63, s63, exec_lo
	s_and_b32 s0, s0, exec_lo
	s_or_b32 s63, vcc_lo, s63
                                        ; implicit-def: $vgpr3
                                        ; implicit-def: $vgpr68
                                        ; implicit-def: $vgpr1_vgpr2
	s_and_not1_saveexec_b32 s61, s61
	s_cbranch_execz .LBB25_4035
.LBB25_7695:
	s_mov_b32 s64, exec_lo
	v_cmpx_lt_i16_e32 4, v3
	s_xor_b32 s64, exec_lo, s64
	s_cbranch_execz .LBB25_7717
; %bb.7696:
	s_mov_b32 s65, exec_lo
	v_cmpx_lt_i16_e32 7, v3
	s_xor_b32 s65, exec_lo, s65
	s_cbranch_execz .LBB25_7706
; %bb.7697:
	s_mov_b32 s66, exec_lo
	v_cmpx_lt_i16_e32 8, v3
	s_xor_b32 s66, exec_lo, s66
	s_cbranch_execz .LBB25_7703
; %bb.7698:
	v_cmp_lt_i16_e32 vcc_lo, 9, v3
	s_and_saveexec_b32 s67, vcc_lo
	s_delay_alu instid0(SALU_CYCLE_1)
	s_xor_b32 vcc_lo, exec_lo, s67
	s_cbranch_execz .LBB25_7700
; %bb.7699:
	v_cvt_f64_f32_e32 v[3:4], v68
	v_mov_b32_e32 v5, 0
                                        ; implicit-def: $vgpr68
	s_delay_alu instid0(VALU_DEP_1)
	v_mov_b32_e32 v6, v5
	flat_store_b128 v[1:2], v[3:6]
                                        ; implicit-def: $vgpr1_vgpr2
.LBB25_7700:
	s_and_not1_saveexec_b32 vcc_lo, vcc_lo
	s_cbranch_execz .LBB25_7702
; %bb.7701:
	v_mov_b32_e32 v69, 0
	flat_store_b64 v[1:2], v[68:69]
.LBB25_7702:
	s_or_b32 exec_lo, exec_lo, vcc_lo
                                        ; implicit-def: $vgpr68
                                        ; implicit-def: $vgpr1_vgpr2
.LBB25_7703:
	s_and_not1_saveexec_b32 vcc_lo, s66
	s_cbranch_execz .LBB25_7705
; %bb.7704:
	v_cvt_f16_f32_e32 v3, v68
	s_delay_alu instid0(VALU_DEP_1)
	v_and_b32_e32 v3, 0xffff, v3
	flat_store_b32 v[1:2], v3
.LBB25_7705:
	s_or_b32 exec_lo, exec_lo, vcc_lo
                                        ; implicit-def: $vgpr68
                                        ; implicit-def: $vgpr1_vgpr2
                                        ; implicit-def: $vgpr3
.LBB25_7706:
	s_and_not1_saveexec_b32 s65, s65
	s_cbranch_execz .LBB25_7716
; %bb.7707:
	s_mov_b32 s66, exec_lo
	v_cmpx_lt_i16_e32 5, v3
	s_xor_b32 s66, exec_lo, s66
	s_cbranch_execz .LBB25_7713
; %bb.7708:
	v_cmp_lt_i16_e32 vcc_lo, 6, v3
	s_and_saveexec_b32 s67, vcc_lo
	s_delay_alu instid0(SALU_CYCLE_1)
	s_xor_b32 vcc_lo, exec_lo, s67
	s_cbranch_execz .LBB25_7710
; %bb.7709:
	v_cvt_f64_f32_e32 v[3:4], v68
                                        ; implicit-def: $vgpr68
	flat_store_b64 v[1:2], v[3:4]
                                        ; implicit-def: $vgpr1_vgpr2
.LBB25_7710:
	s_and_not1_saveexec_b32 vcc_lo, vcc_lo
	s_cbranch_execz .LBB25_7712
; %bb.7711:
	flat_store_b32 v[1:2], v68
.LBB25_7712:
	s_or_b32 exec_lo, exec_lo, vcc_lo
                                        ; implicit-def: $vgpr68
                                        ; implicit-def: $vgpr1_vgpr2
.LBB25_7713:
	s_and_not1_saveexec_b32 vcc_lo, s66
	s_cbranch_execz .LBB25_7715
; %bb.7714:
	v_cvt_f16_f32_e32 v3, v68
	flat_store_b16 v[1:2], v3
.LBB25_7715:
	s_or_b32 exec_lo, exec_lo, vcc_lo
.LBB25_7716:
	s_delay_alu instid0(SALU_CYCLE_1)
	s_or_b32 exec_lo, exec_lo, s65
                                        ; implicit-def: $vgpr3
                                        ; implicit-def: $vgpr68
                                        ; implicit-def: $vgpr1_vgpr2
.LBB25_7717:
	s_and_not1_saveexec_b32 s64, s64
	s_cbranch_execz .LBB25_7735
; %bb.7718:
	s_mov_b32 s65, exec_lo
	v_cmpx_lt_i16_e32 1, v3
	s_xor_b32 s65, exec_lo, s65
	s_cbranch_execz .LBB25_7728
; %bb.7719:
	s_mov_b32 s66, exec_lo
	v_cmpx_lt_i16_e32 2, v3
	s_xor_b32 s66, exec_lo, s66
	s_cbranch_execz .LBB25_7725
; %bb.7720:
	s_mov_b32 s67, exec_lo
	v_cmpx_lt_i16_e32 3, v3
	s_xor_b32 s67, exec_lo, s67
	s_cbranch_execz .LBB25_7722
; %bb.7721:
	v_trunc_f32_e32 v3, v68
                                        ; implicit-def: $vgpr68
	s_delay_alu instid0(VALU_DEP_1) | instskip(SKIP_1) | instid1(VALU_DEP_2)
	v_mul_f32_e64 v4, 0x2f800000, |v3|
	v_ashrrev_i32_e32 v6, 31, v3
	v_floor_f32_e32 v4, v4
	s_delay_alu instid0(VALU_DEP_1) | instskip(SKIP_1) | instid1(VALU_DEP_2)
	v_fma_f32 v5, 0xcf800000, v4, |v3|
	v_cvt_u32_f32_e32 v4, v4
	v_cvt_u32_f32_e32 v3, v5
	s_delay_alu instid0(VALU_DEP_2) | instskip(NEXT) | instid1(VALU_DEP_2)
	v_xor_b32_e32 v4, v4, v6
	v_xor_b32_e32 v3, v3, v6
	s_delay_alu instid0(VALU_DEP_1) | instskip(NEXT) | instid1(VALU_DEP_3)
	v_sub_co_u32 v3, vcc_lo, v3, v6
	v_sub_co_ci_u32_e32 v4, vcc_lo, v4, v6, vcc_lo
	flat_store_b64 v[1:2], v[3:4]
                                        ; implicit-def: $vgpr1_vgpr2
.LBB25_7722:
	s_and_not1_saveexec_b32 vcc_lo, s67
	s_cbranch_execz .LBB25_7724
; %bb.7723:
	v_cvt_i32_f32_e32 v3, v68
	flat_store_b32 v[1:2], v3
.LBB25_7724:
	s_or_b32 exec_lo, exec_lo, vcc_lo
                                        ; implicit-def: $vgpr68
                                        ; implicit-def: $vgpr1_vgpr2
.LBB25_7725:
	s_and_not1_saveexec_b32 vcc_lo, s66
	s_cbranch_execz .LBB25_7727
; %bb.7726:
	v_cvt_i32_f32_e32 v3, v68
	flat_store_b16 v[1:2], v3
.LBB25_7727:
	s_or_b32 exec_lo, exec_lo, vcc_lo
                                        ; implicit-def: $vgpr68
                                        ; implicit-def: $vgpr1_vgpr2
                                        ; implicit-def: $vgpr3
.LBB25_7728:
	s_and_not1_saveexec_b32 s65, s65
	s_cbranch_execz .LBB25_7734
; %bb.7729:
	v_cmp_lt_i16_e32 vcc_lo, 0, v3
	s_and_saveexec_b32 s66, vcc_lo
	s_delay_alu instid0(SALU_CYCLE_1)
	s_xor_b32 vcc_lo, exec_lo, s66
	s_cbranch_execz .LBB25_7731
; %bb.7730:
	v_cvt_i32_f32_e32 v3, v68
                                        ; implicit-def: $vgpr68
	flat_store_b8 v[1:2], v3
                                        ; implicit-def: $vgpr1_vgpr2
.LBB25_7731:
	s_and_not1_saveexec_b32 vcc_lo, vcc_lo
	s_cbranch_execz .LBB25_7733
; %bb.7732:
	v_trunc_f32_e32 v3, v68
	s_delay_alu instid0(VALU_DEP_1) | instskip(NEXT) | instid1(VALU_DEP_1)
	v_mul_f32_e64 v4, 0x2f800000, |v3|
	v_floor_f32_e32 v4, v4
	s_delay_alu instid0(VALU_DEP_1) | instskip(SKIP_1) | instid1(VALU_DEP_2)
	v_fma_f32 v4, 0xcf800000, v4, |v3|
	v_ashrrev_i32_e32 v3, 31, v3
	v_cvt_u32_f32_e32 v4, v4
	s_delay_alu instid0(VALU_DEP_1) | instskip(NEXT) | instid1(VALU_DEP_1)
	v_xor_b32_e32 v4, v4, v3
	v_sub_nc_u32_e32 v3, v4, v3
	flat_store_b8 v[1:2], v3
.LBB25_7733:
	s_or_b32 exec_lo, exec_lo, vcc_lo
.LBB25_7734:
	s_delay_alu instid0(SALU_CYCLE_1)
	s_or_b32 exec_lo, exec_lo, s65
.LBB25_7735:
	s_delay_alu instid0(SALU_CYCLE_1) | instskip(NEXT) | instid1(SALU_CYCLE_1)
	s_or_b32 exec_lo, exec_lo, s64
	s_or_b32 s0, s0, exec_lo
	s_or_b32 exec_lo, exec_lo, s61
	s_mov_b32 vcc_lo, 0
	s_and_saveexec_b32 s61, s0
	s_cbranch_execnz .LBB25_4036
	s_branch .LBB25_4037
.LBB25_7736:
	v_bfe_u32 v3, v83, 21, 1
	s_mov_b32 s57, exec_lo
	s_delay_alu instid0(VALU_DEP_1) | instskip(NEXT) | instid1(VALU_DEP_1)
	v_add3_u32 v3, v83, v3, 0x88fffff
	v_lshrrev_b32_e32 v3, 21, v3
	s_or_saveexec_b32 s58, vcc_lo
                                        ; implicit-def: $vcc_lo
	s_delay_alu instid0(SALU_CYCLE_1)
	s_xor_b32 exec_lo, exec_lo, s58
	s_cbranch_execz .LBB25_6901
.LBB25_7737:
	v_add_f32_e64 v3, 0x42800000, |v83|
	s_and_not1_b32 s57, s57, exec_lo
	s_delay_alu instid0(VALU_DEP_1) | instskip(NEXT) | instid1(VALU_DEP_1)
	v_and_b32_e32 v3, 0xff, v3
	v_cmp_ne_u32_e32 vcc_lo, 0, v3
	s_and_b32 s59, vcc_lo, exec_lo
	s_mov_b32 vcc_lo, 0
	s_or_b32 s57, s57, s59
	s_or_b32 exec_lo, exec_lo, s58
	v_mov_b32_e32 v4, vcc_lo
	s_and_saveexec_b32 vcc_lo, s57
	s_cbranch_execnz .LBB25_6902
	s_branch .LBB25_6903
.LBB25_7738:
	v_bfe_u32 v3, v82, 20, 1
	s_mov_b32 s58, exec_lo
	s_delay_alu instid0(VALU_DEP_1) | instskip(NEXT) | instid1(VALU_DEP_1)
	v_add3_u32 v3, v82, v3, 0x487ffff
	v_lshrrev_b32_e32 v3, 20, v3
	s_or_saveexec_b32 s59, vcc_lo
                                        ; implicit-def: $vcc_lo
	s_delay_alu instid0(SALU_CYCLE_1)
	s_xor_b32 exec_lo, exec_lo, s59
	s_cbranch_execz .LBB25_7014
.LBB25_7739:
	v_add_f32_e64 v3, 0x46000000, |v82|
	s_and_not1_b32 s58, s58, exec_lo
	s_delay_alu instid0(VALU_DEP_1) | instskip(NEXT) | instid1(VALU_DEP_1)
	v_and_b32_e32 v3, 0xff, v3
	v_cmp_ne_u32_e32 vcc_lo, 0, v3
	s_and_b32 s60, vcc_lo, exec_lo
	s_mov_b32 vcc_lo, 0
	s_or_b32 s58, s58, s60
	s_or_b32 exec_lo, exec_lo, s59
	v_mov_b32_e32 v4, vcc_lo
	s_and_saveexec_b32 vcc_lo, s58
	s_cbranch_execnz .LBB25_7015
	s_branch .LBB25_7016
.LBB25_7740:
	s_mov_b32 s65, s61
	s_mov_b32 s66, exec_lo
	v_cmpx_lt_i16_e32 25, v3
	s_xor_b32 s66, exec_lo, s66
	s_cbranch_execz .LBB25_7776
; %bb.7741:
	s_mov_b32 s67, s61
	s_mov_b32 s65, exec_lo
	v_cmpx_lt_i16_e32 28, v3
	s_xor_b32 s65, exec_lo, s65
	s_cbranch_execz .LBB25_7759
; %bb.7742:
	s_mov_b32 s69, s61
	s_mov_b32 s67, exec_lo
	v_cmpx_lt_i16_e32 43, v3
	s_xor_b32 s67, exec_lo, s67
	s_cbranch_execz .LBB25_7754
; %bb.7743:
	s_mov_b32 s68, 0
	s_mov_b32 s69, s61
	s_mov_b32 s0, exec_lo
	v_cmpx_lt_i16_e32 45, v3
	s_xor_b32 s0, exec_lo, s0
	s_cbranch_execz .LBB25_7747
; %bb.7744:
	s_mov_b32 s70, -1
	s_mov_b32 s69, exec_lo
	v_cmpx_eq_u16_e32 46, v3
	s_cbranch_execz .LBB25_7746
; %bb.7745:
	v_bfe_u32 v3, v67, 16, 1
	v_cmp_o_f32_e32 vcc_lo, v67, v67
	s_mov_b32 s68, exec_lo
	s_xor_b32 s70, exec_lo, -1
	s_delay_alu instid0(VALU_DEP_2) | instskip(NEXT) | instid1(VALU_DEP_1)
	v_add3_u32 v3, v67, v3, 0x7fff
	v_lshrrev_b32_e32 v3, 16, v3
	s_delay_alu instid0(VALU_DEP_1)
	v_cndmask_b32_e32 v3, 0x7fc0, v3, vcc_lo
	flat_store_b32 v[1:2], v3
.LBB25_7746:
	s_or_b32 exec_lo, exec_lo, s69
	s_delay_alu instid0(SALU_CYCLE_1)
	s_and_not1_b32 vcc_lo, s61, exec_lo
	s_and_b32 s69, s70, exec_lo
	s_and_b32 s68, s68, exec_lo
	s_or_b32 s69, vcc_lo, s69
                                        ; implicit-def: $vgpr3
                                        ; implicit-def: $vgpr1_vgpr2
                                        ; implicit-def: $vgpr67
.LBB25_7747:
	s_and_not1_saveexec_b32 s70, s0
	s_cbranch_execz .LBB25_7753
; %bb.7748:
	s_mov_b32 s72, -1
	s_mov_b32 s0, s68
	s_mov_b32 s71, exec_lo
	v_cmpx_eq_u16_e32 44, v3
	s_cbranch_execz .LBB25_7752
; %bb.7749:
	v_bfe_u32 v4, v67, 23, 8
	v_mov_b32_e32 v3, 0xff
	s_mov_b32 s72, exec_lo
	s_delay_alu instid0(VALU_DEP_2)
	v_cmpx_ne_u32_e32 0xff, v4
; %bb.7750:
	v_and_b32_e32 v3, 0x400000, v67
	v_and_or_b32 v4, 0x3fffff, v67, v4
	s_delay_alu instid0(VALU_DEP_2) | instskip(NEXT) | instid1(VALU_DEP_2)
	v_cmp_ne_u32_e32 vcc_lo, 0, v3
	v_cmp_ne_u32_e64 s0, 0, v4
	v_lshrrev_b32_e32 v3, 23, v67
	s_delay_alu instid0(VALU_DEP_2) | instskip(NEXT) | instid1(SALU_CYCLE_1)
	s_and_b32 s0, vcc_lo, s0
	v_cndmask_b32_e64 v4, 0, 1, s0
	s_delay_alu instid0(VALU_DEP_1)
	v_add_nc_u32_e32 v3, v3, v4
; %bb.7751:
	s_or_b32 exec_lo, exec_lo, s72
	s_delay_alu instid0(SALU_CYCLE_1)
	s_xor_b32 s72, exec_lo, -1
	s_or_b32 s0, s68, exec_lo
	flat_store_b8 v[1:2], v3
.LBB25_7752:
	s_or_b32 exec_lo, exec_lo, s71
	s_delay_alu instid0(SALU_CYCLE_1)
	s_and_not1_b32 vcc_lo, s69, exec_lo
	s_and_b32 s69, s72, exec_lo
	s_and_not1_b32 s68, s68, exec_lo
	s_and_b32 s0, s0, exec_lo
	s_or_b32 s69, vcc_lo, s69
	s_or_b32 s68, s68, s0
.LBB25_7753:
	s_or_b32 exec_lo, exec_lo, s70
	s_delay_alu instid0(SALU_CYCLE_1) | instskip(SKIP_1) | instid1(SALU_CYCLE_1)
	s_and_not1_b32 s0, s61, exec_lo
	s_and_b32 vcc_lo, s69, exec_lo
                                        ; implicit-def: $vgpr3
                                        ; implicit-def: $vgpr67
                                        ; implicit-def: $vgpr1_vgpr2
	s_or_b32 s69, s0, vcc_lo
	s_and_b32 s0, s68, exec_lo
.LBB25_7754:
	s_and_not1_saveexec_b32 s67, s67
	s_cbranch_execz .LBB25_7758
; %bb.7755:
	s_mov_b32 s71, -1
	s_mov_b32 s70, s0
	s_mov_b32 s68, exec_lo
	v_cmpx_eq_u16_e32 29, v3
	s_cbranch_execz .LBB25_7757
; %bb.7756:
	v_trunc_f32_e32 v3, v67
	s_xor_b32 s71, exec_lo, -1
	s_or_b32 s70, s0, exec_lo
	s_delay_alu instid0(VALU_DEP_1) | instskip(NEXT) | instid1(VALU_DEP_1)
	v_mul_f32_e32 v4, 0x2f800000, v3
	v_floor_f32_e32 v4, v4
	s_delay_alu instid0(VALU_DEP_1) | instskip(SKIP_1) | instid1(VALU_DEP_2)
	v_fmamk_f32 v3, v4, 0xcf800000, v3
	v_cvt_u32_f32_e32 v4, v4
	v_cvt_u32_f32_e32 v3, v3
	flat_store_b64 v[1:2], v[3:4]
.LBB25_7757:
	s_or_b32 exec_lo, exec_lo, s68
	s_delay_alu instid0(SALU_CYCLE_1)
	s_and_not1_b32 vcc_lo, s69, exec_lo
	s_and_b32 s68, s71, exec_lo
	s_and_not1_b32 s0, s0, exec_lo
	s_and_b32 s70, s70, exec_lo
	s_or_b32 s69, vcc_lo, s68
	s_or_b32 s0, s0, s70
.LBB25_7758:
	s_or_b32 exec_lo, exec_lo, s67
	s_delay_alu instid0(SALU_CYCLE_1)
	s_and_not1_b32 vcc_lo, s61, exec_lo
	s_and_b32 s67, s69, exec_lo
	s_and_b32 s0, s0, exec_lo
	s_or_b32 s67, vcc_lo, s67
                                        ; implicit-def: $vgpr1_vgpr2
                                        ; implicit-def: $vgpr3
                                        ; implicit-def: $vgpr67
.LBB25_7759:
	s_and_not1_saveexec_b32 s65, s65
	s_cbranch_execz .LBB25_7775
; %bb.7760:
	s_mov_b32 s68, exec_lo
	v_cmpx_lt_i16_e32 26, v3
	s_xor_b32 s68, exec_lo, s68
	s_cbranch_execz .LBB25_7766
; %bb.7761:
	v_cmp_lt_i16_e32 vcc_lo, 27, v3
	v_cvt_u32_f32_e32 v3, v67
	s_and_saveexec_b32 s69, vcc_lo
	s_delay_alu instid0(SALU_CYCLE_1)
	s_xor_b32 vcc_lo, exec_lo, s69
	s_cbranch_execz .LBB25_7763
; %bb.7762:
	flat_store_b32 v[1:2], v3
                                        ; implicit-def: $vgpr1_vgpr2
                                        ; implicit-def: $vgpr3
.LBB25_7763:
	s_and_not1_saveexec_b32 vcc_lo, vcc_lo
	s_cbranch_execz .LBB25_7765
; %bb.7764:
	flat_store_b16 v[1:2], v3
.LBB25_7765:
	s_or_b32 exec_lo, exec_lo, vcc_lo
                                        ; implicit-def: $vgpr1_vgpr2
                                        ; implicit-def: $vgpr67
.LBB25_7766:
	s_and_not1_saveexec_b32 s68, s68
	s_cbranch_execz .LBB25_7774
; %bb.7767:
	v_and_b32_e32 v3, 0x7fffffff, v67
	v_mov_b32_e32 v4, 0x80
	s_mov_b32 s69, exec_lo
	s_delay_alu instid0(VALU_DEP_2)
	v_cmpx_gt_u32_e32 0x43800000, v3
	s_cbranch_execz .LBB25_7773
; %bb.7768:
	v_cmp_lt_u32_e32 vcc_lo, 0x3bffffff, v3
	s_mov_b32 s70, 0
                                        ; implicit-def: $vgpr3
	s_and_saveexec_b32 s71, vcc_lo
	s_delay_alu instid0(SALU_CYCLE_1)
	s_xor_b32 vcc_lo, exec_lo, s71
	s_cbranch_execnz .LBB25_8006
; %bb.7769:
	s_or_saveexec_b32 s71, vcc_lo
                                        ; implicit-def: $vcc_lo
	s_delay_alu instid0(SALU_CYCLE_1)
	s_xor_b32 exec_lo, exec_lo, s71
	s_cbranch_execnz .LBB25_8007
.LBB25_7770:
	s_or_b32 exec_lo, exec_lo, s71
	v_mov_b32_e32 v4, vcc_lo
	s_and_saveexec_b32 vcc_lo, s70
.LBB25_7771:
	v_lshrrev_b32_e32 v4, 24, v67
	s_delay_alu instid0(VALU_DEP_1)
	v_and_or_b32 v4, 0x80, v4, v3
.LBB25_7772:
	s_or_b32 exec_lo, exec_lo, vcc_lo
.LBB25_7773:
	s_delay_alu instid0(SALU_CYCLE_1)
	s_or_b32 exec_lo, exec_lo, s69
	flat_store_b8 v[1:2], v4
.LBB25_7774:
	s_or_b32 exec_lo, exec_lo, s68
	s_delay_alu instid0(SALU_CYCLE_1)
	s_or_b32 s0, s0, exec_lo
.LBB25_7775:
	s_or_b32 exec_lo, exec_lo, s65
	s_delay_alu instid0(SALU_CYCLE_1)
	s_and_not1_b32 vcc_lo, s61, exec_lo
	s_and_b32 s65, s67, exec_lo
	s_and_b32 s0, s0, exec_lo
	s_or_b32 s65, vcc_lo, s65
                                        ; implicit-def: $vgpr3
                                        ; implicit-def: $vgpr67
                                        ; implicit-def: $vgpr1_vgpr2
.LBB25_7776:
	s_and_not1_saveexec_b32 s66, s66
	s_cbranch_execz .LBB25_7820
; %bb.7777:
	s_mov_b32 s68, s0
	s_mov_b32 s67, exec_lo
	v_cmpx_lt_i16_e32 22, v3
	s_xor_b32 s67, exec_lo, s67
	s_cbranch_execz .LBB25_7809
; %bb.7778:
	s_mov_b32 s68, exec_lo
	v_cmpx_lt_i16_e32 23, v3
	s_xor_b32 s68, exec_lo, s68
	s_cbranch_execz .LBB25_7798
; %bb.7779:
	;; [unrolled: 5-line block ×3, first 2 shown]
	v_and_b32_e32 v3, 0x7fffffff, v67
	v_mov_b32_e32 v4, 0x80
	s_mov_b32 s70, exec_lo
	s_delay_alu instid0(VALU_DEP_2)
	v_cmpx_gt_u32_e32 0x47800000, v3
	s_cbranch_execz .LBB25_7786
; %bb.7781:
	v_cmp_lt_u32_e32 vcc_lo, 0x37ffffff, v3
	s_mov_b32 s71, 0
                                        ; implicit-def: $vgpr3
	s_and_saveexec_b32 s72, vcc_lo
	s_delay_alu instid0(SALU_CYCLE_1)
	s_xor_b32 vcc_lo, exec_lo, s72
	s_cbranch_execnz .LBB25_8008
; %bb.7782:
	s_or_saveexec_b32 s72, vcc_lo
                                        ; implicit-def: $vcc_lo
	s_delay_alu instid0(SALU_CYCLE_1)
	s_xor_b32 exec_lo, exec_lo, s72
	s_cbranch_execnz .LBB25_8009
.LBB25_7783:
	s_or_b32 exec_lo, exec_lo, s72
	v_mov_b32_e32 v4, vcc_lo
	s_and_saveexec_b32 vcc_lo, s71
.LBB25_7784:
	v_lshrrev_b32_e32 v4, 24, v67
	s_delay_alu instid0(VALU_DEP_1)
	v_and_or_b32 v4, 0x80, v4, v3
.LBB25_7785:
	s_or_b32 exec_lo, exec_lo, vcc_lo
.LBB25_7786:
	s_delay_alu instid0(SALU_CYCLE_1)
	s_or_b32 exec_lo, exec_lo, s70
	flat_store_b8 v[1:2], v4
                                        ; implicit-def: $vgpr67
                                        ; implicit-def: $vgpr1_vgpr2
.LBB25_7787:
	s_and_not1_saveexec_b32 s69, s69
	s_cbranch_execz .LBB25_7797
; %bb.7788:
	v_and_b32_e32 v4, 0x7fffffff, v67
	s_mov_b32 s70, exec_lo
                                        ; implicit-def: $vgpr3
	s_delay_alu instid0(VALU_DEP_1)
	v_cmpx_gt_u32_e32 0x43f00000, v4
	s_xor_b32 s70, exec_lo, s70
	s_cbranch_execz .LBB25_7794
; %bb.7789:
	s_mov_b32 s71, exec_lo
                                        ; implicit-def: $vgpr3
	v_cmpx_lt_u32_e32 0x3c7fffff, v4
	s_xor_b32 s71, exec_lo, s71
; %bb.7790:
	v_bfe_u32 v3, v67, 20, 1
	s_delay_alu instid0(VALU_DEP_1) | instskip(NEXT) | instid1(VALU_DEP_1)
	v_add3_u32 v3, v67, v3, 0x407ffff
	v_and_b32_e32 v4, 0xff00000, v3
	v_lshrrev_b32_e32 v3, 20, v3
	s_delay_alu instid0(VALU_DEP_2) | instskip(NEXT) | instid1(VALU_DEP_2)
	v_cmp_ne_u32_e32 vcc_lo, 0x7f00000, v4
	v_cndmask_b32_e32 v3, 0x7e, v3, vcc_lo
; %bb.7791:
	s_and_not1_saveexec_b32 vcc_lo, s71
; %bb.7792:
	v_add_f32_e64 v3, 0x46800000, |v67|
; %bb.7793:
	s_or_b32 exec_lo, exec_lo, vcc_lo
                                        ; implicit-def: $vgpr4
.LBB25_7794:
	s_and_not1_saveexec_b32 s70, s70
; %bb.7795:
	v_mov_b32_e32 v3, 0x7f
	v_cmp_lt_u32_e32 vcc_lo, 0x7f800000, v4
	s_delay_alu instid0(VALU_DEP_2)
	v_cndmask_b32_e32 v3, 0x7e, v3, vcc_lo
; %bb.7796:
	s_or_b32 exec_lo, exec_lo, s70
	v_lshrrev_b32_e32 v4, 24, v67
	s_delay_alu instid0(VALU_DEP_1)
	v_and_or_b32 v3, 0x80, v4, v3
	flat_store_b8 v[1:2], v3
.LBB25_7797:
	s_or_b32 exec_lo, exec_lo, s69
                                        ; implicit-def: $vgpr67
                                        ; implicit-def: $vgpr1_vgpr2
.LBB25_7798:
	s_and_not1_saveexec_b32 s68, s68
	s_cbranch_execz .LBB25_7808
; %bb.7799:
	v_and_b32_e32 v4, 0x7fffffff, v67
	s_mov_b32 s69, exec_lo
                                        ; implicit-def: $vgpr3
	s_delay_alu instid0(VALU_DEP_1)
	v_cmpx_gt_u32_e32 0x47800000, v4
	s_xor_b32 s69, exec_lo, s69
	s_cbranch_execz .LBB25_7805
; %bb.7800:
	v_cmp_lt_u32_e32 vcc_lo, 0x387fffff, v4
                                        ; implicit-def: $vgpr3
	s_and_saveexec_b32 s70, vcc_lo
	s_delay_alu instid0(SALU_CYCLE_1)
	s_xor_b32 vcc_lo, exec_lo, s70
; %bb.7801:
	v_bfe_u32 v3, v67, 21, 1
	s_delay_alu instid0(VALU_DEP_1) | instskip(NEXT) | instid1(VALU_DEP_1)
	v_add3_u32 v3, v67, v3, 0x80fffff
	v_lshrrev_b32_e32 v3, 21, v3
; %bb.7802:
	s_and_not1_saveexec_b32 vcc_lo, vcc_lo
; %bb.7803:
	v_add_f32_e64 v3, 0x43000000, |v67|
; %bb.7804:
	s_or_b32 exec_lo, exec_lo, vcc_lo
                                        ; implicit-def: $vgpr4
.LBB25_7805:
	s_and_not1_saveexec_b32 s69, s69
; %bb.7806:
	v_mov_b32_e32 v3, 0x7f
	v_cmp_lt_u32_e32 vcc_lo, 0x7f800000, v4
	s_delay_alu instid0(VALU_DEP_2)
	v_cndmask_b32_e32 v3, 0x7c, v3, vcc_lo
; %bb.7807:
	s_or_b32 exec_lo, exec_lo, s69
	v_lshrrev_b32_e32 v4, 24, v67
	s_delay_alu instid0(VALU_DEP_1)
	v_and_or_b32 v3, 0x80, v4, v3
	flat_store_b8 v[1:2], v3
.LBB25_7808:
	s_or_b32 exec_lo, exec_lo, s68
	s_delay_alu instid0(SALU_CYCLE_1)
	s_or_b32 s68, s0, exec_lo
                                        ; implicit-def: $vgpr3
                                        ; implicit-def: $vgpr67
                                        ; implicit-def: $vgpr1_vgpr2
.LBB25_7809:
	s_or_saveexec_b32 s67, s67
	s_mov_b32 vcc_lo, s65
	s_xor_b32 exec_lo, exec_lo, s67
	s_cbranch_execz .LBB25_7819
; %bb.7810:
	s_mov_b32 s69, s68
	s_mov_b32 s70, s65
	s_mov_b32 s71, exec_lo
	v_cmpx_lt_i16_e32 14, v3
	s_xor_b32 s71, exec_lo, s71
	s_cbranch_execz .LBB25_7814
; %bb.7811:
	s_mov_b32 s72, -1
	s_mov_b32 s69, s68
	s_mov_b32 s70, exec_lo
	v_cmpx_eq_u16_e32 15, v3
	s_cbranch_execz .LBB25_7813
; %bb.7812:
	v_bfe_u32 v3, v67, 16, 1
	v_cmp_o_f32_e32 vcc_lo, v67, v67
	s_xor_b32 s72, exec_lo, -1
	s_or_b32 s69, s68, exec_lo
	s_delay_alu instid0(VALU_DEP_2) | instskip(NEXT) | instid1(VALU_DEP_1)
	v_add3_u32 v3, v67, v3, 0x7fff
	v_lshrrev_b32_e32 v3, 16, v3
	s_delay_alu instid0(VALU_DEP_1)
	v_cndmask_b32_e32 v3, 0x7fc0, v3, vcc_lo
	flat_store_b16 v[1:2], v3
.LBB25_7813:
	s_or_b32 exec_lo, exec_lo, s70
	s_delay_alu instid0(SALU_CYCLE_1)
	s_and_not1_b32 vcc_lo, s65, exec_lo
	s_and_b32 s70, s72, exec_lo
	s_and_not1_b32 s72, s68, exec_lo
	s_and_b32 s69, s69, exec_lo
	s_or_b32 s70, vcc_lo, s70
	s_or_b32 s69, s72, s69
                                        ; implicit-def: $vgpr3
                                        ; implicit-def: $vgpr67
                                        ; implicit-def: $vgpr1_vgpr2
.LBB25_7814:
	s_and_not1_saveexec_b32 s71, s71
	s_cbranch_execz .LBB25_7818
; %bb.7815:
	s_mov_b32 s73, -1
	s_mov_b32 s72, s69
	s_mov_b32 s74, exec_lo
	v_cmpx_eq_u16_e32 11, v3
	s_cbranch_execz .LBB25_7817
; %bb.7816:
	v_cmp_neq_f32_e32 vcc_lo, 0, v67
	s_xor_b32 s73, exec_lo, -1
	s_or_b32 s72, s69, exec_lo
	v_cndmask_b32_e64 v3, 0, 1, vcc_lo
	flat_store_b8 v[1:2], v3
.LBB25_7817:
	s_or_b32 exec_lo, exec_lo, s74
	s_delay_alu instid0(SALU_CYCLE_1)
	s_and_not1_b32 vcc_lo, s70, exec_lo
	s_and_b32 s70, s73, exec_lo
	s_and_not1_b32 s69, s69, exec_lo
	s_and_b32 s72, s72, exec_lo
	s_or_b32 s70, vcc_lo, s70
	s_or_b32 s69, s69, s72
.LBB25_7818:
	s_or_b32 exec_lo, exec_lo, s71
	s_delay_alu instid0(SALU_CYCLE_1)
	s_and_not1_b32 vcc_lo, s65, exec_lo
	s_and_b32 s70, s70, exec_lo
	s_and_not1_b32 s68, s68, exec_lo
	s_and_b32 s69, s69, exec_lo
	s_or_b32 vcc_lo, vcc_lo, s70
	s_or_b32 s68, s68, s69
.LBB25_7819:
	s_or_b32 exec_lo, exec_lo, s67
	s_delay_alu instid0(SALU_CYCLE_1)
	s_and_not1_b32 s65, s65, exec_lo
	s_and_b32 vcc_lo, vcc_lo, exec_lo
	s_and_not1_b32 s0, s0, exec_lo
	s_and_b32 s67, s68, exec_lo
	s_or_b32 s65, s65, vcc_lo
	s_or_b32 s0, s0, s67
.LBB25_7820:
	s_or_b32 exec_lo, exec_lo, s66
	s_delay_alu instid0(SALU_CYCLE_1)
	s_and_not1_b32 vcc_lo, s61, exec_lo
	s_and_b32 s65, s65, exec_lo
	s_and_b32 s0, s0, exec_lo
	s_or_b32 s65, vcc_lo, s65
                                        ; implicit-def: $vgpr3
                                        ; implicit-def: $vgpr67
                                        ; implicit-def: $vgpr1_vgpr2
	s_and_not1_saveexec_b32 s63, s63
	s_cbranch_execz .LBB25_4042
.LBB25_7821:
	s_mov_b32 s66, exec_lo
	v_cmpx_lt_i16_e32 4, v3
	s_xor_b32 s66, exec_lo, s66
	s_cbranch_execz .LBB25_7843
; %bb.7822:
	s_mov_b32 s67, exec_lo
	v_cmpx_lt_i16_e32 7, v3
	s_xor_b32 s67, exec_lo, s67
	s_cbranch_execz .LBB25_7832
; %bb.7823:
	;; [unrolled: 5-line block ×3, first 2 shown]
	v_cmp_lt_i16_e32 vcc_lo, 9, v3
	s_and_saveexec_b32 s69, vcc_lo
	s_delay_alu instid0(SALU_CYCLE_1)
	s_xor_b32 vcc_lo, exec_lo, s69
	s_cbranch_execz .LBB25_7826
; %bb.7825:
	v_cvt_f64_f32_e32 v[3:4], v67
	v_mov_b32_e32 v5, 0
                                        ; implicit-def: $vgpr67
	s_delay_alu instid0(VALU_DEP_1)
	v_mov_b32_e32 v6, v5
	flat_store_b128 v[1:2], v[3:6]
                                        ; implicit-def: $vgpr1_vgpr2
.LBB25_7826:
	s_and_not1_saveexec_b32 vcc_lo, vcc_lo
	s_cbranch_execz .LBB25_7828
; %bb.7827:
	v_mov_b32_e32 v68, 0
	flat_store_b64 v[1:2], v[67:68]
.LBB25_7828:
	s_or_b32 exec_lo, exec_lo, vcc_lo
                                        ; implicit-def: $vgpr67
                                        ; implicit-def: $vgpr1_vgpr2
.LBB25_7829:
	s_and_not1_saveexec_b32 vcc_lo, s68
	s_cbranch_execz .LBB25_7831
; %bb.7830:
	v_cvt_f16_f32_e32 v3, v67
	s_delay_alu instid0(VALU_DEP_1)
	v_and_b32_e32 v3, 0xffff, v3
	flat_store_b32 v[1:2], v3
.LBB25_7831:
	s_or_b32 exec_lo, exec_lo, vcc_lo
                                        ; implicit-def: $vgpr67
                                        ; implicit-def: $vgpr1_vgpr2
                                        ; implicit-def: $vgpr3
.LBB25_7832:
	s_and_not1_saveexec_b32 s67, s67
	s_cbranch_execz .LBB25_7842
; %bb.7833:
	s_mov_b32 s68, exec_lo
	v_cmpx_lt_i16_e32 5, v3
	s_xor_b32 s68, exec_lo, s68
	s_cbranch_execz .LBB25_7839
; %bb.7834:
	v_cmp_lt_i16_e32 vcc_lo, 6, v3
	s_and_saveexec_b32 s69, vcc_lo
	s_delay_alu instid0(SALU_CYCLE_1)
	s_xor_b32 vcc_lo, exec_lo, s69
	s_cbranch_execz .LBB25_7836
; %bb.7835:
	v_cvt_f64_f32_e32 v[3:4], v67
                                        ; implicit-def: $vgpr67
	flat_store_b64 v[1:2], v[3:4]
                                        ; implicit-def: $vgpr1_vgpr2
.LBB25_7836:
	s_and_not1_saveexec_b32 vcc_lo, vcc_lo
	s_cbranch_execz .LBB25_7838
; %bb.7837:
	flat_store_b32 v[1:2], v67
.LBB25_7838:
	s_or_b32 exec_lo, exec_lo, vcc_lo
                                        ; implicit-def: $vgpr67
                                        ; implicit-def: $vgpr1_vgpr2
.LBB25_7839:
	s_and_not1_saveexec_b32 vcc_lo, s68
	s_cbranch_execz .LBB25_7841
; %bb.7840:
	v_cvt_f16_f32_e32 v3, v67
	flat_store_b16 v[1:2], v3
.LBB25_7841:
	s_or_b32 exec_lo, exec_lo, vcc_lo
.LBB25_7842:
	s_delay_alu instid0(SALU_CYCLE_1)
	s_or_b32 exec_lo, exec_lo, s67
                                        ; implicit-def: $vgpr3
                                        ; implicit-def: $vgpr67
                                        ; implicit-def: $vgpr1_vgpr2
.LBB25_7843:
	s_and_not1_saveexec_b32 s66, s66
	s_cbranch_execz .LBB25_7861
; %bb.7844:
	s_mov_b32 s67, exec_lo
	v_cmpx_lt_i16_e32 1, v3
	s_xor_b32 s67, exec_lo, s67
	s_cbranch_execz .LBB25_7854
; %bb.7845:
	s_mov_b32 s68, exec_lo
	v_cmpx_lt_i16_e32 2, v3
	s_xor_b32 s68, exec_lo, s68
	;; [unrolled: 5-line block ×3, first 2 shown]
	s_cbranch_execz .LBB25_7848
; %bb.7847:
	v_trunc_f32_e32 v3, v67
                                        ; implicit-def: $vgpr67
	s_delay_alu instid0(VALU_DEP_1) | instskip(SKIP_1) | instid1(VALU_DEP_2)
	v_mul_f32_e64 v4, 0x2f800000, |v3|
	v_ashrrev_i32_e32 v6, 31, v3
	v_floor_f32_e32 v4, v4
	s_delay_alu instid0(VALU_DEP_1) | instskip(SKIP_1) | instid1(VALU_DEP_2)
	v_fma_f32 v5, 0xcf800000, v4, |v3|
	v_cvt_u32_f32_e32 v4, v4
	v_cvt_u32_f32_e32 v3, v5
	s_delay_alu instid0(VALU_DEP_2) | instskip(NEXT) | instid1(VALU_DEP_2)
	v_xor_b32_e32 v4, v4, v6
	v_xor_b32_e32 v3, v3, v6
	s_delay_alu instid0(VALU_DEP_1) | instskip(NEXT) | instid1(VALU_DEP_3)
	v_sub_co_u32 v3, vcc_lo, v3, v6
	v_sub_co_ci_u32_e32 v4, vcc_lo, v4, v6, vcc_lo
	flat_store_b64 v[1:2], v[3:4]
                                        ; implicit-def: $vgpr1_vgpr2
.LBB25_7848:
	s_and_not1_saveexec_b32 vcc_lo, s69
	s_cbranch_execz .LBB25_7850
; %bb.7849:
	v_cvt_i32_f32_e32 v3, v67
	flat_store_b32 v[1:2], v3
.LBB25_7850:
	s_or_b32 exec_lo, exec_lo, vcc_lo
                                        ; implicit-def: $vgpr67
                                        ; implicit-def: $vgpr1_vgpr2
.LBB25_7851:
	s_and_not1_saveexec_b32 vcc_lo, s68
	s_cbranch_execz .LBB25_7853
; %bb.7852:
	v_cvt_i32_f32_e32 v3, v67
	flat_store_b16 v[1:2], v3
.LBB25_7853:
	s_or_b32 exec_lo, exec_lo, vcc_lo
                                        ; implicit-def: $vgpr67
                                        ; implicit-def: $vgpr1_vgpr2
                                        ; implicit-def: $vgpr3
.LBB25_7854:
	s_and_not1_saveexec_b32 s67, s67
	s_cbranch_execz .LBB25_7860
; %bb.7855:
	v_cmp_lt_i16_e32 vcc_lo, 0, v3
	s_and_saveexec_b32 s68, vcc_lo
	s_delay_alu instid0(SALU_CYCLE_1)
	s_xor_b32 vcc_lo, exec_lo, s68
	s_cbranch_execz .LBB25_7857
; %bb.7856:
	v_cvt_i32_f32_e32 v3, v67
                                        ; implicit-def: $vgpr67
	flat_store_b8 v[1:2], v3
                                        ; implicit-def: $vgpr1_vgpr2
.LBB25_7857:
	s_and_not1_saveexec_b32 vcc_lo, vcc_lo
	s_cbranch_execz .LBB25_7859
; %bb.7858:
	v_trunc_f32_e32 v3, v67
	s_delay_alu instid0(VALU_DEP_1) | instskip(NEXT) | instid1(VALU_DEP_1)
	v_mul_f32_e64 v4, 0x2f800000, |v3|
	v_floor_f32_e32 v4, v4
	s_delay_alu instid0(VALU_DEP_1) | instskip(SKIP_1) | instid1(VALU_DEP_2)
	v_fma_f32 v4, 0xcf800000, v4, |v3|
	v_ashrrev_i32_e32 v3, 31, v3
	v_cvt_u32_f32_e32 v4, v4
	s_delay_alu instid0(VALU_DEP_1) | instskip(NEXT) | instid1(VALU_DEP_1)
	v_xor_b32_e32 v4, v4, v3
	v_sub_nc_u32_e32 v3, v4, v3
	flat_store_b8 v[1:2], v3
.LBB25_7859:
	s_or_b32 exec_lo, exec_lo, vcc_lo
.LBB25_7860:
	s_delay_alu instid0(SALU_CYCLE_1)
	s_or_b32 exec_lo, exec_lo, s67
.LBB25_7861:
	s_delay_alu instid0(SALU_CYCLE_1) | instskip(NEXT) | instid1(SALU_CYCLE_1)
	s_or_b32 exec_lo, exec_lo, s66
	s_or_b32 s0, s0, exec_lo
	s_or_b32 exec_lo, exec_lo, s63
	s_mov_b32 vcc_lo, 0
	s_and_saveexec_b32 s63, s0
	s_cbranch_execnz .LBB25_4043
	s_branch .LBB25_4044
.LBB25_7862:
	v_bfe_u32 v3, v82, 21, 1
	s_mov_b32 s59, exec_lo
	s_delay_alu instid0(VALU_DEP_1) | instskip(NEXT) | instid1(VALU_DEP_1)
	v_add3_u32 v3, v82, v3, 0x88fffff
	v_lshrrev_b32_e32 v3, 21, v3
	s_or_saveexec_b32 s60, vcc_lo
                                        ; implicit-def: $vcc_lo
	s_delay_alu instid0(SALU_CYCLE_1)
	s_xor_b32 exec_lo, exec_lo, s60
	s_cbranch_execz .LBB25_7027
.LBB25_7863:
	v_add_f32_e64 v3, 0x42800000, |v82|
	s_and_not1_b32 s59, s59, exec_lo
	s_delay_alu instid0(VALU_DEP_1) | instskip(NEXT) | instid1(VALU_DEP_1)
	v_and_b32_e32 v3, 0xff, v3
	v_cmp_ne_u32_e32 vcc_lo, 0, v3
	s_and_b32 s61, vcc_lo, exec_lo
	s_mov_b32 vcc_lo, 0
	s_or_b32 s59, s59, s61
	s_or_b32 exec_lo, exec_lo, s60
	v_mov_b32_e32 v4, vcc_lo
	s_and_saveexec_b32 vcc_lo, s59
	s_cbranch_execnz .LBB25_7028
	s_branch .LBB25_7029
.LBB25_7864:
	v_bfe_u32 v3, v81, 20, 1
	s_mov_b32 s60, exec_lo
	s_delay_alu instid0(VALU_DEP_1) | instskip(NEXT) | instid1(VALU_DEP_1)
	v_add3_u32 v3, v81, v3, 0x487ffff
	v_lshrrev_b32_e32 v3, 20, v3
	s_or_saveexec_b32 s61, vcc_lo
                                        ; implicit-def: $vcc_lo
	s_delay_alu instid0(SALU_CYCLE_1)
	s_xor_b32 exec_lo, exec_lo, s61
	s_cbranch_execz .LBB25_7140
.LBB25_7865:
	v_add_f32_e64 v3, 0x46000000, |v81|
	s_and_not1_b32 s60, s60, exec_lo
	s_delay_alu instid0(VALU_DEP_1) | instskip(NEXT) | instid1(VALU_DEP_1)
	v_and_b32_e32 v3, 0xff, v3
	v_cmp_ne_u32_e32 vcc_lo, 0, v3
	s_and_b32 s62, vcc_lo, exec_lo
	s_mov_b32 vcc_lo, 0
	s_or_b32 s60, s60, s62
	s_or_b32 exec_lo, exec_lo, s61
	v_mov_b32_e32 v4, vcc_lo
	s_and_saveexec_b32 vcc_lo, s60
	s_cbranch_execnz .LBB25_7141
	s_branch .LBB25_7142
.LBB25_7866:
	s_mov_b32 s67, s63
	s_mov_b32 s68, exec_lo
	v_cmpx_lt_i16_e32 25, v3
	s_xor_b32 s68, exec_lo, s68
	s_cbranch_execz .LBB25_7902
; %bb.7867:
	s_mov_b32 s69, s63
	s_mov_b32 s67, exec_lo
	v_cmpx_lt_i16_e32 28, v3
	s_xor_b32 s67, exec_lo, s67
	s_cbranch_execz .LBB25_7885
; %bb.7868:
	;; [unrolled: 6-line block ×3, first 2 shown]
	s_mov_b32 s70, 0
	s_mov_b32 s71, s63
	s_mov_b32 s0, exec_lo
	v_cmpx_lt_i16_e32 45, v3
	s_xor_b32 s0, exec_lo, s0
	s_cbranch_execz .LBB25_7873
; %bb.7870:
	s_mov_b32 s72, -1
	s_mov_b32 s71, exec_lo
	v_cmpx_eq_u16_e32 46, v3
	s_cbranch_execz .LBB25_7872
; %bb.7871:
	v_bfe_u32 v3, v66, 16, 1
	v_cmp_o_f32_e32 vcc_lo, v66, v66
	s_mov_b32 s70, exec_lo
	s_xor_b32 s72, exec_lo, -1
	s_delay_alu instid0(VALU_DEP_2) | instskip(NEXT) | instid1(VALU_DEP_1)
	v_add3_u32 v3, v66, v3, 0x7fff
	v_lshrrev_b32_e32 v3, 16, v3
	s_delay_alu instid0(VALU_DEP_1)
	v_cndmask_b32_e32 v3, 0x7fc0, v3, vcc_lo
	flat_store_b32 v[1:2], v3
.LBB25_7872:
	s_or_b32 exec_lo, exec_lo, s71
	s_delay_alu instid0(SALU_CYCLE_1)
	s_and_not1_b32 vcc_lo, s63, exec_lo
	s_and_b32 s71, s72, exec_lo
	s_and_b32 s70, s70, exec_lo
	s_or_b32 s71, vcc_lo, s71
                                        ; implicit-def: $vgpr3
                                        ; implicit-def: $vgpr1_vgpr2
                                        ; implicit-def: $vgpr66
.LBB25_7873:
	s_and_not1_saveexec_b32 s72, s0
	s_cbranch_execz .LBB25_7879
; %bb.7874:
	s_mov_b32 s74, -1
	s_mov_b32 s0, s70
	s_mov_b32 s73, exec_lo
	v_cmpx_eq_u16_e32 44, v3
	s_cbranch_execz .LBB25_7878
; %bb.7875:
	v_bfe_u32 v4, v66, 23, 8
	v_mov_b32_e32 v3, 0xff
	s_mov_b32 s74, exec_lo
	s_delay_alu instid0(VALU_DEP_2)
	v_cmpx_ne_u32_e32 0xff, v4
; %bb.7876:
	v_and_b32_e32 v3, 0x400000, v66
	v_and_or_b32 v4, 0x3fffff, v66, v4
	s_delay_alu instid0(VALU_DEP_2) | instskip(NEXT) | instid1(VALU_DEP_2)
	v_cmp_ne_u32_e32 vcc_lo, 0, v3
	v_cmp_ne_u32_e64 s0, 0, v4
	v_lshrrev_b32_e32 v3, 23, v66
	s_delay_alu instid0(VALU_DEP_2) | instskip(NEXT) | instid1(SALU_CYCLE_1)
	s_and_b32 s0, vcc_lo, s0
	v_cndmask_b32_e64 v4, 0, 1, s0
	s_delay_alu instid0(VALU_DEP_1)
	v_add_nc_u32_e32 v3, v3, v4
; %bb.7877:
	s_or_b32 exec_lo, exec_lo, s74
	s_delay_alu instid0(SALU_CYCLE_1)
	s_xor_b32 s74, exec_lo, -1
	s_or_b32 s0, s70, exec_lo
	flat_store_b8 v[1:2], v3
.LBB25_7878:
	s_or_b32 exec_lo, exec_lo, s73
	s_delay_alu instid0(SALU_CYCLE_1)
	s_and_not1_b32 vcc_lo, s71, exec_lo
	s_and_b32 s71, s74, exec_lo
	s_and_not1_b32 s70, s70, exec_lo
	s_and_b32 s0, s0, exec_lo
	s_or_b32 s71, vcc_lo, s71
	s_or_b32 s70, s70, s0
.LBB25_7879:
	s_or_b32 exec_lo, exec_lo, s72
	s_delay_alu instid0(SALU_CYCLE_1) | instskip(SKIP_1) | instid1(SALU_CYCLE_1)
	s_and_not1_b32 s0, s63, exec_lo
	s_and_b32 vcc_lo, s71, exec_lo
                                        ; implicit-def: $vgpr3
                                        ; implicit-def: $vgpr66
                                        ; implicit-def: $vgpr1_vgpr2
	s_or_b32 s71, s0, vcc_lo
	s_and_b32 s0, s70, exec_lo
.LBB25_7880:
	s_and_not1_saveexec_b32 s69, s69
	s_cbranch_execz .LBB25_7884
; %bb.7881:
	s_mov_b32 s73, -1
	s_mov_b32 s72, s0
	s_mov_b32 s70, exec_lo
	v_cmpx_eq_u16_e32 29, v3
	s_cbranch_execz .LBB25_7883
; %bb.7882:
	v_trunc_f32_e32 v3, v66
	s_xor_b32 s73, exec_lo, -1
	s_or_b32 s72, s0, exec_lo
	s_delay_alu instid0(VALU_DEP_1) | instskip(NEXT) | instid1(VALU_DEP_1)
	v_mul_f32_e32 v4, 0x2f800000, v3
	v_floor_f32_e32 v4, v4
	s_delay_alu instid0(VALU_DEP_1) | instskip(SKIP_1) | instid1(VALU_DEP_2)
	v_fmamk_f32 v3, v4, 0xcf800000, v3
	v_cvt_u32_f32_e32 v4, v4
	v_cvt_u32_f32_e32 v3, v3
	flat_store_b64 v[1:2], v[3:4]
.LBB25_7883:
	s_or_b32 exec_lo, exec_lo, s70
	s_delay_alu instid0(SALU_CYCLE_1)
	s_and_not1_b32 vcc_lo, s71, exec_lo
	s_and_b32 s70, s73, exec_lo
	s_and_not1_b32 s0, s0, exec_lo
	s_and_b32 s72, s72, exec_lo
	s_or_b32 s71, vcc_lo, s70
	s_or_b32 s0, s0, s72
.LBB25_7884:
	s_or_b32 exec_lo, exec_lo, s69
	s_delay_alu instid0(SALU_CYCLE_1)
	s_and_not1_b32 vcc_lo, s63, exec_lo
	s_and_b32 s69, s71, exec_lo
	s_and_b32 s0, s0, exec_lo
	s_or_b32 s69, vcc_lo, s69
                                        ; implicit-def: $vgpr1_vgpr2
                                        ; implicit-def: $vgpr3
                                        ; implicit-def: $vgpr66
.LBB25_7885:
	s_and_not1_saveexec_b32 s67, s67
	s_cbranch_execz .LBB25_7901
; %bb.7886:
	s_mov_b32 s70, exec_lo
	v_cmpx_lt_i16_e32 26, v3
	s_xor_b32 s70, exec_lo, s70
	s_cbranch_execz .LBB25_7892
; %bb.7887:
	v_cmp_lt_i16_e32 vcc_lo, 27, v3
	v_cvt_u32_f32_e32 v3, v66
	s_and_saveexec_b32 s71, vcc_lo
	s_delay_alu instid0(SALU_CYCLE_1)
	s_xor_b32 vcc_lo, exec_lo, s71
	s_cbranch_execz .LBB25_7889
; %bb.7888:
	flat_store_b32 v[1:2], v3
                                        ; implicit-def: $vgpr1_vgpr2
                                        ; implicit-def: $vgpr3
.LBB25_7889:
	s_and_not1_saveexec_b32 vcc_lo, vcc_lo
	s_cbranch_execz .LBB25_7891
; %bb.7890:
	flat_store_b16 v[1:2], v3
.LBB25_7891:
	s_or_b32 exec_lo, exec_lo, vcc_lo
                                        ; implicit-def: $vgpr1_vgpr2
                                        ; implicit-def: $vgpr66
.LBB25_7892:
	s_and_not1_saveexec_b32 s70, s70
	s_cbranch_execz .LBB25_7900
; %bb.7893:
	v_and_b32_e32 v3, 0x7fffffff, v66
	v_mov_b32_e32 v4, 0x80
	s_mov_b32 s71, exec_lo
	s_delay_alu instid0(VALU_DEP_2)
	v_cmpx_gt_u32_e32 0x43800000, v3
	s_cbranch_execz .LBB25_7899
; %bb.7894:
	v_cmp_lt_u32_e32 vcc_lo, 0x3bffffff, v3
	s_mov_b32 s72, 0
                                        ; implicit-def: $vgpr3
	s_and_saveexec_b32 s73, vcc_lo
	s_delay_alu instid0(SALU_CYCLE_1)
	s_xor_b32 vcc_lo, exec_lo, s73
	s_cbranch_execnz .LBB25_8010
; %bb.7895:
	s_or_saveexec_b32 s73, vcc_lo
                                        ; implicit-def: $vcc_lo
	s_delay_alu instid0(SALU_CYCLE_1)
	s_xor_b32 exec_lo, exec_lo, s73
	s_cbranch_execnz .LBB25_8011
.LBB25_7896:
	s_or_b32 exec_lo, exec_lo, s73
	v_mov_b32_e32 v4, vcc_lo
	s_and_saveexec_b32 vcc_lo, s72
.LBB25_7897:
	v_lshrrev_b32_e32 v4, 24, v66
	s_delay_alu instid0(VALU_DEP_1)
	v_and_or_b32 v4, 0x80, v4, v3
.LBB25_7898:
	s_or_b32 exec_lo, exec_lo, vcc_lo
.LBB25_7899:
	s_delay_alu instid0(SALU_CYCLE_1)
	s_or_b32 exec_lo, exec_lo, s71
	flat_store_b8 v[1:2], v4
.LBB25_7900:
	s_or_b32 exec_lo, exec_lo, s70
	s_delay_alu instid0(SALU_CYCLE_1)
	s_or_b32 s0, s0, exec_lo
.LBB25_7901:
	s_or_b32 exec_lo, exec_lo, s67
	s_delay_alu instid0(SALU_CYCLE_1)
	s_and_not1_b32 vcc_lo, s63, exec_lo
	s_and_b32 s67, s69, exec_lo
	s_and_b32 s0, s0, exec_lo
	s_or_b32 s67, vcc_lo, s67
                                        ; implicit-def: $vgpr3
                                        ; implicit-def: $vgpr66
                                        ; implicit-def: $vgpr1_vgpr2
.LBB25_7902:
	s_and_not1_saveexec_b32 s68, s68
	s_cbranch_execz .LBB25_7946
; %bb.7903:
	s_mov_b32 s70, s0
	s_mov_b32 s69, exec_lo
	v_cmpx_lt_i16_e32 22, v3
	s_xor_b32 s69, exec_lo, s69
	s_cbranch_execz .LBB25_7935
; %bb.7904:
	s_mov_b32 s70, exec_lo
	v_cmpx_lt_i16_e32 23, v3
	s_xor_b32 s70, exec_lo, s70
	s_cbranch_execz .LBB25_7924
; %bb.7905:
	;; [unrolled: 5-line block ×3, first 2 shown]
	v_and_b32_e32 v3, 0x7fffffff, v66
	v_mov_b32_e32 v4, 0x80
	s_mov_b32 s72, exec_lo
	s_delay_alu instid0(VALU_DEP_2)
	v_cmpx_gt_u32_e32 0x47800000, v3
	s_cbranch_execz .LBB25_7912
; %bb.7907:
	v_cmp_lt_u32_e32 vcc_lo, 0x37ffffff, v3
	s_mov_b32 s73, 0
                                        ; implicit-def: $vgpr3
	s_and_saveexec_b32 s74, vcc_lo
	s_delay_alu instid0(SALU_CYCLE_1)
	s_xor_b32 vcc_lo, exec_lo, s74
	s_cbranch_execnz .LBB25_8014
; %bb.7908:
	s_or_saveexec_b32 s74, vcc_lo
                                        ; implicit-def: $vcc_lo
	s_delay_alu instid0(SALU_CYCLE_1)
	s_xor_b32 exec_lo, exec_lo, s74
	s_cbranch_execnz .LBB25_8015
.LBB25_7909:
	s_or_b32 exec_lo, exec_lo, s74
	v_mov_b32_e32 v4, vcc_lo
	s_and_saveexec_b32 vcc_lo, s73
.LBB25_7910:
	v_lshrrev_b32_e32 v4, 24, v66
	s_delay_alu instid0(VALU_DEP_1)
	v_and_or_b32 v4, 0x80, v4, v3
.LBB25_7911:
	s_or_b32 exec_lo, exec_lo, vcc_lo
.LBB25_7912:
	s_delay_alu instid0(SALU_CYCLE_1)
	s_or_b32 exec_lo, exec_lo, s72
	flat_store_b8 v[1:2], v4
                                        ; implicit-def: $vgpr66
                                        ; implicit-def: $vgpr1_vgpr2
.LBB25_7913:
	s_and_not1_saveexec_b32 s71, s71
	s_cbranch_execz .LBB25_7923
; %bb.7914:
	v_and_b32_e32 v4, 0x7fffffff, v66
	s_mov_b32 s72, exec_lo
                                        ; implicit-def: $vgpr3
	s_delay_alu instid0(VALU_DEP_1)
	v_cmpx_gt_u32_e32 0x43f00000, v4
	s_xor_b32 s72, exec_lo, s72
	s_cbranch_execz .LBB25_7920
; %bb.7915:
	s_mov_b32 s73, exec_lo
                                        ; implicit-def: $vgpr3
	v_cmpx_lt_u32_e32 0x3c7fffff, v4
	s_xor_b32 s73, exec_lo, s73
; %bb.7916:
	v_bfe_u32 v3, v66, 20, 1
	s_delay_alu instid0(VALU_DEP_1) | instskip(NEXT) | instid1(VALU_DEP_1)
	v_add3_u32 v3, v66, v3, 0x407ffff
	v_and_b32_e32 v4, 0xff00000, v3
	v_lshrrev_b32_e32 v3, 20, v3
	s_delay_alu instid0(VALU_DEP_2) | instskip(NEXT) | instid1(VALU_DEP_2)
	v_cmp_ne_u32_e32 vcc_lo, 0x7f00000, v4
	v_cndmask_b32_e32 v3, 0x7e, v3, vcc_lo
; %bb.7917:
	s_and_not1_saveexec_b32 vcc_lo, s73
; %bb.7918:
	v_add_f32_e64 v3, 0x46800000, |v66|
; %bb.7919:
	s_or_b32 exec_lo, exec_lo, vcc_lo
                                        ; implicit-def: $vgpr4
.LBB25_7920:
	s_and_not1_saveexec_b32 s72, s72
; %bb.7921:
	v_mov_b32_e32 v3, 0x7f
	v_cmp_lt_u32_e32 vcc_lo, 0x7f800000, v4
	s_delay_alu instid0(VALU_DEP_2)
	v_cndmask_b32_e32 v3, 0x7e, v3, vcc_lo
; %bb.7922:
	s_or_b32 exec_lo, exec_lo, s72
	v_lshrrev_b32_e32 v4, 24, v66
	s_delay_alu instid0(VALU_DEP_1)
	v_and_or_b32 v3, 0x80, v4, v3
	flat_store_b8 v[1:2], v3
.LBB25_7923:
	s_or_b32 exec_lo, exec_lo, s71
                                        ; implicit-def: $vgpr66
                                        ; implicit-def: $vgpr1_vgpr2
.LBB25_7924:
	s_and_not1_saveexec_b32 s70, s70
	s_cbranch_execz .LBB25_7934
; %bb.7925:
	v_and_b32_e32 v4, 0x7fffffff, v66
	s_mov_b32 s71, exec_lo
                                        ; implicit-def: $vgpr3
	s_delay_alu instid0(VALU_DEP_1)
	v_cmpx_gt_u32_e32 0x47800000, v4
	s_xor_b32 s71, exec_lo, s71
	s_cbranch_execz .LBB25_7931
; %bb.7926:
	v_cmp_lt_u32_e32 vcc_lo, 0x387fffff, v4
                                        ; implicit-def: $vgpr3
	s_and_saveexec_b32 s72, vcc_lo
	s_delay_alu instid0(SALU_CYCLE_1)
	s_xor_b32 vcc_lo, exec_lo, s72
; %bb.7927:
	v_bfe_u32 v3, v66, 21, 1
	s_delay_alu instid0(VALU_DEP_1) | instskip(NEXT) | instid1(VALU_DEP_1)
	v_add3_u32 v3, v66, v3, 0x80fffff
	v_lshrrev_b32_e32 v3, 21, v3
; %bb.7928:
	s_and_not1_saveexec_b32 vcc_lo, vcc_lo
; %bb.7929:
	v_add_f32_e64 v3, 0x43000000, |v66|
; %bb.7930:
	s_or_b32 exec_lo, exec_lo, vcc_lo
                                        ; implicit-def: $vgpr4
.LBB25_7931:
	s_and_not1_saveexec_b32 s71, s71
; %bb.7932:
	v_mov_b32_e32 v3, 0x7f
	v_cmp_lt_u32_e32 vcc_lo, 0x7f800000, v4
	s_delay_alu instid0(VALU_DEP_2)
	v_cndmask_b32_e32 v3, 0x7c, v3, vcc_lo
; %bb.7933:
	s_or_b32 exec_lo, exec_lo, s71
	v_lshrrev_b32_e32 v4, 24, v66
	s_delay_alu instid0(VALU_DEP_1)
	v_and_or_b32 v3, 0x80, v4, v3
	flat_store_b8 v[1:2], v3
.LBB25_7934:
	s_or_b32 exec_lo, exec_lo, s70
	s_delay_alu instid0(SALU_CYCLE_1)
	s_or_b32 s70, s0, exec_lo
                                        ; implicit-def: $vgpr3
                                        ; implicit-def: $vgpr66
                                        ; implicit-def: $vgpr1_vgpr2
.LBB25_7935:
	s_or_saveexec_b32 s69, s69
	s_mov_b32 vcc_lo, s67
	s_xor_b32 exec_lo, exec_lo, s69
	s_cbranch_execz .LBB25_7945
; %bb.7936:
	s_mov_b32 s71, s70
	s_mov_b32 s72, s67
	s_mov_b32 s73, exec_lo
	v_cmpx_lt_i16_e32 14, v3
	s_xor_b32 s73, exec_lo, s73
	s_cbranch_execz .LBB25_7940
; %bb.7937:
	s_mov_b32 s74, -1
	s_mov_b32 s71, s70
	s_mov_b32 s72, exec_lo
	v_cmpx_eq_u16_e32 15, v3
	s_cbranch_execz .LBB25_7939
; %bb.7938:
	v_bfe_u32 v3, v66, 16, 1
	v_cmp_o_f32_e32 vcc_lo, v66, v66
	s_xor_b32 s74, exec_lo, -1
	s_or_b32 s71, s70, exec_lo
	s_delay_alu instid0(VALU_DEP_2) | instskip(NEXT) | instid1(VALU_DEP_1)
	v_add3_u32 v3, v66, v3, 0x7fff
	v_lshrrev_b32_e32 v3, 16, v3
	s_delay_alu instid0(VALU_DEP_1)
	v_cndmask_b32_e32 v3, 0x7fc0, v3, vcc_lo
	flat_store_b16 v[1:2], v3
.LBB25_7939:
	s_or_b32 exec_lo, exec_lo, s72
	s_delay_alu instid0(SALU_CYCLE_1)
	s_and_not1_b32 vcc_lo, s67, exec_lo
	s_and_b32 s72, s74, exec_lo
	s_and_not1_b32 s74, s70, exec_lo
	s_and_b32 s71, s71, exec_lo
	s_or_b32 s72, vcc_lo, s72
	s_or_b32 s71, s74, s71
                                        ; implicit-def: $vgpr3
                                        ; implicit-def: $vgpr66
                                        ; implicit-def: $vgpr1_vgpr2
.LBB25_7940:
	s_and_not1_saveexec_b32 s73, s73
	s_cbranch_execz .LBB25_7944
; %bb.7941:
	s_mov_b32 s75, -1
	s_mov_b32 s74, s71
	s_mov_b32 s76, exec_lo
	v_cmpx_eq_u16_e32 11, v3
	s_cbranch_execz .LBB25_7943
; %bb.7942:
	v_cmp_neq_f32_e32 vcc_lo, 0, v66
	s_xor_b32 s75, exec_lo, -1
	s_or_b32 s74, s71, exec_lo
	v_cndmask_b32_e64 v3, 0, 1, vcc_lo
	flat_store_b8 v[1:2], v3
.LBB25_7943:
	s_or_b32 exec_lo, exec_lo, s76
	s_delay_alu instid0(SALU_CYCLE_1)
	s_and_not1_b32 vcc_lo, s72, exec_lo
	s_and_b32 s72, s75, exec_lo
	s_and_not1_b32 s71, s71, exec_lo
	s_and_b32 s74, s74, exec_lo
	s_or_b32 s72, vcc_lo, s72
	s_or_b32 s71, s71, s74
.LBB25_7944:
	s_or_b32 exec_lo, exec_lo, s73
	s_delay_alu instid0(SALU_CYCLE_1)
	s_and_not1_b32 vcc_lo, s67, exec_lo
	s_and_b32 s72, s72, exec_lo
	s_and_not1_b32 s70, s70, exec_lo
	s_and_b32 s71, s71, exec_lo
	s_or_b32 vcc_lo, vcc_lo, s72
	s_or_b32 s70, s70, s71
.LBB25_7945:
	s_or_b32 exec_lo, exec_lo, s69
	s_delay_alu instid0(SALU_CYCLE_1)
	s_and_not1_b32 s67, s67, exec_lo
	s_and_b32 vcc_lo, vcc_lo, exec_lo
	s_and_not1_b32 s0, s0, exec_lo
	s_and_b32 s69, s70, exec_lo
	s_or_b32 s67, s67, vcc_lo
	s_or_b32 s0, s0, s69
.LBB25_7946:
	s_or_b32 exec_lo, exec_lo, s68
	s_delay_alu instid0(SALU_CYCLE_1)
	s_and_not1_b32 vcc_lo, s63, exec_lo
	s_and_b32 s67, s67, exec_lo
	s_and_b32 s0, s0, exec_lo
	s_or_b32 s67, vcc_lo, s67
                                        ; implicit-def: $vgpr3
                                        ; implicit-def: $vgpr66
                                        ; implicit-def: $vgpr1_vgpr2
	s_and_not1_saveexec_b32 s66, s66
	s_cbranch_execz .LBB25_4049
.LBB25_7947:
	s_mov_b32 s68, exec_lo
	v_cmpx_lt_i16_e32 4, v3
	s_xor_b32 s68, exec_lo, s68
	s_cbranch_execz .LBB25_7969
; %bb.7948:
	s_mov_b32 s69, exec_lo
	v_cmpx_lt_i16_e32 7, v3
	s_xor_b32 s69, exec_lo, s69
	s_cbranch_execz .LBB25_7958
; %bb.7949:
	;; [unrolled: 5-line block ×3, first 2 shown]
	v_cmp_lt_i16_e32 vcc_lo, 9, v3
	s_and_saveexec_b32 s71, vcc_lo
	s_delay_alu instid0(SALU_CYCLE_1)
	s_xor_b32 vcc_lo, exec_lo, s71
	s_cbranch_execz .LBB25_7952
; %bb.7951:
	v_cvt_f64_f32_e32 v[3:4], v66
	v_mov_b32_e32 v5, 0
                                        ; implicit-def: $vgpr66
	s_delay_alu instid0(VALU_DEP_1)
	v_mov_b32_e32 v6, v5
	flat_store_b128 v[1:2], v[3:6]
                                        ; implicit-def: $vgpr1_vgpr2
.LBB25_7952:
	s_and_not1_saveexec_b32 vcc_lo, vcc_lo
	s_cbranch_execz .LBB25_7954
; %bb.7953:
	v_mov_b32_e32 v67, 0
	flat_store_b64 v[1:2], v[66:67]
.LBB25_7954:
	s_or_b32 exec_lo, exec_lo, vcc_lo
                                        ; implicit-def: $vgpr66
                                        ; implicit-def: $vgpr1_vgpr2
.LBB25_7955:
	s_and_not1_saveexec_b32 vcc_lo, s70
	s_cbranch_execz .LBB25_7957
; %bb.7956:
	v_cvt_f16_f32_e32 v3, v66
	s_delay_alu instid0(VALU_DEP_1)
	v_and_b32_e32 v3, 0xffff, v3
	flat_store_b32 v[1:2], v3
.LBB25_7957:
	s_or_b32 exec_lo, exec_lo, vcc_lo
                                        ; implicit-def: $vgpr66
                                        ; implicit-def: $vgpr1_vgpr2
                                        ; implicit-def: $vgpr3
.LBB25_7958:
	s_and_not1_saveexec_b32 s69, s69
	s_cbranch_execz .LBB25_7968
; %bb.7959:
	s_mov_b32 s70, exec_lo
	v_cmpx_lt_i16_e32 5, v3
	s_xor_b32 s70, exec_lo, s70
	s_cbranch_execz .LBB25_7965
; %bb.7960:
	v_cmp_lt_i16_e32 vcc_lo, 6, v3
	s_and_saveexec_b32 s71, vcc_lo
	s_delay_alu instid0(SALU_CYCLE_1)
	s_xor_b32 vcc_lo, exec_lo, s71
	s_cbranch_execz .LBB25_7962
; %bb.7961:
	v_cvt_f64_f32_e32 v[3:4], v66
                                        ; implicit-def: $vgpr66
	flat_store_b64 v[1:2], v[3:4]
                                        ; implicit-def: $vgpr1_vgpr2
.LBB25_7962:
	s_and_not1_saveexec_b32 vcc_lo, vcc_lo
	s_cbranch_execz .LBB25_7964
; %bb.7963:
	flat_store_b32 v[1:2], v66
.LBB25_7964:
	s_or_b32 exec_lo, exec_lo, vcc_lo
                                        ; implicit-def: $vgpr66
                                        ; implicit-def: $vgpr1_vgpr2
.LBB25_7965:
	s_and_not1_saveexec_b32 vcc_lo, s70
	s_cbranch_execz .LBB25_7967
; %bb.7966:
	v_cvt_f16_f32_e32 v3, v66
	flat_store_b16 v[1:2], v3
.LBB25_7967:
	s_or_b32 exec_lo, exec_lo, vcc_lo
.LBB25_7968:
	s_delay_alu instid0(SALU_CYCLE_1)
	s_or_b32 exec_lo, exec_lo, s69
                                        ; implicit-def: $vgpr3
                                        ; implicit-def: $vgpr66
                                        ; implicit-def: $vgpr1_vgpr2
.LBB25_7969:
	s_and_not1_saveexec_b32 s68, s68
	s_cbranch_execz .LBB25_7987
; %bb.7970:
	s_mov_b32 s69, exec_lo
	v_cmpx_lt_i16_e32 1, v3
	s_xor_b32 s69, exec_lo, s69
	s_cbranch_execz .LBB25_7980
; %bb.7971:
	s_mov_b32 s70, exec_lo
	v_cmpx_lt_i16_e32 2, v3
	s_xor_b32 s70, exec_lo, s70
	;; [unrolled: 5-line block ×3, first 2 shown]
	s_cbranch_execz .LBB25_7974
; %bb.7973:
	v_trunc_f32_e32 v3, v66
                                        ; implicit-def: $vgpr66
	s_delay_alu instid0(VALU_DEP_1) | instskip(SKIP_1) | instid1(VALU_DEP_2)
	v_mul_f32_e64 v4, 0x2f800000, |v3|
	v_ashrrev_i32_e32 v6, 31, v3
	v_floor_f32_e32 v4, v4
	s_delay_alu instid0(VALU_DEP_1) | instskip(SKIP_1) | instid1(VALU_DEP_2)
	v_fma_f32 v5, 0xcf800000, v4, |v3|
	v_cvt_u32_f32_e32 v4, v4
	v_cvt_u32_f32_e32 v3, v5
	s_delay_alu instid0(VALU_DEP_2) | instskip(NEXT) | instid1(VALU_DEP_2)
	v_xor_b32_e32 v4, v4, v6
	v_xor_b32_e32 v3, v3, v6
	s_delay_alu instid0(VALU_DEP_1) | instskip(NEXT) | instid1(VALU_DEP_3)
	v_sub_co_u32 v3, vcc_lo, v3, v6
	v_sub_co_ci_u32_e32 v4, vcc_lo, v4, v6, vcc_lo
	flat_store_b64 v[1:2], v[3:4]
                                        ; implicit-def: $vgpr1_vgpr2
.LBB25_7974:
	s_and_not1_saveexec_b32 vcc_lo, s71
	s_cbranch_execz .LBB25_7976
; %bb.7975:
	v_cvt_i32_f32_e32 v3, v66
	flat_store_b32 v[1:2], v3
.LBB25_7976:
	s_or_b32 exec_lo, exec_lo, vcc_lo
                                        ; implicit-def: $vgpr66
                                        ; implicit-def: $vgpr1_vgpr2
.LBB25_7977:
	s_and_not1_saveexec_b32 vcc_lo, s70
	s_cbranch_execz .LBB25_7979
; %bb.7978:
	v_cvt_i32_f32_e32 v3, v66
	flat_store_b16 v[1:2], v3
.LBB25_7979:
	s_or_b32 exec_lo, exec_lo, vcc_lo
                                        ; implicit-def: $vgpr66
                                        ; implicit-def: $vgpr1_vgpr2
                                        ; implicit-def: $vgpr3
.LBB25_7980:
	s_and_not1_saveexec_b32 s69, s69
	s_cbranch_execz .LBB25_7986
; %bb.7981:
	v_cmp_lt_i16_e32 vcc_lo, 0, v3
	s_and_saveexec_b32 s70, vcc_lo
	s_delay_alu instid0(SALU_CYCLE_1)
	s_xor_b32 vcc_lo, exec_lo, s70
	s_cbranch_execz .LBB25_7983
; %bb.7982:
	v_cvt_i32_f32_e32 v3, v66
                                        ; implicit-def: $vgpr66
	flat_store_b8 v[1:2], v3
                                        ; implicit-def: $vgpr1_vgpr2
.LBB25_7983:
	s_and_not1_saveexec_b32 vcc_lo, vcc_lo
	s_cbranch_execz .LBB25_7985
; %bb.7984:
	v_trunc_f32_e32 v3, v66
	s_delay_alu instid0(VALU_DEP_1) | instskip(NEXT) | instid1(VALU_DEP_1)
	v_mul_f32_e64 v4, 0x2f800000, |v3|
	v_floor_f32_e32 v4, v4
	s_delay_alu instid0(VALU_DEP_1) | instskip(SKIP_1) | instid1(VALU_DEP_2)
	v_fma_f32 v4, 0xcf800000, v4, |v3|
	v_ashrrev_i32_e32 v3, 31, v3
	v_cvt_u32_f32_e32 v4, v4
	s_delay_alu instid0(VALU_DEP_1) | instskip(NEXT) | instid1(VALU_DEP_1)
	v_xor_b32_e32 v4, v4, v3
	v_sub_nc_u32_e32 v3, v4, v3
	flat_store_b8 v[1:2], v3
.LBB25_7985:
	s_or_b32 exec_lo, exec_lo, vcc_lo
.LBB25_7986:
	s_delay_alu instid0(SALU_CYCLE_1)
	s_or_b32 exec_lo, exec_lo, s69
.LBB25_7987:
	s_delay_alu instid0(SALU_CYCLE_1) | instskip(NEXT) | instid1(SALU_CYCLE_1)
	s_or_b32 exec_lo, exec_lo, s68
	s_or_b32 s0, s0, exec_lo
	s_or_b32 exec_lo, exec_lo, s66
	s_mov_b32 vcc_lo, 0
	s_and_saveexec_b32 s66, s0
	s_cbranch_execnz .LBB25_4050
	s_branch .LBB25_4051
.LBB25_7988:
	v_bfe_u32 v3, v81, 21, 1
	s_mov_b32 s61, exec_lo
	s_delay_alu instid0(VALU_DEP_1) | instskip(NEXT) | instid1(VALU_DEP_1)
	v_add3_u32 v3, v81, v3, 0x88fffff
	v_lshrrev_b32_e32 v3, 21, v3
	s_or_saveexec_b32 s62, vcc_lo
                                        ; implicit-def: $vcc_lo
	s_delay_alu instid0(SALU_CYCLE_1)
	s_xor_b32 exec_lo, exec_lo, s62
	s_cbranch_execz .LBB25_7153
.LBB25_7989:
	v_add_f32_e64 v3, 0x42800000, |v81|
	s_and_not1_b32 s61, s61, exec_lo
	s_delay_alu instid0(VALU_DEP_1) | instskip(NEXT) | instid1(VALU_DEP_1)
	v_and_b32_e32 v3, 0xff, v3
	v_cmp_ne_u32_e32 vcc_lo, 0, v3
	s_and_b32 s63, vcc_lo, exec_lo
	s_mov_b32 vcc_lo, 0
	s_or_b32 s61, s61, s63
	s_or_b32 exec_lo, exec_lo, s62
	v_mov_b32_e32 v4, vcc_lo
	s_and_saveexec_b32 vcc_lo, s61
	s_cbranch_execnz .LBB25_7154
	s_branch .LBB25_7155
.LBB25_7990:
	v_bfe_u32 v3, v80, 20, 1
	s_mov_b32 s62, exec_lo
	s_delay_alu instid0(VALU_DEP_1) | instskip(NEXT) | instid1(VALU_DEP_1)
	v_add3_u32 v3, v80, v3, 0x487ffff
	v_lshrrev_b32_e32 v3, 20, v3
	s_or_saveexec_b32 s63, vcc_lo
                                        ; implicit-def: $vcc_lo
	s_delay_alu instid0(SALU_CYCLE_1)
	s_xor_b32 exec_lo, exec_lo, s63
	s_cbranch_execz .LBB25_7266
.LBB25_7991:
	v_add_f32_e64 v3, 0x46000000, |v80|
	s_and_not1_b32 s62, s62, exec_lo
	s_delay_alu instid0(VALU_DEP_1) | instskip(NEXT) | instid1(VALU_DEP_1)
	v_and_b32_e32 v3, 0xff, v3
	v_cmp_ne_u32_e32 vcc_lo, 0, v3
	s_and_b32 s64, vcc_lo, exec_lo
	s_mov_b32 vcc_lo, 0
	s_or_b32 s62, s62, s64
	s_or_b32 exec_lo, exec_lo, s63
	v_mov_b32_e32 v4, vcc_lo
	s_and_saveexec_b32 vcc_lo, s62
	s_cbranch_execnz .LBB25_7267
	s_branch .LBB25_7268
.LBB25_7992:
	v_bfe_u32 v3, v80, 21, 1
	s_mov_b32 s63, exec_lo
	s_delay_alu instid0(VALU_DEP_1) | instskip(NEXT) | instid1(VALU_DEP_1)
	v_add3_u32 v3, v80, v3, 0x88fffff
	v_lshrrev_b32_e32 v3, 21, v3
	s_or_saveexec_b32 s64, vcc_lo
                                        ; implicit-def: $vcc_lo
	s_delay_alu instid0(SALU_CYCLE_1)
	s_xor_b32 exec_lo, exec_lo, s64
	s_cbranch_execz .LBB25_7279
.LBB25_7993:
	v_add_f32_e64 v3, 0x42800000, |v80|
	s_and_not1_b32 s63, s63, exec_lo
	s_delay_alu instid0(VALU_DEP_1) | instskip(NEXT) | instid1(VALU_DEP_1)
	v_and_b32_e32 v3, 0xff, v3
	v_cmp_ne_u32_e32 vcc_lo, 0, v3
	s_and_b32 s65, vcc_lo, exec_lo
	s_mov_b32 vcc_lo, 0
	s_or_b32 s63, s63, s65
	s_or_b32 exec_lo, exec_lo, s64
	v_mov_b32_e32 v4, vcc_lo
	s_and_saveexec_b32 vcc_lo, s63
	s_cbranch_execnz .LBB25_7280
	s_branch .LBB25_7281
.LBB25_7994:
	v_bfe_u32 v3, v70, 20, 1
	s_mov_b32 s64, exec_lo
	s_delay_alu instid0(VALU_DEP_1) | instskip(NEXT) | instid1(VALU_DEP_1)
	v_add3_u32 v3, v70, v3, 0x487ffff
	v_lshrrev_b32_e32 v3, 20, v3
	s_or_saveexec_b32 s65, vcc_lo
                                        ; implicit-def: $vcc_lo
	s_delay_alu instid0(SALU_CYCLE_1)
	s_xor_b32 exec_lo, exec_lo, s65
	s_cbranch_execz .LBB25_7392
.LBB25_7995:
	v_add_f32_e64 v3, 0x46000000, |v70|
	s_and_not1_b32 s64, s64, exec_lo
	s_delay_alu instid0(VALU_DEP_1) | instskip(NEXT) | instid1(VALU_DEP_1)
	v_and_b32_e32 v3, 0xff, v3
	v_cmp_ne_u32_e32 vcc_lo, 0, v3
	s_and_b32 s66, vcc_lo, exec_lo
	s_mov_b32 vcc_lo, 0
	s_or_b32 s64, s64, s66
	s_or_b32 exec_lo, exec_lo, s65
	v_mov_b32_e32 v4, vcc_lo
	s_and_saveexec_b32 vcc_lo, s64
	s_cbranch_execnz .LBB25_7393
	s_branch .LBB25_7394
.LBB25_7996:
	v_bfe_u32 v3, v70, 21, 1
	s_mov_b32 s65, exec_lo
	s_delay_alu instid0(VALU_DEP_1) | instskip(NEXT) | instid1(VALU_DEP_1)
	v_add3_u32 v3, v70, v3, 0x88fffff
	v_lshrrev_b32_e32 v3, 21, v3
	s_or_saveexec_b32 s66, vcc_lo
                                        ; implicit-def: $vcc_lo
	s_delay_alu instid0(SALU_CYCLE_1)
	s_xor_b32 exec_lo, exec_lo, s66
	s_cbranch_execz .LBB25_7405
.LBB25_7997:
	v_add_f32_e64 v3, 0x42800000, |v70|
	s_and_not1_b32 s65, s65, exec_lo
	s_delay_alu instid0(VALU_DEP_1) | instskip(NEXT) | instid1(VALU_DEP_1)
	v_and_b32_e32 v3, 0xff, v3
	v_cmp_ne_u32_e32 vcc_lo, 0, v3
	s_and_b32 s67, vcc_lo, exec_lo
	s_mov_b32 vcc_lo, 0
	s_or_b32 s65, s65, s67
	s_or_b32 exec_lo, exec_lo, s66
	v_mov_b32_e32 v4, vcc_lo
	s_and_saveexec_b32 vcc_lo, s65
	s_cbranch_execnz .LBB25_7406
	s_branch .LBB25_7407
.LBB25_7998:
	v_bfe_u32 v3, v69, 20, 1
	s_mov_b32 s66, exec_lo
	s_delay_alu instid0(VALU_DEP_1) | instskip(NEXT) | instid1(VALU_DEP_1)
	v_add3_u32 v3, v69, v3, 0x487ffff
	v_lshrrev_b32_e32 v3, 20, v3
	s_or_saveexec_b32 s67, vcc_lo
                                        ; implicit-def: $vcc_lo
	s_delay_alu instid0(SALU_CYCLE_1)
	s_xor_b32 exec_lo, exec_lo, s67
	s_cbranch_execz .LBB25_7518
.LBB25_7999:
	v_add_f32_e64 v3, 0x46000000, |v69|
	s_and_not1_b32 s66, s66, exec_lo
	s_delay_alu instid0(VALU_DEP_1) | instskip(NEXT) | instid1(VALU_DEP_1)
	v_and_b32_e32 v3, 0xff, v3
	v_cmp_ne_u32_e32 vcc_lo, 0, v3
	s_and_b32 s68, vcc_lo, exec_lo
	s_mov_b32 vcc_lo, 0
	s_or_b32 s66, s66, s68
	s_or_b32 exec_lo, exec_lo, s67
	v_mov_b32_e32 v4, vcc_lo
	s_and_saveexec_b32 vcc_lo, s66
	s_cbranch_execnz .LBB25_7519
	s_branch .LBB25_7520
.LBB25_8000:
	v_bfe_u32 v3, v69, 21, 1
	s_mov_b32 s67, exec_lo
	s_delay_alu instid0(VALU_DEP_1) | instskip(NEXT) | instid1(VALU_DEP_1)
	v_add3_u32 v3, v69, v3, 0x88fffff
	v_lshrrev_b32_e32 v3, 21, v3
	s_or_saveexec_b32 s68, vcc_lo
                                        ; implicit-def: $vcc_lo
	s_delay_alu instid0(SALU_CYCLE_1)
	s_xor_b32 exec_lo, exec_lo, s68
	s_cbranch_execz .LBB25_7531
.LBB25_8001:
	v_add_f32_e64 v3, 0x42800000, |v69|
	s_and_not1_b32 s67, s67, exec_lo
	s_delay_alu instid0(VALU_DEP_1) | instskip(NEXT) | instid1(VALU_DEP_1)
	v_and_b32_e32 v3, 0xff, v3
	v_cmp_ne_u32_e32 vcc_lo, 0, v3
	s_and_b32 s69, vcc_lo, exec_lo
	s_mov_b32 vcc_lo, 0
	s_or_b32 s67, s67, s69
	s_or_b32 exec_lo, exec_lo, s68
	v_mov_b32_e32 v4, vcc_lo
	s_and_saveexec_b32 vcc_lo, s67
	s_cbranch_execnz .LBB25_7532
	s_branch .LBB25_7533
.LBB25_8002:
	v_bfe_u32 v3, v68, 20, 1
	s_mov_b32 s68, exec_lo
	s_delay_alu instid0(VALU_DEP_1) | instskip(NEXT) | instid1(VALU_DEP_1)
	v_add3_u32 v3, v68, v3, 0x487ffff
	v_lshrrev_b32_e32 v3, 20, v3
	s_or_saveexec_b32 s69, vcc_lo
                                        ; implicit-def: $vcc_lo
	s_delay_alu instid0(SALU_CYCLE_1)
	s_xor_b32 exec_lo, exec_lo, s69
	s_cbranch_execz .LBB25_7644
.LBB25_8003:
	v_add_f32_e64 v3, 0x46000000, |v68|
	s_and_not1_b32 s68, s68, exec_lo
	s_delay_alu instid0(VALU_DEP_1) | instskip(NEXT) | instid1(VALU_DEP_1)
	v_and_b32_e32 v3, 0xff, v3
	v_cmp_ne_u32_e32 vcc_lo, 0, v3
	s_and_b32 s70, vcc_lo, exec_lo
	s_mov_b32 vcc_lo, 0
	s_or_b32 s68, s68, s70
	s_or_b32 exec_lo, exec_lo, s69
	v_mov_b32_e32 v4, vcc_lo
	s_and_saveexec_b32 vcc_lo, s68
	s_cbranch_execnz .LBB25_7645
	s_branch .LBB25_7646
.LBB25_8004:
	v_bfe_u32 v3, v68, 21, 1
	s_mov_b32 s69, exec_lo
	s_delay_alu instid0(VALU_DEP_1) | instskip(NEXT) | instid1(VALU_DEP_1)
	v_add3_u32 v3, v68, v3, 0x88fffff
	v_lshrrev_b32_e32 v3, 21, v3
	s_or_saveexec_b32 s70, vcc_lo
                                        ; implicit-def: $vcc_lo
	s_delay_alu instid0(SALU_CYCLE_1)
	s_xor_b32 exec_lo, exec_lo, s70
	s_cbranch_execz .LBB25_7657
.LBB25_8005:
	v_add_f32_e64 v3, 0x42800000, |v68|
	s_and_not1_b32 s69, s69, exec_lo
	s_delay_alu instid0(VALU_DEP_1) | instskip(NEXT) | instid1(VALU_DEP_1)
	v_and_b32_e32 v3, 0xff, v3
	v_cmp_ne_u32_e32 vcc_lo, 0, v3
	s_and_b32 s71, vcc_lo, exec_lo
	s_mov_b32 vcc_lo, 0
	s_or_b32 s69, s69, s71
	s_or_b32 exec_lo, exec_lo, s70
	v_mov_b32_e32 v4, vcc_lo
	s_and_saveexec_b32 vcc_lo, s69
	s_cbranch_execnz .LBB25_7658
	s_branch .LBB25_7659
.LBB25_8006:
	v_bfe_u32 v3, v67, 20, 1
	s_mov_b32 s70, exec_lo
	s_delay_alu instid0(VALU_DEP_1) | instskip(NEXT) | instid1(VALU_DEP_1)
	v_add3_u32 v3, v67, v3, 0x487ffff
	v_lshrrev_b32_e32 v3, 20, v3
	s_or_saveexec_b32 s71, vcc_lo
                                        ; implicit-def: $vcc_lo
	s_delay_alu instid0(SALU_CYCLE_1)
	s_xor_b32 exec_lo, exec_lo, s71
	s_cbranch_execz .LBB25_7770
.LBB25_8007:
	v_add_f32_e64 v3, 0x46000000, |v67|
	s_and_not1_b32 s70, s70, exec_lo
	s_delay_alu instid0(VALU_DEP_1) | instskip(NEXT) | instid1(VALU_DEP_1)
	v_and_b32_e32 v3, 0xff, v3
	v_cmp_ne_u32_e32 vcc_lo, 0, v3
	s_and_b32 s72, vcc_lo, exec_lo
	s_mov_b32 vcc_lo, 0
	s_or_b32 s70, s70, s72
	s_or_b32 exec_lo, exec_lo, s71
	v_mov_b32_e32 v4, vcc_lo
	s_and_saveexec_b32 vcc_lo, s70
	s_cbranch_execnz .LBB25_7771
	s_branch .LBB25_7772
.LBB25_8008:
	v_bfe_u32 v3, v67, 21, 1
	s_mov_b32 s71, exec_lo
	s_delay_alu instid0(VALU_DEP_1) | instskip(NEXT) | instid1(VALU_DEP_1)
	v_add3_u32 v3, v67, v3, 0x88fffff
	v_lshrrev_b32_e32 v3, 21, v3
	s_or_saveexec_b32 s72, vcc_lo
                                        ; implicit-def: $vcc_lo
	s_delay_alu instid0(SALU_CYCLE_1)
	s_xor_b32 exec_lo, exec_lo, s72
	s_cbranch_execz .LBB25_7783
.LBB25_8009:
	v_add_f32_e64 v3, 0x42800000, |v67|
	s_and_not1_b32 s71, s71, exec_lo
	s_delay_alu instid0(VALU_DEP_1) | instskip(NEXT) | instid1(VALU_DEP_1)
	v_and_b32_e32 v3, 0xff, v3
	v_cmp_ne_u32_e32 vcc_lo, 0, v3
	s_and_b32 s73, vcc_lo, exec_lo
	s_mov_b32 vcc_lo, 0
	s_or_b32 s71, s71, s73
	s_or_b32 exec_lo, exec_lo, s72
	v_mov_b32_e32 v4, vcc_lo
	s_and_saveexec_b32 vcc_lo, s71
	s_cbranch_execnz .LBB25_7784
	s_branch .LBB25_7785
.LBB25_8010:
	v_bfe_u32 v3, v66, 20, 1
	s_mov_b32 s72, exec_lo
	s_delay_alu instid0(VALU_DEP_1) | instskip(NEXT) | instid1(VALU_DEP_1)
	v_add3_u32 v3, v66, v3, 0x487ffff
	v_lshrrev_b32_e32 v3, 20, v3
	s_or_saveexec_b32 s73, vcc_lo
                                        ; implicit-def: $vcc_lo
	s_delay_alu instid0(SALU_CYCLE_1)
	s_xor_b32 exec_lo, exec_lo, s73
	s_cbranch_execz .LBB25_7896
.LBB25_8011:
	v_add_f32_e64 v3, 0x46000000, |v66|
	s_and_not1_b32 s72, s72, exec_lo
	s_delay_alu instid0(VALU_DEP_1) | instskip(NEXT) | instid1(VALU_DEP_1)
	v_and_b32_e32 v3, 0xff, v3
	v_cmp_ne_u32_e32 vcc_lo, 0, v3
	s_and_b32 s74, vcc_lo, exec_lo
	s_mov_b32 vcc_lo, 0
	s_or_b32 s72, s72, s74
	s_or_b32 exec_lo, exec_lo, s73
	v_mov_b32_e32 v4, vcc_lo
	s_and_saveexec_b32 vcc_lo, s72
	s_cbranch_execnz .LBB25_7897
	s_branch .LBB25_7898
.LBB25_8012:
	v_bfe_u32 v1, v0, 20, 1
	s_mov_b32 s74, exec_lo
	s_delay_alu instid0(VALU_DEP_1) | instskip(NEXT) | instid1(VALU_DEP_1)
	v_add3_u32 v1, v0, v1, 0x487ffff
	v_lshrrev_b32_e32 v1, 20, v1
	s_or_saveexec_b32 s75, vcc_lo
                                        ; implicit-def: $vcc_lo
	s_delay_alu instid0(SALU_CYCLE_1)
	s_xor_b32 exec_lo, exec_lo, s75
	s_cbranch_execz .LBB25_4085
.LBB25_8013:
	v_add_f32_e64 v1, 0x46000000, |v0|
	s_and_not1_b32 s74, s74, exec_lo
	s_delay_alu instid0(VALU_DEP_1) | instskip(NEXT) | instid1(VALU_DEP_1)
	v_and_b32_e32 v1, 0xff, v1
	v_cmp_ne_u32_e32 vcc_lo, 0, v1
	s_and_b32 s76, vcc_lo, exec_lo
	s_mov_b32 vcc_lo, 0
	s_or_b32 s74, s74, s76
	s_or_b32 exec_lo, exec_lo, s75
	v_mov_b32_e32 v5, vcc_lo
	s_and_saveexec_b32 vcc_lo, s74
	s_cbranch_execnz .LBB25_4086
	s_branch .LBB25_4087
.LBB25_8014:
	v_bfe_u32 v3, v66, 21, 1
	s_mov_b32 s73, exec_lo
	s_delay_alu instid0(VALU_DEP_1) | instskip(NEXT) | instid1(VALU_DEP_1)
	v_add3_u32 v3, v66, v3, 0x88fffff
	v_lshrrev_b32_e32 v3, 21, v3
	s_or_saveexec_b32 s74, vcc_lo
                                        ; implicit-def: $vcc_lo
	s_delay_alu instid0(SALU_CYCLE_1)
	s_xor_b32 exec_lo, exec_lo, s74
	s_cbranch_execz .LBB25_7909
.LBB25_8015:
	v_add_f32_e64 v3, 0x42800000, |v66|
	s_and_not1_b32 s73, s73, exec_lo
	s_delay_alu instid0(VALU_DEP_1) | instskip(NEXT) | instid1(VALU_DEP_1)
	v_and_b32_e32 v3, 0xff, v3
	v_cmp_ne_u32_e32 vcc_lo, 0, v3
	s_and_b32 s75, vcc_lo, exec_lo
	s_mov_b32 vcc_lo, 0
	s_or_b32 s73, s73, s75
	s_or_b32 exec_lo, exec_lo, s74
	v_mov_b32_e32 v4, vcc_lo
	s_and_saveexec_b32 vcc_lo, s73
	s_cbranch_execnz .LBB25_7910
	s_branch .LBB25_7911
.LBB25_8016:
	v_bfe_u32 v1, v0, 21, 1
	s_mov_b32 s74, exec_lo
	s_delay_alu instid0(VALU_DEP_1) | instskip(NEXT) | instid1(VALU_DEP_1)
	v_add3_u32 v1, v0, v1, 0x88fffff
	v_lshrrev_b32_e32 v1, 21, v1
	s_or_saveexec_b32 s75, vcc_lo
                                        ; implicit-def: $vcc_lo
	s_delay_alu instid0(SALU_CYCLE_1)
	s_xor_b32 exec_lo, exec_lo, s75
	s_cbranch_execz .LBB25_4098
.LBB25_8017:
	v_add_f32_e64 v1, 0x42800000, |v0|
	s_and_not1_b32 s74, s74, exec_lo
	s_delay_alu instid0(VALU_DEP_1) | instskip(NEXT) | instid1(VALU_DEP_1)
	v_and_b32_e32 v1, 0xff, v1
	v_cmp_ne_u32_e32 vcc_lo, 0, v1
	s_and_b32 s76, vcc_lo, exec_lo
	s_mov_b32 vcc_lo, 0
	s_or_b32 s74, s74, s76
	s_or_b32 exec_lo, exec_lo, s75
	v_mov_b32_e32 v5, vcc_lo
	s_and_saveexec_b32 vcc_lo, s74
	s_cbranch_execnz .LBB25_4099
	s_branch .LBB25_4100
.Lfunc_end25:
	.size	_ZN2at6native25elementwise_kernel_helperILb1EN12_GLOBAL__N_110CalcIgammaIfEENS0_6memory8policies11unroll_baseILi512ESt5arrayIPcLm3EE23TrivialOffsetCalculatorILi2EjESB_ILi1EjENS5_12LoadWithCastILi2EEENS5_13StoreWithCastILi1EEELi32ELi1EEEEEvT0_T1_, .Lfunc_end25-_ZN2at6native25elementwise_kernel_helperILb1EN12_GLOBAL__N_110CalcIgammaIfEENS0_6memory8policies11unroll_baseILi512ESt5arrayIPcLm3EE23TrivialOffsetCalculatorILi2EjESB_ILi1EjENS5_12LoadWithCastILi2EEENS5_13StoreWithCastILi1EEELi32ELi1EEEEEvT0_T1_
                                        ; -- End function
	.section	.AMDGPU.csdata,"",@progbits
; Function info:
; codeLenInByte = 172156
; NumSgprs: 79
; NumVgprs: 147
; ScratchSize: 448
; MemoryBound: 1
	.section	.text._ZN2at6native39vectorized_templated_elementwise_kernelILi8EN12_GLOBAL__N_110CalcIgammaIfEESt5arrayIPcLm3EE23TrivialOffsetCalculatorILi2EjES8_ILi1EjENS0_6memory12LoadWithCastILi2EEENSB_13StoreWithCastILi1EEEfJfN3c108BFloat16EEEEviT0_T1_T2_T3_T4_T5_,"axG",@progbits,_ZN2at6native39vectorized_templated_elementwise_kernelILi8EN12_GLOBAL__N_110CalcIgammaIfEESt5arrayIPcLm3EE23TrivialOffsetCalculatorILi2EjES8_ILi1EjENS0_6memory12LoadWithCastILi2EEENSB_13StoreWithCastILi1EEEfJfN3c108BFloat16EEEEviT0_T1_T2_T3_T4_T5_,comdat
	.globl	_ZN2at6native39vectorized_templated_elementwise_kernelILi8EN12_GLOBAL__N_110CalcIgammaIfEESt5arrayIPcLm3EE23TrivialOffsetCalculatorILi2EjES8_ILi1EjENS0_6memory12LoadWithCastILi2EEENSB_13StoreWithCastILi1EEEfJfN3c108BFloat16EEEEviT0_T1_T2_T3_T4_T5_ ; -- Begin function _ZN2at6native39vectorized_templated_elementwise_kernelILi8EN12_GLOBAL__N_110CalcIgammaIfEESt5arrayIPcLm3EE23TrivialOffsetCalculatorILi2EjES8_ILi1EjENS0_6memory12LoadWithCastILi2EEENSB_13StoreWithCastILi1EEEfJfN3c108BFloat16EEEEviT0_T1_T2_T3_T4_T5_
	.p2align	8
	.type	_ZN2at6native39vectorized_templated_elementwise_kernelILi8EN12_GLOBAL__N_110CalcIgammaIfEESt5arrayIPcLm3EE23TrivialOffsetCalculatorILi2EjES8_ILi1EjENS0_6memory12LoadWithCastILi2EEENSB_13StoreWithCastILi1EEEfJfN3c108BFloat16EEEEviT0_T1_T2_T3_T4_T5_,@function
_ZN2at6native39vectorized_templated_elementwise_kernelILi8EN12_GLOBAL__N_110CalcIgammaIfEESt5arrayIPcLm3EE23TrivialOffsetCalculatorILi2EjES8_ILi1EjENS0_6memory12LoadWithCastILi2EEENSB_13StoreWithCastILi1EEEfJfN3c108BFloat16EEEEviT0_T1_T2_T3_T4_T5_: ; @_ZN2at6native39vectorized_templated_elementwise_kernelILi8EN12_GLOBAL__N_110CalcIgammaIfEESt5arrayIPcLm3EE23TrivialOffsetCalculatorILi2EjES8_ILi1EjENS0_6memory12LoadWithCastILi2EEENSB_13StoreWithCastILi1EEEfJfN3c108BFloat16EEEEviT0_T1_T2_T3_T4_T5_
; %bb.0:
	s_mov_b64 s[36:37], s[0:1]
	s_clause 0x1
	s_load_b64 s[2:3], s[0:1], 0x0
	s_load_b32 s0, s[0:1], 0x38
	s_clause 0x1
	s_load_b64 s[44:45], s[36:37], 0x18
	s_load_b128 s[40:43], s[36:37], 0x8
	v_mov_b32_e32 v46, v0
	s_mov_b32 s38, s15
	s_mov_b32 s32, 0
	s_waitcnt lgkmcnt(0)
	s_bitcmp1_b32 s3, 0
	s_cselect_b32 s49, -1, 0
	s_not_b32 s1, s15
	s_delay_alu instid0(SALU_CYCLE_1) | instskip(SKIP_2) | instid1(SALU_CYCLE_1)
	s_add_i32 s0, s0, s1
	s_mov_b32 s1, -1
	s_lshl_b32 s0, s0, 14
	s_sub_i32 s48, s2, s0
	s_delay_alu instid0(SALU_CYCLE_1)
	s_cmpk_gt_i32 s48, 0x3fff
	s_cbranch_scc1 .LBB26_3
; %bb.1:
	s_and_b32 vcc_lo, exec_lo, s1
	s_cbranch_vccnz .LBB26_132
.LBB26_2:
	s_endpgm
.LBB26_3:
	s_ashr_i32 s1, s0, 31
	v_lshlrev_b32_e32 v107, 5, v46
	s_lshl_b64 s[46:47], s[0:1], 2
	s_xor_b32 s50, s49, -1
	s_add_u32 s2, s42, s46
	s_addc_u32 s3, s43, s47
	v_add_co_u32 v2, s4, s2, v107
	s_delay_alu instid0(VALU_DEP_1) | instskip(SKIP_1) | instid1(VALU_DEP_3)
	v_add_co_ci_u32_e64 v3, null, s3, 0, s4
	v_or_b32_e32 v4, 0x400, v46
	v_add_co_u32 v0, vcc_lo, 0x4000, v2
	v_lshlrev_b32_e32 v5, 4, v46
	s_lshl_b64 s[0:1], s[0:1], 1
	v_add_co_ci_u32_e32 v1, vcc_lo, 0, v3, vcc_lo
	s_add_u32 s0, s44, s0
	v_lshlrev_b32_e32 v47, 5, v4
	s_clause 0x5
	global_load_b128 v[74:77], v107, s[2:3] offset:16
	global_load_b128 v[66:69], v107, s[2:3]
	global_load_b128 v[87:90], v[0:1], off
	global_load_b128 v[83:86], v[0:1], off offset:16
	global_load_b128 v[70:73], v47, s[2:3] offset:16
	global_load_b128 v[78:81], v47, s[2:3]
	s_addc_u32 s1, s45, s1
	v_add_co_u32 v6, s2, s0, v5
	v_add_co_u32 v0, vcc_lo, 0xc000, v2
	v_add_co_ci_u32_e64 v7, null, s1, 0, s2
	v_add_co_ci_u32_e32 v1, vcc_lo, 0, v3, vcc_lo
	s_delay_alu instid0(VALU_DEP_4) | instskip(NEXT) | instid1(VALU_DEP_3)
	v_add_co_u32 v2, vcc_lo, 0x2000, v6
	v_add_co_ci_u32_e32 v3, vcc_lo, 0, v7, vcc_lo
	v_lshlrev_b32_e32 v8, 4, v4
	v_add_co_u32 v4, vcc_lo, 0x6000, v6
	global_load_b128 v[103:106], v5, s[0:1]
	v_add_co_ci_u32_e32 v5, vcc_lo, 0, v7, vcc_lo
	s_clause 0x1
	global_load_b128 v[60:63], v[0:1], off
	global_load_b128 v[42:45], v[0:1], off offset:16
	s_clause 0x2
	global_load_b128 v[99:102], v[2:3], off
	global_load_b128 v[95:98], v8, s[0:1]
	global_load_b128 v[91:94], v[4:5], off
	s_and_b32 vcc_lo, exec_lo, s50
	s_mov_b32 s39, 0
	s_waitcnt vmcnt(5)
	v_lshlrev_b32_e32 v40, 16, v103
	s_cbranch_vccz .LBB26_5
; %bb.4:
	s_delay_alu instid0(VALU_DEP_1) | instskip(SKIP_3) | instid1(SALU_CYCLE_1)
	v_dual_mov_b32 v0, v66 :: v_dual_mov_b32 v1, v40
	s_getpc_b64 s[0:1]
	s_add_u32 s0, s0, _ZN12_GLOBAL__N_111calc_igammaIfEET_S1_S1_@rel32@lo+4
	s_addc_u32 s1, s1, _ZN12_GLOBAL__N_111calc_igammaIfEET_S1_S1_@rel32@hi+12
	s_swappc_b64 s[30:31], s[0:1]
	v_mov_b32_e32 v56, v0
	s_and_not1_b32 vcc_lo, exec_lo, s39
	s_cbranch_vccz .LBB26_6
	s_branch .LBB26_7
.LBB26_5:
                                        ; implicit-def: $vgpr56
.LBB26_6:
	s_delay_alu instid0(VALU_DEP_1) | instskip(SKIP_3) | instid1(SALU_CYCLE_1)
	v_dual_mov_b32 v0, v66 :: v_dual_mov_b32 v1, v40
	s_getpc_b64 s[0:1]
	s_add_u32 s0, s0, _ZN12_GLOBAL__N_112calc_igammacIfEET_S1_S1_@rel32@lo+4
	s_addc_u32 s1, s1, _ZN12_GLOBAL__N_112calc_igammacIfEET_S1_S1_@rel32@hi+12
	s_swappc_b64 s[30:31], s[0:1]
	v_mov_b32_e32 v56, v0
.LBB26_7:
	v_cndmask_b32_e64 v0, 0, 1, s50
	v_and_b32_e32 v40, 0xffff0000, v103
	s_and_not1_b32 vcc_lo, exec_lo, s50
	s_delay_alu instid0(VALU_DEP_2)
	v_cmp_ne_u32_e64 s39, 1, v0
	s_cbranch_vccnz .LBB26_9
; %bb.8:
	s_delay_alu instid0(VALU_DEP_2) | instskip(SKIP_3) | instid1(SALU_CYCLE_1)
	v_dual_mov_b32 v0, v67 :: v_dual_mov_b32 v1, v40
	s_getpc_b64 s[0:1]
	s_add_u32 s0, s0, _ZN12_GLOBAL__N_111calc_igammaIfEET_S1_S1_@rel32@lo+4
	s_addc_u32 s1, s1, _ZN12_GLOBAL__N_111calc_igammaIfEET_S1_S1_@rel32@hi+12
	s_swappc_b64 s[30:31], s[0:1]
	v_mov_b32_e32 v57, v0
	s_cbranch_execz .LBB26_10
	s_branch .LBB26_11
.LBB26_9:
.LBB26_10:
	s_delay_alu instid0(VALU_DEP_2) | instskip(SKIP_3) | instid1(SALU_CYCLE_1)
	v_dual_mov_b32 v0, v67 :: v_dual_mov_b32 v1, v40
	s_getpc_b64 s[0:1]
	s_add_u32 s0, s0, _ZN12_GLOBAL__N_112calc_igammacIfEET_S1_S1_@rel32@lo+4
	s_addc_u32 s1, s1, _ZN12_GLOBAL__N_112calc_igammacIfEET_S1_S1_@rel32@hi+12
	s_swappc_b64 s[30:31], s[0:1]
	v_mov_b32_e32 v57, v0
.LBB26_11:
	v_lshlrev_b32_e32 v40, 16, v104
	s_and_b32 vcc_lo, exec_lo, s39
	s_cbranch_vccnz .LBB26_13
; %bb.12:
	v_mov_b32_e32 v0, v68
	s_delay_alu instid0(VALU_DEP_2) | instskip(SKIP_3) | instid1(SALU_CYCLE_1)
	v_mov_b32_e32 v1, v40
	s_getpc_b64 s[0:1]
	s_add_u32 s0, s0, _ZN12_GLOBAL__N_111calc_igammaIfEET_S1_S1_@rel32@lo+4
	s_addc_u32 s1, s1, _ZN12_GLOBAL__N_111calc_igammaIfEET_S1_S1_@rel32@hi+12
	s_swappc_b64 s[30:31], s[0:1]
	v_mov_b32_e32 v58, v0
	s_cbranch_execz .LBB26_14
	s_branch .LBB26_15
.LBB26_13:
.LBB26_14:
	v_mov_b32_e32 v0, v68
	s_delay_alu instid0(VALU_DEP_2) | instskip(SKIP_3) | instid1(SALU_CYCLE_1)
	v_mov_b32_e32 v1, v40
	s_getpc_b64 s[0:1]
	s_add_u32 s0, s0, _ZN12_GLOBAL__N_112calc_igammacIfEET_S1_S1_@rel32@lo+4
	s_addc_u32 s1, s1, _ZN12_GLOBAL__N_112calc_igammacIfEET_S1_S1_@rel32@hi+12
	s_swappc_b64 s[30:31], s[0:1]
	v_mov_b32_e32 v58, v0
.LBB26_15:
	v_and_b32_e32 v40, 0xffff0000, v104
	s_and_b32 vcc_lo, exec_lo, s39
	s_cbranch_vccnz .LBB26_17
; %bb.16:
	s_delay_alu instid0(VALU_DEP_1) | instskip(SKIP_3) | instid1(SALU_CYCLE_1)
	v_dual_mov_b32 v0, v69 :: v_dual_mov_b32 v1, v40
	s_getpc_b64 s[0:1]
	s_add_u32 s0, s0, _ZN12_GLOBAL__N_111calc_igammaIfEET_S1_S1_@rel32@lo+4
	s_addc_u32 s1, s1, _ZN12_GLOBAL__N_111calc_igammaIfEET_S1_S1_@rel32@hi+12
	s_swappc_b64 s[30:31], s[0:1]
	v_mov_b32_e32 v59, v0
	s_cbranch_execz .LBB26_18
	s_branch .LBB26_19
.LBB26_17:
.LBB26_18:
	s_delay_alu instid0(VALU_DEP_1) | instskip(SKIP_3) | instid1(SALU_CYCLE_1)
	v_dual_mov_b32 v0, v69 :: v_dual_mov_b32 v1, v40
	s_getpc_b64 s[0:1]
	s_add_u32 s0, s0, _ZN12_GLOBAL__N_112calc_igammacIfEET_S1_S1_@rel32@lo+4
	s_addc_u32 s1, s1, _ZN12_GLOBAL__N_112calc_igammacIfEET_S1_S1_@rel32@hi+12
	s_swappc_b64 s[30:31], s[0:1]
	v_mov_b32_e32 v59, v0
.LBB26_19:
	v_lshlrev_b32_e32 v40, 16, v105
	s_and_b32 vcc_lo, exec_lo, s39
	s_cbranch_vccnz .LBB26_21
; %bb.20:
	s_delay_alu instid0(VALU_DEP_1) | instskip(SKIP_3) | instid1(SALU_CYCLE_1)
	v_dual_mov_b32 v0, v74 :: v_dual_mov_b32 v1, v40
	s_getpc_b64 s[0:1]
	s_add_u32 s0, s0, _ZN12_GLOBAL__N_111calc_igammaIfEET_S1_S1_@rel32@lo+4
	s_addc_u32 s1, s1, _ZN12_GLOBAL__N_111calc_igammaIfEET_S1_S1_@rel32@hi+12
	s_swappc_b64 s[30:31], s[0:1]
	v_mov_b32_e32 v66, v0
	s_cbranch_execz .LBB26_22
	s_branch .LBB26_23
.LBB26_21:
                                        ; implicit-def: $vgpr66
.LBB26_22:
	s_delay_alu instid0(VALU_DEP_1) | instskip(SKIP_3) | instid1(SALU_CYCLE_1)
	v_dual_mov_b32 v0, v74 :: v_dual_mov_b32 v1, v40
	s_getpc_b64 s[0:1]
	s_add_u32 s0, s0, _ZN12_GLOBAL__N_112calc_igammacIfEET_S1_S1_@rel32@lo+4
	s_addc_u32 s1, s1, _ZN12_GLOBAL__N_112calc_igammacIfEET_S1_S1_@rel32@hi+12
	s_swappc_b64 s[30:31], s[0:1]
	v_mov_b32_e32 v66, v0
.LBB26_23:
	v_and_b32_e32 v40, 0xffff0000, v105
	s_and_b32 vcc_lo, exec_lo, s39
	s_cbranch_vccnz .LBB26_25
; %bb.24:
	s_delay_alu instid0(VALU_DEP_1) | instskip(SKIP_3) | instid1(SALU_CYCLE_1)
	v_dual_mov_b32 v0, v75 :: v_dual_mov_b32 v1, v40
	s_getpc_b64 s[0:1]
	s_add_u32 s0, s0, _ZN12_GLOBAL__N_111calc_igammaIfEET_S1_S1_@rel32@lo+4
	s_addc_u32 s1, s1, _ZN12_GLOBAL__N_111calc_igammaIfEET_S1_S1_@rel32@hi+12
	s_swappc_b64 s[30:31], s[0:1]
	v_mov_b32_e32 v67, v0
	s_cbranch_execz .LBB26_26
	s_branch .LBB26_27
.LBB26_25:
.LBB26_26:
	s_delay_alu instid0(VALU_DEP_1) | instskip(SKIP_3) | instid1(SALU_CYCLE_1)
	v_dual_mov_b32 v0, v75 :: v_dual_mov_b32 v1, v40
	s_getpc_b64 s[0:1]
	s_add_u32 s0, s0, _ZN12_GLOBAL__N_112calc_igammacIfEET_S1_S1_@rel32@lo+4
	s_addc_u32 s1, s1, _ZN12_GLOBAL__N_112calc_igammacIfEET_S1_S1_@rel32@hi+12
	s_swappc_b64 s[30:31], s[0:1]
	v_mov_b32_e32 v67, v0
.LBB26_27:
	v_lshlrev_b32_e32 v40, 16, v106
	s_and_b32 vcc_lo, exec_lo, s39
	s_cbranch_vccnz .LBB26_29
; %bb.28:
	v_mov_b32_e32 v0, v76
	s_delay_alu instid0(VALU_DEP_2) | instskip(SKIP_3) | instid1(SALU_CYCLE_1)
	v_mov_b32_e32 v1, v40
	s_getpc_b64 s[0:1]
	s_add_u32 s0, s0, _ZN12_GLOBAL__N_111calc_igammaIfEET_S1_S1_@rel32@lo+4
	s_addc_u32 s1, s1, _ZN12_GLOBAL__N_111calc_igammaIfEET_S1_S1_@rel32@hi+12
	s_swappc_b64 s[30:31], s[0:1]
	v_mov_b32_e32 v68, v0
	s_cbranch_execz .LBB26_30
	s_branch .LBB26_31
.LBB26_29:
.LBB26_30:
	v_mov_b32_e32 v0, v76
	s_delay_alu instid0(VALU_DEP_2) | instskip(SKIP_3) | instid1(SALU_CYCLE_1)
	v_mov_b32_e32 v1, v40
	s_getpc_b64 s[0:1]
	s_add_u32 s0, s0, _ZN12_GLOBAL__N_112calc_igammacIfEET_S1_S1_@rel32@lo+4
	s_addc_u32 s1, s1, _ZN12_GLOBAL__N_112calc_igammacIfEET_S1_S1_@rel32@hi+12
	s_swappc_b64 s[30:31], s[0:1]
	v_mov_b32_e32 v68, v0
.LBB26_31:
	v_and_b32_e32 v40, 0xffff0000, v106
	s_and_b32 vcc_lo, exec_lo, s39
	s_cbranch_vccnz .LBB26_33
; %bb.32:
	s_delay_alu instid0(VALU_DEP_1) | instskip(SKIP_3) | instid1(SALU_CYCLE_1)
	v_dual_mov_b32 v0, v77 :: v_dual_mov_b32 v1, v40
	s_getpc_b64 s[0:1]
	s_add_u32 s0, s0, _ZN12_GLOBAL__N_111calc_igammaIfEET_S1_S1_@rel32@lo+4
	s_addc_u32 s1, s1, _ZN12_GLOBAL__N_111calc_igammaIfEET_S1_S1_@rel32@hi+12
	s_swappc_b64 s[30:31], s[0:1]
	v_mov_b32_e32 v69, v0
	s_cbranch_execz .LBB26_34
	s_branch .LBB26_35
.LBB26_33:
.LBB26_34:
	s_delay_alu instid0(VALU_DEP_1) | instskip(SKIP_3) | instid1(SALU_CYCLE_1)
	v_dual_mov_b32 v0, v77 :: v_dual_mov_b32 v1, v40
	s_getpc_b64 s[0:1]
	s_add_u32 s0, s0, _ZN12_GLOBAL__N_112calc_igammacIfEET_S1_S1_@rel32@lo+4
	s_addc_u32 s1, s1, _ZN12_GLOBAL__N_112calc_igammacIfEET_S1_S1_@rel32@hi+12
	s_swappc_b64 s[30:31], s[0:1]
	v_mov_b32_e32 v69, v0
.LBB26_35:
	s_waitcnt vmcnt(2)
	v_lshlrev_b32_e32 v40, 16, v99
	s_and_b32 vcc_lo, exec_lo, s39
	s_cbranch_vccnz .LBB26_37
; %bb.36:
	s_delay_alu instid0(VALU_DEP_1) | instskip(SKIP_3) | instid1(SALU_CYCLE_1)
	v_dual_mov_b32 v0, v87 :: v_dual_mov_b32 v1, v40
	s_getpc_b64 s[0:1]
	s_add_u32 s0, s0, _ZN12_GLOBAL__N_111calc_igammaIfEET_S1_S1_@rel32@lo+4
	s_addc_u32 s1, s1, _ZN12_GLOBAL__N_111calc_igammaIfEET_S1_S1_@rel32@hi+12
	s_swappc_b64 s[30:31], s[0:1]
	v_mov_b32_e32 v74, v0
	s_cbranch_execz .LBB26_38
	s_branch .LBB26_39
.LBB26_37:
                                        ; implicit-def: $vgpr74
.LBB26_38:
	s_delay_alu instid0(VALU_DEP_1) | instskip(SKIP_3) | instid1(SALU_CYCLE_1)
	v_dual_mov_b32 v0, v87 :: v_dual_mov_b32 v1, v40
	s_getpc_b64 s[0:1]
	s_add_u32 s0, s0, _ZN12_GLOBAL__N_112calc_igammacIfEET_S1_S1_@rel32@lo+4
	s_addc_u32 s1, s1, _ZN12_GLOBAL__N_112calc_igammacIfEET_S1_S1_@rel32@hi+12
	s_swappc_b64 s[30:31], s[0:1]
	v_mov_b32_e32 v74, v0
.LBB26_39:
	v_and_b32_e32 v40, 0xffff0000, v99
	s_and_b32 vcc_lo, exec_lo, s39
	s_cbranch_vccnz .LBB26_41
; %bb.40:
	v_mov_b32_e32 v0, v88
	s_delay_alu instid0(VALU_DEP_2) | instskip(SKIP_3) | instid1(SALU_CYCLE_1)
	v_mov_b32_e32 v1, v40
	s_getpc_b64 s[0:1]
	s_add_u32 s0, s0, _ZN12_GLOBAL__N_111calc_igammaIfEET_S1_S1_@rel32@lo+4
	s_addc_u32 s1, s1, _ZN12_GLOBAL__N_111calc_igammaIfEET_S1_S1_@rel32@hi+12
	s_swappc_b64 s[30:31], s[0:1]
	v_mov_b32_e32 v75, v0
	s_cbranch_execz .LBB26_42
	s_branch .LBB26_43
.LBB26_41:
.LBB26_42:
	v_mov_b32_e32 v0, v88
	s_delay_alu instid0(VALU_DEP_2) | instskip(SKIP_3) | instid1(SALU_CYCLE_1)
	v_mov_b32_e32 v1, v40
	s_getpc_b64 s[0:1]
	s_add_u32 s0, s0, _ZN12_GLOBAL__N_112calc_igammacIfEET_S1_S1_@rel32@lo+4
	s_addc_u32 s1, s1, _ZN12_GLOBAL__N_112calc_igammacIfEET_S1_S1_@rel32@hi+12
	s_swappc_b64 s[30:31], s[0:1]
	v_mov_b32_e32 v75, v0
.LBB26_43:
	v_lshlrev_b32_e32 v40, 16, v100
	s_and_b32 vcc_lo, exec_lo, s39
	s_cbranch_vccnz .LBB26_45
; %bb.44:
	s_delay_alu instid0(VALU_DEP_1) | instskip(SKIP_3) | instid1(SALU_CYCLE_1)
	v_dual_mov_b32 v0, v89 :: v_dual_mov_b32 v1, v40
	s_getpc_b64 s[0:1]
	s_add_u32 s0, s0, _ZN12_GLOBAL__N_111calc_igammaIfEET_S1_S1_@rel32@lo+4
	s_addc_u32 s1, s1, _ZN12_GLOBAL__N_111calc_igammaIfEET_S1_S1_@rel32@hi+12
	s_swappc_b64 s[30:31], s[0:1]
	v_mov_b32_e32 v76, v0
	s_cbranch_execz .LBB26_46
	s_branch .LBB26_47
.LBB26_45:
.LBB26_46:
	s_delay_alu instid0(VALU_DEP_1) | instskip(SKIP_3) | instid1(SALU_CYCLE_1)
	v_dual_mov_b32 v0, v89 :: v_dual_mov_b32 v1, v40
	s_getpc_b64 s[0:1]
	s_add_u32 s0, s0, _ZN12_GLOBAL__N_112calc_igammacIfEET_S1_S1_@rel32@lo+4
	s_addc_u32 s1, s1, _ZN12_GLOBAL__N_112calc_igammacIfEET_S1_S1_@rel32@hi+12
	s_swappc_b64 s[30:31], s[0:1]
	v_mov_b32_e32 v76, v0
.LBB26_47:
	v_and_b32_e32 v40, 0xffff0000, v100
	s_and_b32 vcc_lo, exec_lo, s39
	s_cbranch_vccnz .LBB26_49
; %bb.48:
	s_delay_alu instid0(VALU_DEP_1) | instskip(SKIP_3) | instid1(SALU_CYCLE_1)
	v_dual_mov_b32 v0, v90 :: v_dual_mov_b32 v1, v40
	s_getpc_b64 s[0:1]
	s_add_u32 s0, s0, _ZN12_GLOBAL__N_111calc_igammaIfEET_S1_S1_@rel32@lo+4
	s_addc_u32 s1, s1, _ZN12_GLOBAL__N_111calc_igammaIfEET_S1_S1_@rel32@hi+12
	s_swappc_b64 s[30:31], s[0:1]
	v_mov_b32_e32 v77, v0
	s_cbranch_execz .LBB26_50
	s_branch .LBB26_51
.LBB26_49:
.LBB26_50:
	s_delay_alu instid0(VALU_DEP_1) | instskip(SKIP_3) | instid1(SALU_CYCLE_1)
	v_dual_mov_b32 v0, v90 :: v_dual_mov_b32 v1, v40
	s_getpc_b64 s[0:1]
	s_add_u32 s0, s0, _ZN12_GLOBAL__N_112calc_igammacIfEET_S1_S1_@rel32@lo+4
	s_addc_u32 s1, s1, _ZN12_GLOBAL__N_112calc_igammacIfEET_S1_S1_@rel32@hi+12
	s_swappc_b64 s[30:31], s[0:1]
	v_mov_b32_e32 v77, v0
.LBB26_51:
	v_lshlrev_b32_e32 v40, 16, v101
	s_and_b32 vcc_lo, exec_lo, s39
	s_cbranch_vccnz .LBB26_53
; %bb.52:
	s_delay_alu instid0(VALU_DEP_1) | instskip(SKIP_3) | instid1(SALU_CYCLE_1)
	v_dual_mov_b32 v0, v83 :: v_dual_mov_b32 v1, v40
	s_getpc_b64 s[0:1]
	s_add_u32 s0, s0, _ZN12_GLOBAL__N_111calc_igammaIfEET_S1_S1_@rel32@lo+4
	s_addc_u32 s1, s1, _ZN12_GLOBAL__N_111calc_igammaIfEET_S1_S1_@rel32@hi+12
	s_swappc_b64 s[30:31], s[0:1]
	v_mov_b32_e32 v82, v0
	s_cbranch_execz .LBB26_54
	s_branch .LBB26_55
.LBB26_53:
                                        ; implicit-def: $vgpr82
.LBB26_54:
	s_delay_alu instid0(VALU_DEP_1) | instskip(SKIP_3) | instid1(SALU_CYCLE_1)
	v_dual_mov_b32 v0, v83 :: v_dual_mov_b32 v1, v40
	s_getpc_b64 s[0:1]
	s_add_u32 s0, s0, _ZN12_GLOBAL__N_112calc_igammacIfEET_S1_S1_@rel32@lo+4
	s_addc_u32 s1, s1, _ZN12_GLOBAL__N_112calc_igammacIfEET_S1_S1_@rel32@hi+12
	s_swappc_b64 s[30:31], s[0:1]
	v_mov_b32_e32 v82, v0
.LBB26_55:
	v_and_b32_e32 v40, 0xffff0000, v101
	s_and_b32 vcc_lo, exec_lo, s39
	s_cbranch_vccnz .LBB26_57
; %bb.56:
	v_mov_b32_e32 v0, v84
	s_delay_alu instid0(VALU_DEP_2) | instskip(SKIP_3) | instid1(SALU_CYCLE_1)
	v_mov_b32_e32 v1, v40
	s_getpc_b64 s[0:1]
	s_add_u32 s0, s0, _ZN12_GLOBAL__N_111calc_igammaIfEET_S1_S1_@rel32@lo+4
	s_addc_u32 s1, s1, _ZN12_GLOBAL__N_111calc_igammaIfEET_S1_S1_@rel32@hi+12
	s_swappc_b64 s[30:31], s[0:1]
	v_mov_b32_e32 v83, v0
	s_cbranch_execz .LBB26_58
	s_branch .LBB26_59
.LBB26_57:
.LBB26_58:
	v_mov_b32_e32 v0, v84
	s_delay_alu instid0(VALU_DEP_2) | instskip(SKIP_3) | instid1(SALU_CYCLE_1)
	v_mov_b32_e32 v1, v40
	s_getpc_b64 s[0:1]
	s_add_u32 s0, s0, _ZN12_GLOBAL__N_112calc_igammacIfEET_S1_S1_@rel32@lo+4
	s_addc_u32 s1, s1, _ZN12_GLOBAL__N_112calc_igammacIfEET_S1_S1_@rel32@hi+12
	s_swappc_b64 s[30:31], s[0:1]
	v_mov_b32_e32 v83, v0
.LBB26_59:
	v_lshlrev_b32_e32 v40, 16, v102
	s_and_b32 vcc_lo, exec_lo, s39
	s_cbranch_vccnz .LBB26_61
; %bb.60:
	s_delay_alu instid0(VALU_DEP_1) | instskip(SKIP_3) | instid1(SALU_CYCLE_1)
	v_dual_mov_b32 v0, v85 :: v_dual_mov_b32 v1, v40
	s_getpc_b64 s[0:1]
	s_add_u32 s0, s0, _ZN12_GLOBAL__N_111calc_igammaIfEET_S1_S1_@rel32@lo+4
	s_addc_u32 s1, s1, _ZN12_GLOBAL__N_111calc_igammaIfEET_S1_S1_@rel32@hi+12
	s_swappc_b64 s[30:31], s[0:1]
	v_mov_b32_e32 v84, v0
	s_cbranch_execz .LBB26_62
	s_branch .LBB26_63
.LBB26_61:
.LBB26_62:
	s_delay_alu instid0(VALU_DEP_1) | instskip(SKIP_3) | instid1(SALU_CYCLE_1)
	v_dual_mov_b32 v0, v85 :: v_dual_mov_b32 v1, v40
	s_getpc_b64 s[0:1]
	s_add_u32 s0, s0, _ZN12_GLOBAL__N_112calc_igammacIfEET_S1_S1_@rel32@lo+4
	s_addc_u32 s1, s1, _ZN12_GLOBAL__N_112calc_igammacIfEET_S1_S1_@rel32@hi+12
	s_swappc_b64 s[30:31], s[0:1]
	v_mov_b32_e32 v84, v0
.LBB26_63:
	v_and_b32_e32 v40, 0xffff0000, v102
	s_and_b32 vcc_lo, exec_lo, s39
	s_cbranch_vccnz .LBB26_65
; %bb.64:
	s_delay_alu instid0(VALU_DEP_1) | instskip(SKIP_3) | instid1(SALU_CYCLE_1)
	v_dual_mov_b32 v0, v86 :: v_dual_mov_b32 v1, v40
	s_getpc_b64 s[0:1]
	s_add_u32 s0, s0, _ZN12_GLOBAL__N_111calc_igammaIfEET_S1_S1_@rel32@lo+4
	s_addc_u32 s1, s1, _ZN12_GLOBAL__N_111calc_igammaIfEET_S1_S1_@rel32@hi+12
	s_swappc_b64 s[30:31], s[0:1]
	v_mov_b32_e32 v85, v0
	s_cbranch_execz .LBB26_66
	s_branch .LBB26_67
.LBB26_65:
.LBB26_66:
	s_delay_alu instid0(VALU_DEP_1) | instskip(SKIP_3) | instid1(SALU_CYCLE_1)
	v_dual_mov_b32 v0, v86 :: v_dual_mov_b32 v1, v40
	s_getpc_b64 s[0:1]
	s_add_u32 s0, s0, _ZN12_GLOBAL__N_112calc_igammacIfEET_S1_S1_@rel32@lo+4
	s_addc_u32 s1, s1, _ZN12_GLOBAL__N_112calc_igammacIfEET_S1_S1_@rel32@hi+12
	s_swappc_b64 s[30:31], s[0:1]
	v_mov_b32_e32 v85, v0
.LBB26_67:
	s_waitcnt vmcnt(1)
	v_lshlrev_b32_e32 v40, 16, v95
	s_and_b32 vcc_lo, exec_lo, s39
	s_cbranch_vccnz .LBB26_69
; %bb.68:
	s_delay_alu instid0(VALU_DEP_1) | instskip(SKIP_3) | instid1(SALU_CYCLE_1)
	v_dual_mov_b32 v0, v78 :: v_dual_mov_b32 v1, v40
	s_getpc_b64 s[0:1]
	s_add_u32 s0, s0, _ZN12_GLOBAL__N_111calc_igammaIfEET_S1_S1_@rel32@lo+4
	s_addc_u32 s1, s1, _ZN12_GLOBAL__N_111calc_igammaIfEET_S1_S1_@rel32@hi+12
	s_swappc_b64 s[30:31], s[0:1]
	v_mov_b32_e32 v86, v0
	s_cbranch_execz .LBB26_70
	s_branch .LBB26_71
.LBB26_69:
                                        ; implicit-def: $vgpr86
.LBB26_70:
	s_delay_alu instid0(VALU_DEP_1) | instskip(SKIP_3) | instid1(SALU_CYCLE_1)
	v_dual_mov_b32 v0, v78 :: v_dual_mov_b32 v1, v40
	s_getpc_b64 s[0:1]
	s_add_u32 s0, s0, _ZN12_GLOBAL__N_112calc_igammacIfEET_S1_S1_@rel32@lo+4
	s_addc_u32 s1, s1, _ZN12_GLOBAL__N_112calc_igammacIfEET_S1_S1_@rel32@hi+12
	s_swappc_b64 s[30:31], s[0:1]
	v_mov_b32_e32 v86, v0
.LBB26_71:
	v_and_b32_e32 v40, 0xffff0000, v95
	s_and_b32 vcc_lo, exec_lo, s39
	s_cbranch_vccnz .LBB26_73
; %bb.72:
	s_delay_alu instid0(VALU_DEP_1) | instskip(SKIP_3) | instid1(SALU_CYCLE_1)
	v_dual_mov_b32 v0, v79 :: v_dual_mov_b32 v1, v40
	s_getpc_b64 s[0:1]
	s_add_u32 s0, s0, _ZN12_GLOBAL__N_111calc_igammaIfEET_S1_S1_@rel32@lo+4
	s_addc_u32 s1, s1, _ZN12_GLOBAL__N_111calc_igammaIfEET_S1_S1_@rel32@hi+12
	s_swappc_b64 s[30:31], s[0:1]
	v_mov_b32_e32 v87, v0
	s_cbranch_execz .LBB26_74
	s_branch .LBB26_75
.LBB26_73:
.LBB26_74:
	s_delay_alu instid0(VALU_DEP_1) | instskip(SKIP_3) | instid1(SALU_CYCLE_1)
	v_dual_mov_b32 v0, v79 :: v_dual_mov_b32 v1, v40
	s_getpc_b64 s[0:1]
	s_add_u32 s0, s0, _ZN12_GLOBAL__N_112calc_igammacIfEET_S1_S1_@rel32@lo+4
	s_addc_u32 s1, s1, _ZN12_GLOBAL__N_112calc_igammacIfEET_S1_S1_@rel32@hi+12
	s_swappc_b64 s[30:31], s[0:1]
	v_mov_b32_e32 v87, v0
.LBB26_75:
	v_lshlrev_b32_e32 v40, 16, v96
	s_and_b32 vcc_lo, exec_lo, s39
	s_cbranch_vccnz .LBB26_77
; %bb.76:
	v_mov_b32_e32 v0, v80
	s_delay_alu instid0(VALU_DEP_2) | instskip(SKIP_3) | instid1(SALU_CYCLE_1)
	v_mov_b32_e32 v1, v40
	s_getpc_b64 s[0:1]
	s_add_u32 s0, s0, _ZN12_GLOBAL__N_111calc_igammaIfEET_S1_S1_@rel32@lo+4
	s_addc_u32 s1, s1, _ZN12_GLOBAL__N_111calc_igammaIfEET_S1_S1_@rel32@hi+12
	s_swappc_b64 s[30:31], s[0:1]
	v_mov_b32_e32 v88, v0
	s_cbranch_execz .LBB26_78
	s_branch .LBB26_79
.LBB26_77:
.LBB26_78:
	v_mov_b32_e32 v0, v80
	s_delay_alu instid0(VALU_DEP_2) | instskip(SKIP_3) | instid1(SALU_CYCLE_1)
	v_mov_b32_e32 v1, v40
	s_getpc_b64 s[0:1]
	s_add_u32 s0, s0, _ZN12_GLOBAL__N_112calc_igammacIfEET_S1_S1_@rel32@lo+4
	s_addc_u32 s1, s1, _ZN12_GLOBAL__N_112calc_igammacIfEET_S1_S1_@rel32@hi+12
	s_swappc_b64 s[30:31], s[0:1]
	v_mov_b32_e32 v88, v0
.LBB26_79:
	v_and_b32_e32 v40, 0xffff0000, v96
	s_and_b32 vcc_lo, exec_lo, s39
	s_cbranch_vccnz .LBB26_81
; %bb.80:
	s_delay_alu instid0(VALU_DEP_1) | instskip(SKIP_3) | instid1(SALU_CYCLE_1)
	v_dual_mov_b32 v0, v81 :: v_dual_mov_b32 v1, v40
	s_getpc_b64 s[0:1]
	s_add_u32 s0, s0, _ZN12_GLOBAL__N_111calc_igammaIfEET_S1_S1_@rel32@lo+4
	s_addc_u32 s1, s1, _ZN12_GLOBAL__N_111calc_igammaIfEET_S1_S1_@rel32@hi+12
	s_swappc_b64 s[30:31], s[0:1]
	v_mov_b32_e32 v89, v0
	s_cbranch_execz .LBB26_82
	s_branch .LBB26_83
.LBB26_81:
.LBB26_82:
	s_delay_alu instid0(VALU_DEP_1) | instskip(SKIP_3) | instid1(SALU_CYCLE_1)
	v_dual_mov_b32 v0, v81 :: v_dual_mov_b32 v1, v40
	s_getpc_b64 s[0:1]
	s_add_u32 s0, s0, _ZN12_GLOBAL__N_112calc_igammacIfEET_S1_S1_@rel32@lo+4
	s_addc_u32 s1, s1, _ZN12_GLOBAL__N_112calc_igammacIfEET_S1_S1_@rel32@hi+12
	s_swappc_b64 s[30:31], s[0:1]
	v_mov_b32_e32 v89, v0
.LBB26_83:
	v_lshlrev_b32_e32 v40, 16, v97
	s_and_b32 vcc_lo, exec_lo, s39
	s_cbranch_vccnz .LBB26_85
; %bb.84:
	s_delay_alu instid0(VALU_DEP_1) | instskip(SKIP_3) | instid1(SALU_CYCLE_1)
	v_dual_mov_b32 v0, v70 :: v_dual_mov_b32 v1, v40
	s_getpc_b64 s[0:1]
	s_add_u32 s0, s0, _ZN12_GLOBAL__N_111calc_igammaIfEET_S1_S1_@rel32@lo+4
	s_addc_u32 s1, s1, _ZN12_GLOBAL__N_111calc_igammaIfEET_S1_S1_@rel32@hi+12
	s_swappc_b64 s[30:31], s[0:1]
	v_mov_b32_e32 v78, v0
	s_cbranch_execz .LBB26_86
	s_branch .LBB26_87
.LBB26_85:
                                        ; implicit-def: $vgpr78
.LBB26_86:
	s_delay_alu instid0(VALU_DEP_1) | instskip(SKIP_3) | instid1(SALU_CYCLE_1)
	v_dual_mov_b32 v0, v70 :: v_dual_mov_b32 v1, v40
	s_getpc_b64 s[0:1]
	s_add_u32 s0, s0, _ZN12_GLOBAL__N_112calc_igammacIfEET_S1_S1_@rel32@lo+4
	s_addc_u32 s1, s1, _ZN12_GLOBAL__N_112calc_igammacIfEET_S1_S1_@rel32@hi+12
	s_swappc_b64 s[30:31], s[0:1]
	v_mov_b32_e32 v78, v0
.LBB26_87:
	v_and_b32_e32 v40, 0xffff0000, v97
	s_and_b32 vcc_lo, exec_lo, s39
	s_cbranch_vccnz .LBB26_89
; %bb.88:
	s_delay_alu instid0(VALU_DEP_1) | instskip(SKIP_3) | instid1(SALU_CYCLE_1)
	v_dual_mov_b32 v0, v71 :: v_dual_mov_b32 v1, v40
	s_getpc_b64 s[0:1]
	s_add_u32 s0, s0, _ZN12_GLOBAL__N_111calc_igammaIfEET_S1_S1_@rel32@lo+4
	s_addc_u32 s1, s1, _ZN12_GLOBAL__N_111calc_igammaIfEET_S1_S1_@rel32@hi+12
	s_swappc_b64 s[30:31], s[0:1]
	v_mov_b32_e32 v79, v0
	s_cbranch_execz .LBB26_90
	s_branch .LBB26_91
.LBB26_89:
.LBB26_90:
	s_delay_alu instid0(VALU_DEP_1) | instskip(SKIP_3) | instid1(SALU_CYCLE_1)
	v_dual_mov_b32 v0, v71 :: v_dual_mov_b32 v1, v40
	s_getpc_b64 s[0:1]
	s_add_u32 s0, s0, _ZN12_GLOBAL__N_112calc_igammacIfEET_S1_S1_@rel32@lo+4
	s_addc_u32 s1, s1, _ZN12_GLOBAL__N_112calc_igammacIfEET_S1_S1_@rel32@hi+12
	s_swappc_b64 s[30:31], s[0:1]
	v_mov_b32_e32 v79, v0
.LBB26_91:
	v_lshlrev_b32_e32 v40, 16, v98
	s_and_b32 vcc_lo, exec_lo, s39
	s_cbranch_vccnz .LBB26_93
; %bb.92:
	v_mov_b32_e32 v0, v72
	s_delay_alu instid0(VALU_DEP_2) | instskip(SKIP_3) | instid1(SALU_CYCLE_1)
	v_mov_b32_e32 v1, v40
	s_getpc_b64 s[0:1]
	s_add_u32 s0, s0, _ZN12_GLOBAL__N_111calc_igammaIfEET_S1_S1_@rel32@lo+4
	s_addc_u32 s1, s1, _ZN12_GLOBAL__N_111calc_igammaIfEET_S1_S1_@rel32@hi+12
	s_swappc_b64 s[30:31], s[0:1]
	v_mov_b32_e32 v80, v0
	s_cbranch_execz .LBB26_94
	s_branch .LBB26_95
.LBB26_93:
.LBB26_94:
	v_mov_b32_e32 v0, v72
	s_delay_alu instid0(VALU_DEP_2) | instskip(SKIP_3) | instid1(SALU_CYCLE_1)
	v_mov_b32_e32 v1, v40
	s_getpc_b64 s[0:1]
	s_add_u32 s0, s0, _ZN12_GLOBAL__N_112calc_igammacIfEET_S1_S1_@rel32@lo+4
	s_addc_u32 s1, s1, _ZN12_GLOBAL__N_112calc_igammacIfEET_S1_S1_@rel32@hi+12
	s_swappc_b64 s[30:31], s[0:1]
	v_mov_b32_e32 v80, v0
.LBB26_95:
	v_and_b32_e32 v40, 0xffff0000, v98
	s_and_b32 vcc_lo, exec_lo, s39
	s_cbranch_vccnz .LBB26_97
; %bb.96:
	s_delay_alu instid0(VALU_DEP_1) | instskip(SKIP_3) | instid1(SALU_CYCLE_1)
	v_dual_mov_b32 v0, v73 :: v_dual_mov_b32 v1, v40
	s_getpc_b64 s[0:1]
	s_add_u32 s0, s0, _ZN12_GLOBAL__N_111calc_igammaIfEET_S1_S1_@rel32@lo+4
	s_addc_u32 s1, s1, _ZN12_GLOBAL__N_111calc_igammaIfEET_S1_S1_@rel32@hi+12
	s_swappc_b64 s[30:31], s[0:1]
	v_mov_b32_e32 v81, v0
	s_cbranch_execz .LBB26_98
	s_branch .LBB26_99
.LBB26_97:
.LBB26_98:
	s_delay_alu instid0(VALU_DEP_1) | instskip(SKIP_3) | instid1(SALU_CYCLE_1)
	v_dual_mov_b32 v0, v73 :: v_dual_mov_b32 v1, v40
	s_getpc_b64 s[0:1]
	s_add_u32 s0, s0, _ZN12_GLOBAL__N_112calc_igammacIfEET_S1_S1_@rel32@lo+4
	s_addc_u32 s1, s1, _ZN12_GLOBAL__N_112calc_igammacIfEET_S1_S1_@rel32@hi+12
	s_swappc_b64 s[30:31], s[0:1]
	v_mov_b32_e32 v81, v0
.LBB26_99:
	s_waitcnt vmcnt(0)
	v_lshlrev_b32_e32 v40, 16, v91
	s_and_b32 vcc_lo, exec_lo, s39
	s_cbranch_vccnz .LBB26_101
; %bb.100:
	v_mov_b32_e32 v0, v60
	s_delay_alu instid0(VALU_DEP_2) | instskip(SKIP_3) | instid1(SALU_CYCLE_1)
	v_mov_b32_e32 v1, v40
	s_getpc_b64 s[0:1]
	s_add_u32 s0, s0, _ZN12_GLOBAL__N_111calc_igammaIfEET_S1_S1_@rel32@lo+4
	s_addc_u32 s1, s1, _ZN12_GLOBAL__N_111calc_igammaIfEET_S1_S1_@rel32@hi+12
	s_swappc_b64 s[30:31], s[0:1]
	v_mov_b32_e32 v70, v0
	s_cbranch_execz .LBB26_102
	s_branch .LBB26_103
.LBB26_101:
                                        ; implicit-def: $vgpr70
.LBB26_102:
	v_mov_b32_e32 v0, v60
	s_delay_alu instid0(VALU_DEP_2) | instskip(SKIP_3) | instid1(SALU_CYCLE_1)
	v_mov_b32_e32 v1, v40
	s_getpc_b64 s[0:1]
	s_add_u32 s0, s0, _ZN12_GLOBAL__N_112calc_igammacIfEET_S1_S1_@rel32@lo+4
	s_addc_u32 s1, s1, _ZN12_GLOBAL__N_112calc_igammacIfEET_S1_S1_@rel32@hi+12
	s_swappc_b64 s[30:31], s[0:1]
	v_mov_b32_e32 v70, v0
.LBB26_103:
	v_and_b32_e32 v40, 0xffff0000, v91
	s_and_b32 vcc_lo, exec_lo, s39
	s_cbranch_vccnz .LBB26_105
; %bb.104:
	s_delay_alu instid0(VALU_DEP_1) | instskip(SKIP_3) | instid1(SALU_CYCLE_1)
	v_dual_mov_b32 v0, v61 :: v_dual_mov_b32 v1, v40
	s_getpc_b64 s[0:1]
	s_add_u32 s0, s0, _ZN12_GLOBAL__N_111calc_igammaIfEET_S1_S1_@rel32@lo+4
	s_addc_u32 s1, s1, _ZN12_GLOBAL__N_111calc_igammaIfEET_S1_S1_@rel32@hi+12
	s_swappc_b64 s[30:31], s[0:1]
	v_mov_b32_e32 v71, v0
	s_cbranch_execz .LBB26_106
	s_branch .LBB26_107
.LBB26_105:
.LBB26_106:
	s_delay_alu instid0(VALU_DEP_1) | instskip(SKIP_3) | instid1(SALU_CYCLE_1)
	v_dual_mov_b32 v0, v61 :: v_dual_mov_b32 v1, v40
	s_getpc_b64 s[0:1]
	s_add_u32 s0, s0, _ZN12_GLOBAL__N_112calc_igammacIfEET_S1_S1_@rel32@lo+4
	s_addc_u32 s1, s1, _ZN12_GLOBAL__N_112calc_igammacIfEET_S1_S1_@rel32@hi+12
	s_swappc_b64 s[30:31], s[0:1]
	v_mov_b32_e32 v71, v0
.LBB26_107:
	v_lshlrev_b32_e32 v40, 16, v92
	s_and_b32 vcc_lo, exec_lo, s39
	s_cbranch_vccnz .LBB26_109
; %bb.108:
	s_delay_alu instid0(VALU_DEP_1) | instskip(SKIP_3) | instid1(SALU_CYCLE_1)
	v_dual_mov_b32 v0, v62 :: v_dual_mov_b32 v1, v40
	s_getpc_b64 s[0:1]
	s_add_u32 s0, s0, _ZN12_GLOBAL__N_111calc_igammaIfEET_S1_S1_@rel32@lo+4
	s_addc_u32 s1, s1, _ZN12_GLOBAL__N_111calc_igammaIfEET_S1_S1_@rel32@hi+12
	s_swappc_b64 s[30:31], s[0:1]
	v_mov_b32_e32 v72, v0
	s_cbranch_execz .LBB26_110
	s_branch .LBB26_111
.LBB26_109:
.LBB26_110:
	s_delay_alu instid0(VALU_DEP_1) | instskip(SKIP_3) | instid1(SALU_CYCLE_1)
	v_dual_mov_b32 v0, v62 :: v_dual_mov_b32 v1, v40
	s_getpc_b64 s[0:1]
	s_add_u32 s0, s0, _ZN12_GLOBAL__N_112calc_igammacIfEET_S1_S1_@rel32@lo+4
	s_addc_u32 s1, s1, _ZN12_GLOBAL__N_112calc_igammacIfEET_S1_S1_@rel32@hi+12
	s_swappc_b64 s[30:31], s[0:1]
	v_mov_b32_e32 v72, v0
.LBB26_111:
	v_and_b32_e32 v40, 0xffff0000, v92
	s_and_b32 vcc_lo, exec_lo, s39
	s_cbranch_vccnz .LBB26_113
; %bb.112:
	s_delay_alu instid0(VALU_DEP_1) | instskip(SKIP_3) | instid1(SALU_CYCLE_1)
	v_dual_mov_b32 v0, v63 :: v_dual_mov_b32 v1, v40
	s_getpc_b64 s[0:1]
	s_add_u32 s0, s0, _ZN12_GLOBAL__N_111calc_igammaIfEET_S1_S1_@rel32@lo+4
	s_addc_u32 s1, s1, _ZN12_GLOBAL__N_111calc_igammaIfEET_S1_S1_@rel32@hi+12
	s_swappc_b64 s[30:31], s[0:1]
	v_mov_b32_e32 v73, v0
	s_cbranch_execz .LBB26_114
	s_branch .LBB26_115
.LBB26_113:
.LBB26_114:
	s_delay_alu instid0(VALU_DEP_1) | instskip(SKIP_3) | instid1(SALU_CYCLE_1)
	v_dual_mov_b32 v0, v63 :: v_dual_mov_b32 v1, v40
	s_getpc_b64 s[0:1]
	s_add_u32 s0, s0, _ZN12_GLOBAL__N_112calc_igammacIfEET_S1_S1_@rel32@lo+4
	s_addc_u32 s1, s1, _ZN12_GLOBAL__N_112calc_igammacIfEET_S1_S1_@rel32@hi+12
	s_swappc_b64 s[30:31], s[0:1]
	v_mov_b32_e32 v73, v0
.LBB26_115:
	v_lshlrev_b32_e32 v40, 16, v93
	s_and_b32 vcc_lo, exec_lo, s39
	s_cbranch_vccnz .LBB26_117
; %bb.116:
	s_delay_alu instid0(VALU_DEP_1) | instskip(SKIP_3) | instid1(SALU_CYCLE_1)
	v_dual_mov_b32 v0, v42 :: v_dual_mov_b32 v1, v40
	s_getpc_b64 s[0:1]
	s_add_u32 s0, s0, _ZN12_GLOBAL__N_111calc_igammaIfEET_S1_S1_@rel32@lo+4
	s_addc_u32 s1, s1, _ZN12_GLOBAL__N_111calc_igammaIfEET_S1_S1_@rel32@hi+12
	s_swappc_b64 s[30:31], s[0:1]
	v_mov_b32_e32 v60, v0
	s_cbranch_execz .LBB26_118
	s_branch .LBB26_119
.LBB26_117:
                                        ; implicit-def: $vgpr60
.LBB26_118:
	s_delay_alu instid0(VALU_DEP_1) | instskip(SKIP_3) | instid1(SALU_CYCLE_1)
	v_dual_mov_b32 v0, v42 :: v_dual_mov_b32 v1, v40
	s_getpc_b64 s[0:1]
	s_add_u32 s0, s0, _ZN12_GLOBAL__N_112calc_igammacIfEET_S1_S1_@rel32@lo+4
	s_addc_u32 s1, s1, _ZN12_GLOBAL__N_112calc_igammacIfEET_S1_S1_@rel32@hi+12
	s_swappc_b64 s[30:31], s[0:1]
	v_mov_b32_e32 v60, v0
.LBB26_119:
	v_and_b32_e32 v40, 0xffff0000, v93
	s_and_b32 vcc_lo, exec_lo, s39
	s_cbranch_vccnz .LBB26_121
; %bb.120:
	s_delay_alu instid0(VALU_DEP_1) | instskip(SKIP_3) | instid1(SALU_CYCLE_1)
	v_dual_mov_b32 v0, v43 :: v_dual_mov_b32 v1, v40
	s_getpc_b64 s[0:1]
	s_add_u32 s0, s0, _ZN12_GLOBAL__N_111calc_igammaIfEET_S1_S1_@rel32@lo+4
	s_addc_u32 s1, s1, _ZN12_GLOBAL__N_111calc_igammaIfEET_S1_S1_@rel32@hi+12
	s_swappc_b64 s[30:31], s[0:1]
	v_mov_b32_e32 v61, v0
	s_cbranch_execz .LBB26_122
	s_branch .LBB26_123
.LBB26_121:
.LBB26_122:
	s_delay_alu instid0(VALU_DEP_1) | instskip(SKIP_3) | instid1(SALU_CYCLE_1)
	v_dual_mov_b32 v0, v43 :: v_dual_mov_b32 v1, v40
	s_getpc_b64 s[0:1]
	s_add_u32 s0, s0, _ZN12_GLOBAL__N_112calc_igammacIfEET_S1_S1_@rel32@lo+4
	s_addc_u32 s1, s1, _ZN12_GLOBAL__N_112calc_igammacIfEET_S1_S1_@rel32@hi+12
	s_swappc_b64 s[30:31], s[0:1]
	v_mov_b32_e32 v61, v0
.LBB26_123:
	v_lshlrev_b32_e32 v40, 16, v94
	s_and_b32 vcc_lo, exec_lo, s39
	s_cbranch_vccnz .LBB26_125
; %bb.124:
	v_mov_b32_e32 v0, v44
	s_delay_alu instid0(VALU_DEP_2) | instskip(SKIP_3) | instid1(SALU_CYCLE_1)
	v_mov_b32_e32 v1, v40
	s_getpc_b64 s[0:1]
	s_add_u32 s0, s0, _ZN12_GLOBAL__N_111calc_igammaIfEET_S1_S1_@rel32@lo+4
	s_addc_u32 s1, s1, _ZN12_GLOBAL__N_111calc_igammaIfEET_S1_S1_@rel32@hi+12
	s_swappc_b64 s[30:31], s[0:1]
	v_mov_b32_e32 v62, v0
	s_cbranch_execz .LBB26_126
	s_branch .LBB26_127
.LBB26_125:
.LBB26_126:
	v_mov_b32_e32 v0, v44
	s_delay_alu instid0(VALU_DEP_2) | instskip(SKIP_3) | instid1(SALU_CYCLE_1)
	v_mov_b32_e32 v1, v40
	s_getpc_b64 s[0:1]
	s_add_u32 s0, s0, _ZN12_GLOBAL__N_112calc_igammacIfEET_S1_S1_@rel32@lo+4
	s_addc_u32 s1, s1, _ZN12_GLOBAL__N_112calc_igammacIfEET_S1_S1_@rel32@hi+12
	s_swappc_b64 s[30:31], s[0:1]
	v_mov_b32_e32 v62, v0
.LBB26_127:
	v_and_b32_e32 v40, 0xffff0000, v94
	s_and_b32 vcc_lo, exec_lo, s39
	s_cbranch_vccnz .LBB26_129
; %bb.128:
	s_delay_alu instid0(VALU_DEP_1) | instskip(SKIP_3) | instid1(SALU_CYCLE_1)
	v_dual_mov_b32 v0, v45 :: v_dual_mov_b32 v1, v40
	s_getpc_b64 s[0:1]
	s_add_u32 s0, s0, _ZN12_GLOBAL__N_111calc_igammaIfEET_S1_S1_@rel32@lo+4
	s_addc_u32 s1, s1, _ZN12_GLOBAL__N_111calc_igammaIfEET_S1_S1_@rel32@hi+12
	s_swappc_b64 s[30:31], s[0:1]
	v_mov_b32_e32 v63, v0
	s_cbranch_execz .LBB26_130
	s_branch .LBB26_131
.LBB26_129:
.LBB26_130:
	s_delay_alu instid0(VALU_DEP_1) | instskip(SKIP_3) | instid1(SALU_CYCLE_1)
	v_dual_mov_b32 v0, v45 :: v_dual_mov_b32 v1, v40
	s_getpc_b64 s[0:1]
	s_add_u32 s0, s0, _ZN12_GLOBAL__N_112calc_igammacIfEET_S1_S1_@rel32@lo+4
	s_addc_u32 s1, s1, _ZN12_GLOBAL__N_112calc_igammacIfEET_S1_S1_@rel32@hi+12
	s_swappc_b64 s[30:31], s[0:1]
	v_mov_b32_e32 v63, v0
.LBB26_131:
	s_add_u32 s2, s40, s46
	s_addc_u32 s3, s41, s47
	v_add_co_u32 v2, s0, s2, v107
	s_delay_alu instid0(VALU_DEP_1) | instskip(NEXT) | instid1(VALU_DEP_2)
	v_add_co_ci_u32_e64 v3, null, s3, 0, s0
	v_add_co_u32 v0, vcc_lo, 0x4000, v2
	s_delay_alu instid0(VALU_DEP_2)
	v_add_co_ci_u32_e32 v1, vcc_lo, 0, v3, vcc_lo
	v_add_co_u32 v2, vcc_lo, 0xc000, v2
	v_add_co_ci_u32_e32 v3, vcc_lo, 0, v3, vcc_lo
	s_clause 0x7
	global_store_b128 v107, v[56:59], s[2:3]
	global_store_b128 v107, v[66:69], s[2:3] offset:16
	global_store_b128 v[0:1], v[74:77], off
	global_store_b128 v[0:1], v[82:85], off offset:16
	global_store_b128 v47, v[86:89], s[2:3]
	global_store_b128 v47, v[78:81], s[2:3] offset:16
	global_store_b128 v[2:3], v[70:73], off
	global_store_b128 v[2:3], v[60:63], off offset:16
	s_branch .LBB26_2
.LBB26_132:
	s_clause 0x1
	s_load_b32 s6, s[36:37], 0x24
	s_load_b128 s[0:3], s[36:37], 0x28
	v_cndmask_b32_e64 v0, 0, 1, s49
	v_dual_mov_b32 v31, v46 :: v_dual_mov_b32 v2, s41
	v_dual_mov_b32 v1, s40 :: v_dual_mov_b32 v4, s43
	;; [unrolled: 1-line block ×3, first 2 shown]
	v_mov_b32_e32 v5, s44
	v_mov_b32_e32 v7, s48
	s_add_u32 s8, s36, 56
	s_addc_u32 s9, s37, 0
	s_mov_b32 s12, s38
	s_getpc_b64 s[4:5]
	s_add_u32 s4, s4, _ZN2at6native25elementwise_kernel_helperILb1EN12_GLOBAL__N_110CalcIgammaIfEENS0_6memory8policies11unroll_baseILi512ESt5arrayIPcLm3EE23TrivialOffsetCalculatorILi2EjESB_ILi1EjENS5_12LoadWithCastILi2EEENS5_13StoreWithCastILi1EEELi32ELi1EEEEEvT0_T1_@rel32@lo+4
	s_addc_u32 s5, s5, _ZN2at6native25elementwise_kernel_helperILb1EN12_GLOBAL__N_110CalcIgammaIfEENS0_6memory8policies11unroll_baseILi512ESt5arrayIPcLm3EE23TrivialOffsetCalculatorILi2EjESB_ILi1EjENS5_12LoadWithCastILi2EEENS5_13StoreWithCastILi1EEELi32ELi1EEEEEvT0_T1_@rel32@hi+12
	s_waitcnt lgkmcnt(0)
	v_lshrrev_b16 v9, 8, s6
	v_mov_b32_e32 v10, s0
	v_dual_mov_b32 v8, s6 :: v_dual_mov_b32 v11, s1
	v_dual_mov_b32 v12, s2 :: v_dual_mov_b32 v13, s3
	s_swappc_b64 s[30:31], s[4:5]
	s_endpgm
	.section	.rodata,"a",@progbits
	.p2align	6, 0x0
	.amdhsa_kernel _ZN2at6native39vectorized_templated_elementwise_kernelILi8EN12_GLOBAL__N_110CalcIgammaIfEESt5arrayIPcLm3EE23TrivialOffsetCalculatorILi2EjES8_ILi1EjENS0_6memory12LoadWithCastILi2EEENSB_13StoreWithCastILi1EEEfJfN3c108BFloat16EEEEviT0_T1_T2_T3_T4_T5_
		.amdhsa_group_segment_fixed_size 0
		.amdhsa_private_segment_fixed_size 448
		.amdhsa_kernarg_size 312
		.amdhsa_user_sgpr_count 15
		.amdhsa_user_sgpr_dispatch_ptr 0
		.amdhsa_user_sgpr_queue_ptr 0
		.amdhsa_user_sgpr_kernarg_segment_ptr 1
		.amdhsa_user_sgpr_dispatch_id 0
		.amdhsa_user_sgpr_private_segment_size 0
		.amdhsa_wavefront_size32 1
		.amdhsa_uses_dynamic_stack 0
		.amdhsa_enable_private_segment 1
		.amdhsa_system_sgpr_workgroup_id_x 1
		.amdhsa_system_sgpr_workgroup_id_y 0
		.amdhsa_system_sgpr_workgroup_id_z 0
		.amdhsa_system_sgpr_workgroup_info 0
		.amdhsa_system_vgpr_workitem_id 0
		.amdhsa_next_free_vgpr 147
		.amdhsa_next_free_sgpr 77
		.amdhsa_reserve_vcc 1
		.amdhsa_float_round_mode_32 0
		.amdhsa_float_round_mode_16_64 0
		.amdhsa_float_denorm_mode_32 3
		.amdhsa_float_denorm_mode_16_64 3
		.amdhsa_dx10_clamp 1
		.amdhsa_ieee_mode 1
		.amdhsa_fp16_overflow 0
		.amdhsa_workgroup_processor_mode 1
		.amdhsa_memory_ordered 1
		.amdhsa_forward_progress 0
		.amdhsa_shared_vgpr_count 0
		.amdhsa_exception_fp_ieee_invalid_op 0
		.amdhsa_exception_fp_denorm_src 0
		.amdhsa_exception_fp_ieee_div_zero 0
		.amdhsa_exception_fp_ieee_overflow 0
		.amdhsa_exception_fp_ieee_underflow 0
		.amdhsa_exception_fp_ieee_inexact 0
		.amdhsa_exception_int_div_zero 0
	.end_amdhsa_kernel
	.section	.text._ZN2at6native39vectorized_templated_elementwise_kernelILi8EN12_GLOBAL__N_110CalcIgammaIfEESt5arrayIPcLm3EE23TrivialOffsetCalculatorILi2EjES8_ILi1EjENS0_6memory12LoadWithCastILi2EEENSB_13StoreWithCastILi1EEEfJfN3c108BFloat16EEEEviT0_T1_T2_T3_T4_T5_,"axG",@progbits,_ZN2at6native39vectorized_templated_elementwise_kernelILi8EN12_GLOBAL__N_110CalcIgammaIfEESt5arrayIPcLm3EE23TrivialOffsetCalculatorILi2EjES8_ILi1EjENS0_6memory12LoadWithCastILi2EEENSB_13StoreWithCastILi1EEEfJfN3c108BFloat16EEEEviT0_T1_T2_T3_T4_T5_,comdat
.Lfunc_end26:
	.size	_ZN2at6native39vectorized_templated_elementwise_kernelILi8EN12_GLOBAL__N_110CalcIgammaIfEESt5arrayIPcLm3EE23TrivialOffsetCalculatorILi2EjES8_ILi1EjENS0_6memory12LoadWithCastILi2EEENSB_13StoreWithCastILi1EEEfJfN3c108BFloat16EEEEviT0_T1_T2_T3_T4_T5_, .Lfunc_end26-_ZN2at6native39vectorized_templated_elementwise_kernelILi8EN12_GLOBAL__N_110CalcIgammaIfEESt5arrayIPcLm3EE23TrivialOffsetCalculatorILi2EjES8_ILi1EjENS0_6memory12LoadWithCastILi2EEENSB_13StoreWithCastILi1EEEfJfN3c108BFloat16EEEEviT0_T1_T2_T3_T4_T5_
                                        ; -- End function
	.section	.AMDGPU.csdata,"",@progbits
; Kernel info:
; codeLenInByte = 3960
; NumSgprs: 79
; NumVgprs: 147
; ScratchSize: 448
; MemoryBound: 0
; FloatMode: 240
; IeeeMode: 1
; LDSByteSize: 0 bytes/workgroup (compile time only)
; SGPRBlocks: 9
; VGPRBlocks: 18
; NumSGPRsForWavesPerEU: 79
; NumVGPRsForWavesPerEU: 147
; Occupancy: 9
; WaveLimiterHint : 0
; COMPUTE_PGM_RSRC2:SCRATCH_EN: 1
; COMPUTE_PGM_RSRC2:USER_SGPR: 15
; COMPUTE_PGM_RSRC2:TRAP_HANDLER: 0
; COMPUTE_PGM_RSRC2:TGID_X_EN: 1
; COMPUTE_PGM_RSRC2:TGID_Y_EN: 0
; COMPUTE_PGM_RSRC2:TGID_Z_EN: 0
; COMPUTE_PGM_RSRC2:TIDIG_COMP_CNT: 0
	.section	.text._ZN2at6native39vectorized_templated_elementwise_kernelILi4EN12_GLOBAL__N_110CalcIgammaIfEESt5arrayIPcLm3EE23TrivialOffsetCalculatorILi2EjES8_ILi1EjENS0_6memory12LoadWithCastILi2EEENSB_13StoreWithCastILi1EEEfJfN3c108BFloat16EEEEviT0_T1_T2_T3_T4_T5_,"axG",@progbits,_ZN2at6native39vectorized_templated_elementwise_kernelILi4EN12_GLOBAL__N_110CalcIgammaIfEESt5arrayIPcLm3EE23TrivialOffsetCalculatorILi2EjES8_ILi1EjENS0_6memory12LoadWithCastILi2EEENSB_13StoreWithCastILi1EEEfJfN3c108BFloat16EEEEviT0_T1_T2_T3_T4_T5_,comdat
	.globl	_ZN2at6native39vectorized_templated_elementwise_kernelILi4EN12_GLOBAL__N_110CalcIgammaIfEESt5arrayIPcLm3EE23TrivialOffsetCalculatorILi2EjES8_ILi1EjENS0_6memory12LoadWithCastILi2EEENSB_13StoreWithCastILi1EEEfJfN3c108BFloat16EEEEviT0_T1_T2_T3_T4_T5_ ; -- Begin function _ZN2at6native39vectorized_templated_elementwise_kernelILi4EN12_GLOBAL__N_110CalcIgammaIfEESt5arrayIPcLm3EE23TrivialOffsetCalculatorILi2EjES8_ILi1EjENS0_6memory12LoadWithCastILi2EEENSB_13StoreWithCastILi1EEEfJfN3c108BFloat16EEEEviT0_T1_T2_T3_T4_T5_
	.p2align	8
	.type	_ZN2at6native39vectorized_templated_elementwise_kernelILi4EN12_GLOBAL__N_110CalcIgammaIfEESt5arrayIPcLm3EE23TrivialOffsetCalculatorILi2EjES8_ILi1EjENS0_6memory12LoadWithCastILi2EEENSB_13StoreWithCastILi1EEEfJfN3c108BFloat16EEEEviT0_T1_T2_T3_T4_T5_,@function
_ZN2at6native39vectorized_templated_elementwise_kernelILi4EN12_GLOBAL__N_110CalcIgammaIfEESt5arrayIPcLm3EE23TrivialOffsetCalculatorILi2EjES8_ILi1EjENS0_6memory12LoadWithCastILi2EEENSB_13StoreWithCastILi1EEEfJfN3c108BFloat16EEEEviT0_T1_T2_T3_T4_T5_: ; @_ZN2at6native39vectorized_templated_elementwise_kernelILi4EN12_GLOBAL__N_110CalcIgammaIfEESt5arrayIPcLm3EE23TrivialOffsetCalculatorILi2EjES8_ILi1EjENS0_6memory12LoadWithCastILi2EEENSB_13StoreWithCastILi1EEEfJfN3c108BFloat16EEEEviT0_T1_T2_T3_T4_T5_
; %bb.0:
	s_mov_b64 s[36:37], s[0:1]
	s_clause 0x1
	s_load_b64 s[2:3], s[0:1], 0x0
	s_load_b32 s0, s[0:1], 0x38
	s_clause 0x1
	s_load_b64 s[44:45], s[36:37], 0x18
	s_load_b128 s[40:43], s[36:37], 0x8
	v_mov_b32_e32 v46, v0
	s_mov_b32 s38, s15
	s_mov_b32 s32, 0
	s_waitcnt lgkmcnt(0)
	s_bitcmp1_b32 s3, 0
	s_cselect_b32 s49, -1, 0
	s_not_b32 s1, s15
	s_delay_alu instid0(SALU_CYCLE_1) | instskip(SKIP_2) | instid1(SALU_CYCLE_1)
	s_add_i32 s0, s0, s1
	s_mov_b32 s1, -1
	s_lshl_b32 s0, s0, 14
	s_sub_i32 s48, s2, s0
	s_delay_alu instid0(SALU_CYCLE_1)
	s_cmpk_gt_i32 s48, 0x3fff
	s_cbranch_scc1 .LBB27_3
; %bb.1:
	s_and_b32 vcc_lo, exec_lo, s1
	s_cbranch_vccnz .LBB27_132
.LBB27_2:
	s_endpgm
.LBB27_3:
	s_ashr_i32 s1, s0, 31
	v_lshlrev_b32_e32 v106, 4, v46
	s_lshl_b64 s[46:47], s[0:1], 2
	s_xor_b32 s50, s49, -1
	s_add_u32 s2, s42, s46
	s_addc_u32 s3, s43, s47
	v_add_co_u32 v4, s4, s2, v106
	s_delay_alu instid0(VALU_DEP_1) | instskip(SKIP_1) | instid1(VALU_DEP_3)
	v_add_co_ci_u32_e64 v5, null, s3, 0, s4
	v_or_b32_e32 v6, 0x400, v46
	v_add_co_u32 v0, vcc_lo, 0x2000, v4
	s_delay_alu instid0(VALU_DEP_3) | instskip(SKIP_1) | instid1(VALU_DEP_4)
	v_add_co_ci_u32_e32 v1, vcc_lo, 0, v5, vcc_lo
	v_or_b32_e32 v7, 0x800, v46
	v_lshlrev_b32_e32 v107, 4, v6
	s_clause 0x1
	global_load_b128 v[57:60], v106, s[2:3]
	global_load_b128 v[74:77], v[0:1], off
	v_add_co_u32 v0, vcc_lo, 0x6000, v4
	v_add_co_ci_u32_e32 v1, vcc_lo, 0, v5, vcc_lo
	v_add_co_u32 v2, vcc_lo, 0xa000, v4
	v_or_b32_e32 v8, 0xc00, v46
	v_lshlrev_b32_e32 v9, 3, v46
	v_lshlrev_b32_e32 v47, 4, v7
	s_lshl_b64 s[0:1], s[0:1], 1
	v_add_co_ci_u32_e32 v3, vcc_lo, 0, v5, vcc_lo
	s_add_u32 s0, s44, s0
	s_clause 0x3
	global_load_b128 v[87:90], v107, s[2:3]
	global_load_b128 v[83:86], v[0:1], off
	global_load_b128 v[78:81], v47, s[2:3]
	global_load_b128 v[70:73], v[2:3], off
	v_add_co_u32 v0, vcc_lo, 0xe000, v4
	v_lshlrev_b32_e32 v105, 4, v8
	s_addc_u32 s1, s45, s1
	v_add_co_u32 v10, s4, s0, v9
	v_add_co_ci_u32_e32 v1, vcc_lo, 0, v5, vcc_lo
	v_add_co_ci_u32_e64 v11, null, s1, 0, s4
	s_clause 0x1
	global_load_b128 v[66:69], v105, s[2:3]
	global_load_b128 v[42:45], v[0:1], off
	v_add_co_u32 v0, vcc_lo, 0x1000, v10
	v_add_co_ci_u32_e32 v1, vcc_lo, 0, v11, vcc_lo
	v_add_co_u32 v2, vcc_lo, 0x3000, v10
	v_add_co_ci_u32_e32 v3, vcc_lo, 0, v11, vcc_lo
	v_add_co_u32 v4, vcc_lo, 0x5000, v10
	v_lshlrev_b32_e32 v12, 3, v6
	v_add_co_ci_u32_e32 v5, vcc_lo, 0, v11, vcc_lo
	v_add_co_u32 v6, vcc_lo, 0x7000, v10
	v_lshlrev_b32_e32 v13, 3, v7
	v_lshlrev_b32_e32 v8, 3, v8
	v_add_co_ci_u32_e32 v7, vcc_lo, 0, v11, vcc_lo
	s_clause 0x7
	global_load_b64 v[103:104], v9, s[0:1]
	global_load_b64 v[62:63], v[0:1], off
	global_load_b64 v[101:102], v12, s[0:1]
	global_load_b64 v[99:100], v[2:3], off
	;; [unrolled: 2-line block ×4, first 2 shown]
	s_and_b32 vcc_lo, exec_lo, s50
	s_mov_b32 s39, 0
	s_waitcnt vmcnt(7)
	v_lshlrev_b32_e32 v40, 16, v103
	s_cbranch_vccz .LBB27_5
; %bb.4:
	s_delay_alu instid0(VALU_DEP_1) | instskip(SKIP_3) | instid1(SALU_CYCLE_1)
	v_dual_mov_b32 v0, v57 :: v_dual_mov_b32 v1, v40
	s_getpc_b64 s[0:1]
	s_add_u32 s0, s0, _ZN12_GLOBAL__N_111calc_igammaIfEET_S1_S1_@rel32@lo+4
	s_addc_u32 s1, s1, _ZN12_GLOBAL__N_111calc_igammaIfEET_S1_S1_@rel32@hi+12
	s_swappc_b64 s[30:31], s[0:1]
	v_mov_b32_e32 v56, v0
	s_and_not1_b32 vcc_lo, exec_lo, s39
	s_cbranch_vccz .LBB27_6
	s_branch .LBB27_7
.LBB27_5:
                                        ; implicit-def: $vgpr56
.LBB27_6:
	s_delay_alu instid0(VALU_DEP_1) | instskip(SKIP_3) | instid1(SALU_CYCLE_1)
	v_dual_mov_b32 v0, v57 :: v_dual_mov_b32 v1, v40
	s_getpc_b64 s[0:1]
	s_add_u32 s0, s0, _ZN12_GLOBAL__N_112calc_igammacIfEET_S1_S1_@rel32@lo+4
	s_addc_u32 s1, s1, _ZN12_GLOBAL__N_112calc_igammacIfEET_S1_S1_@rel32@hi+12
	s_swappc_b64 s[30:31], s[0:1]
	v_mov_b32_e32 v56, v0
.LBB27_7:
	v_cndmask_b32_e64 v0, 0, 1, s50
	v_and_b32_e32 v40, 0xffff0000, v103
	s_and_not1_b32 vcc_lo, exec_lo, s50
	s_delay_alu instid0(VALU_DEP_2)
	v_cmp_ne_u32_e64 s39, 1, v0
	s_cbranch_vccnz .LBB27_9
; %bb.8:
	s_delay_alu instid0(VALU_DEP_2) | instskip(SKIP_3) | instid1(SALU_CYCLE_1)
	v_dual_mov_b32 v0, v58 :: v_dual_mov_b32 v1, v40
	s_getpc_b64 s[0:1]
	s_add_u32 s0, s0, _ZN12_GLOBAL__N_111calc_igammaIfEET_S1_S1_@rel32@lo+4
	s_addc_u32 s1, s1, _ZN12_GLOBAL__N_111calc_igammaIfEET_S1_S1_@rel32@hi+12
	s_swappc_b64 s[30:31], s[0:1]
	v_mov_b32_e32 v57, v0
	s_cbranch_execz .LBB27_10
	s_branch .LBB27_11
.LBB27_9:
.LBB27_10:
	s_delay_alu instid0(VALU_DEP_2) | instskip(SKIP_3) | instid1(SALU_CYCLE_1)
	v_dual_mov_b32 v0, v58 :: v_dual_mov_b32 v1, v40
	s_getpc_b64 s[0:1]
	s_add_u32 s0, s0, _ZN12_GLOBAL__N_112calc_igammacIfEET_S1_S1_@rel32@lo+4
	s_addc_u32 s1, s1, _ZN12_GLOBAL__N_112calc_igammacIfEET_S1_S1_@rel32@hi+12
	s_swappc_b64 s[30:31], s[0:1]
	v_mov_b32_e32 v57, v0
.LBB27_11:
	v_lshlrev_b32_e32 v40, 16, v104
	s_and_b32 vcc_lo, exec_lo, s39
	s_cbranch_vccnz .LBB27_13
; %bb.12:
	s_delay_alu instid0(VALU_DEP_1) | instskip(SKIP_3) | instid1(SALU_CYCLE_1)
	v_dual_mov_b32 v0, v59 :: v_dual_mov_b32 v1, v40
	s_getpc_b64 s[0:1]
	s_add_u32 s0, s0, _ZN12_GLOBAL__N_111calc_igammaIfEET_S1_S1_@rel32@lo+4
	s_addc_u32 s1, s1, _ZN12_GLOBAL__N_111calc_igammaIfEET_S1_S1_@rel32@hi+12
	s_swappc_b64 s[30:31], s[0:1]
	v_mov_b32_e32 v58, v0
	s_cbranch_execz .LBB27_14
	s_branch .LBB27_15
.LBB27_13:
.LBB27_14:
	s_delay_alu instid0(VALU_DEP_1) | instskip(SKIP_3) | instid1(SALU_CYCLE_1)
	v_dual_mov_b32 v0, v59 :: v_dual_mov_b32 v1, v40
	s_getpc_b64 s[0:1]
	s_add_u32 s0, s0, _ZN12_GLOBAL__N_112calc_igammacIfEET_S1_S1_@rel32@lo+4
	s_addc_u32 s1, s1, _ZN12_GLOBAL__N_112calc_igammacIfEET_S1_S1_@rel32@hi+12
	s_swappc_b64 s[30:31], s[0:1]
	v_mov_b32_e32 v58, v0
.LBB27_15:
	v_and_b32_e32 v40, 0xffff0000, v104
	s_and_b32 vcc_lo, exec_lo, s39
	s_cbranch_vccnz .LBB27_17
; %bb.16:
	v_mov_b32_e32 v0, v60
	s_delay_alu instid0(VALU_DEP_2) | instskip(SKIP_3) | instid1(SALU_CYCLE_1)
	v_mov_b32_e32 v1, v40
	s_getpc_b64 s[0:1]
	s_add_u32 s0, s0, _ZN12_GLOBAL__N_111calc_igammaIfEET_S1_S1_@rel32@lo+4
	s_addc_u32 s1, s1, _ZN12_GLOBAL__N_111calc_igammaIfEET_S1_S1_@rel32@hi+12
	s_swappc_b64 s[30:31], s[0:1]
	v_mov_b32_e32 v59, v0
	s_cbranch_execz .LBB27_18
	s_branch .LBB27_19
.LBB27_17:
.LBB27_18:
	v_mov_b32_e32 v0, v60
	s_delay_alu instid0(VALU_DEP_2) | instskip(SKIP_3) | instid1(SALU_CYCLE_1)
	v_mov_b32_e32 v1, v40
	s_getpc_b64 s[0:1]
	s_add_u32 s0, s0, _ZN12_GLOBAL__N_112calc_igammacIfEET_S1_S1_@rel32@lo+4
	s_addc_u32 s1, s1, _ZN12_GLOBAL__N_112calc_igammacIfEET_S1_S1_@rel32@hi+12
	s_swappc_b64 s[30:31], s[0:1]
	v_mov_b32_e32 v59, v0
.LBB27_19:
	s_waitcnt vmcnt(6)
	v_lshlrev_b32_e32 v40, 16, v62
	s_and_b32 vcc_lo, exec_lo, s39
	s_cbranch_vccnz .LBB27_21
; %bb.20:
	s_delay_alu instid0(VALU_DEP_1) | instskip(SKIP_3) | instid1(SALU_CYCLE_1)
	v_dual_mov_b32 v0, v74 :: v_dual_mov_b32 v1, v40
	s_getpc_b64 s[0:1]
	s_add_u32 s0, s0, _ZN12_GLOBAL__N_111calc_igammaIfEET_S1_S1_@rel32@lo+4
	s_addc_u32 s1, s1, _ZN12_GLOBAL__N_111calc_igammaIfEET_S1_S1_@rel32@hi+12
	s_swappc_b64 s[30:31], s[0:1]
	v_mov_b32_e32 v60, v0
	s_cbranch_execz .LBB27_22
	s_branch .LBB27_23
.LBB27_21:
                                        ; implicit-def: $vgpr60
.LBB27_22:
	s_delay_alu instid0(VALU_DEP_1) | instskip(SKIP_3) | instid1(SALU_CYCLE_1)
	v_dual_mov_b32 v0, v74 :: v_dual_mov_b32 v1, v40
	s_getpc_b64 s[0:1]
	s_add_u32 s0, s0, _ZN12_GLOBAL__N_112calc_igammacIfEET_S1_S1_@rel32@lo+4
	s_addc_u32 s1, s1, _ZN12_GLOBAL__N_112calc_igammacIfEET_S1_S1_@rel32@hi+12
	s_swappc_b64 s[30:31], s[0:1]
	v_mov_b32_e32 v60, v0
.LBB27_23:
	v_and_b32_e32 v40, 0xffff0000, v62
	s_and_b32 vcc_lo, exec_lo, s39
	s_cbranch_vccnz .LBB27_25
; %bb.24:
	s_delay_alu instid0(VALU_DEP_1) | instskip(SKIP_3) | instid1(SALU_CYCLE_1)
	v_dual_mov_b32 v0, v75 :: v_dual_mov_b32 v1, v40
	s_getpc_b64 s[0:1]
	s_add_u32 s0, s0, _ZN12_GLOBAL__N_111calc_igammaIfEET_S1_S1_@rel32@lo+4
	s_addc_u32 s1, s1, _ZN12_GLOBAL__N_111calc_igammaIfEET_S1_S1_@rel32@hi+12
	s_swappc_b64 s[30:31], s[0:1]
	v_mov_b32_e32 v61, v0
	s_cbranch_execz .LBB27_26
	s_branch .LBB27_27
.LBB27_25:
.LBB27_26:
	s_delay_alu instid0(VALU_DEP_1) | instskip(SKIP_3) | instid1(SALU_CYCLE_1)
	v_dual_mov_b32 v0, v75 :: v_dual_mov_b32 v1, v40
	s_getpc_b64 s[0:1]
	s_add_u32 s0, s0, _ZN12_GLOBAL__N_112calc_igammacIfEET_S1_S1_@rel32@lo+4
	s_addc_u32 s1, s1, _ZN12_GLOBAL__N_112calc_igammacIfEET_S1_S1_@rel32@hi+12
	s_swappc_b64 s[30:31], s[0:1]
	v_mov_b32_e32 v61, v0
.LBB27_27:
	v_lshlrev_b32_e32 v40, 16, v63
	s_and_b32 vcc_lo, exec_lo, s39
	s_cbranch_vccnz .LBB27_29
; %bb.28:
	v_mov_b32_e32 v0, v76
	s_delay_alu instid0(VALU_DEP_2) | instskip(SKIP_3) | instid1(SALU_CYCLE_1)
	v_mov_b32_e32 v1, v40
	s_getpc_b64 s[0:1]
	s_add_u32 s0, s0, _ZN12_GLOBAL__N_111calc_igammaIfEET_S1_S1_@rel32@lo+4
	s_addc_u32 s1, s1, _ZN12_GLOBAL__N_111calc_igammaIfEET_S1_S1_@rel32@hi+12
	s_swappc_b64 s[30:31], s[0:1]
	v_mov_b32_e32 v62, v0
	s_cbranch_execz .LBB27_30
	s_branch .LBB27_31
.LBB27_29:
.LBB27_30:
	v_mov_b32_e32 v0, v76
	s_delay_alu instid0(VALU_DEP_2) | instskip(SKIP_3) | instid1(SALU_CYCLE_1)
	v_mov_b32_e32 v1, v40
	s_getpc_b64 s[0:1]
	s_add_u32 s0, s0, _ZN12_GLOBAL__N_112calc_igammacIfEET_S1_S1_@rel32@lo+4
	s_addc_u32 s1, s1, _ZN12_GLOBAL__N_112calc_igammacIfEET_S1_S1_@rel32@hi+12
	s_swappc_b64 s[30:31], s[0:1]
	v_mov_b32_e32 v62, v0
.LBB27_31:
	v_and_b32_e32 v40, 0xffff0000, v63
	s_and_b32 vcc_lo, exec_lo, s39
	s_cbranch_vccnz .LBB27_33
; %bb.32:
	s_delay_alu instid0(VALU_DEP_1) | instskip(SKIP_3) | instid1(SALU_CYCLE_1)
	v_dual_mov_b32 v0, v77 :: v_dual_mov_b32 v1, v40
	s_getpc_b64 s[0:1]
	s_add_u32 s0, s0, _ZN12_GLOBAL__N_111calc_igammaIfEET_S1_S1_@rel32@lo+4
	s_addc_u32 s1, s1, _ZN12_GLOBAL__N_111calc_igammaIfEET_S1_S1_@rel32@hi+12
	s_swappc_b64 s[30:31], s[0:1]
	v_mov_b32_e32 v63, v0
	s_cbranch_execz .LBB27_34
	s_branch .LBB27_35
.LBB27_33:
.LBB27_34:
	s_delay_alu instid0(VALU_DEP_1) | instskip(SKIP_3) | instid1(SALU_CYCLE_1)
	v_dual_mov_b32 v0, v77 :: v_dual_mov_b32 v1, v40
	s_getpc_b64 s[0:1]
	s_add_u32 s0, s0, _ZN12_GLOBAL__N_112calc_igammacIfEET_S1_S1_@rel32@lo+4
	s_addc_u32 s1, s1, _ZN12_GLOBAL__N_112calc_igammacIfEET_S1_S1_@rel32@hi+12
	s_swappc_b64 s[30:31], s[0:1]
	v_mov_b32_e32 v63, v0
.LBB27_35:
	s_waitcnt vmcnt(5)
	v_lshlrev_b32_e32 v40, 16, v101
	s_and_b32 vcc_lo, exec_lo, s39
	s_cbranch_vccnz .LBB27_37
; %bb.36:
	s_delay_alu instid0(VALU_DEP_1) | instskip(SKIP_3) | instid1(SALU_CYCLE_1)
	v_dual_mov_b32 v0, v87 :: v_dual_mov_b32 v1, v40
	s_getpc_b64 s[0:1]
	s_add_u32 s0, s0, _ZN12_GLOBAL__N_111calc_igammaIfEET_S1_S1_@rel32@lo+4
	s_addc_u32 s1, s1, _ZN12_GLOBAL__N_111calc_igammaIfEET_S1_S1_@rel32@hi+12
	s_swappc_b64 s[30:31], s[0:1]
	v_mov_b32_e32 v74, v0
	s_cbranch_execz .LBB27_38
	s_branch .LBB27_39
.LBB27_37:
                                        ; implicit-def: $vgpr74
.LBB27_38:
	s_delay_alu instid0(VALU_DEP_1) | instskip(SKIP_3) | instid1(SALU_CYCLE_1)
	v_dual_mov_b32 v0, v87 :: v_dual_mov_b32 v1, v40
	s_getpc_b64 s[0:1]
	s_add_u32 s0, s0, _ZN12_GLOBAL__N_112calc_igammacIfEET_S1_S1_@rel32@lo+4
	s_addc_u32 s1, s1, _ZN12_GLOBAL__N_112calc_igammacIfEET_S1_S1_@rel32@hi+12
	s_swappc_b64 s[30:31], s[0:1]
	v_mov_b32_e32 v74, v0
.LBB27_39:
	v_and_b32_e32 v40, 0xffff0000, v101
	s_and_b32 vcc_lo, exec_lo, s39
	s_cbranch_vccnz .LBB27_41
; %bb.40:
	v_mov_b32_e32 v0, v88
	s_delay_alu instid0(VALU_DEP_2) | instskip(SKIP_3) | instid1(SALU_CYCLE_1)
	v_mov_b32_e32 v1, v40
	s_getpc_b64 s[0:1]
	s_add_u32 s0, s0, _ZN12_GLOBAL__N_111calc_igammaIfEET_S1_S1_@rel32@lo+4
	s_addc_u32 s1, s1, _ZN12_GLOBAL__N_111calc_igammaIfEET_S1_S1_@rel32@hi+12
	s_swappc_b64 s[30:31], s[0:1]
	v_mov_b32_e32 v75, v0
	s_cbranch_execz .LBB27_42
	s_branch .LBB27_43
.LBB27_41:
.LBB27_42:
	v_mov_b32_e32 v0, v88
	s_delay_alu instid0(VALU_DEP_2) | instskip(SKIP_3) | instid1(SALU_CYCLE_1)
	v_mov_b32_e32 v1, v40
	s_getpc_b64 s[0:1]
	s_add_u32 s0, s0, _ZN12_GLOBAL__N_112calc_igammacIfEET_S1_S1_@rel32@lo+4
	s_addc_u32 s1, s1, _ZN12_GLOBAL__N_112calc_igammacIfEET_S1_S1_@rel32@hi+12
	s_swappc_b64 s[30:31], s[0:1]
	v_mov_b32_e32 v75, v0
.LBB27_43:
	v_lshlrev_b32_e32 v40, 16, v102
	s_and_b32 vcc_lo, exec_lo, s39
	s_cbranch_vccnz .LBB27_45
; %bb.44:
	s_delay_alu instid0(VALU_DEP_1) | instskip(SKIP_3) | instid1(SALU_CYCLE_1)
	v_dual_mov_b32 v0, v89 :: v_dual_mov_b32 v1, v40
	s_getpc_b64 s[0:1]
	s_add_u32 s0, s0, _ZN12_GLOBAL__N_111calc_igammaIfEET_S1_S1_@rel32@lo+4
	s_addc_u32 s1, s1, _ZN12_GLOBAL__N_111calc_igammaIfEET_S1_S1_@rel32@hi+12
	s_swappc_b64 s[30:31], s[0:1]
	v_mov_b32_e32 v76, v0
	s_cbranch_execz .LBB27_46
	s_branch .LBB27_47
.LBB27_45:
.LBB27_46:
	s_delay_alu instid0(VALU_DEP_1) | instskip(SKIP_3) | instid1(SALU_CYCLE_1)
	v_dual_mov_b32 v0, v89 :: v_dual_mov_b32 v1, v40
	s_getpc_b64 s[0:1]
	s_add_u32 s0, s0, _ZN12_GLOBAL__N_112calc_igammacIfEET_S1_S1_@rel32@lo+4
	s_addc_u32 s1, s1, _ZN12_GLOBAL__N_112calc_igammacIfEET_S1_S1_@rel32@hi+12
	s_swappc_b64 s[30:31], s[0:1]
	v_mov_b32_e32 v76, v0
.LBB27_47:
	v_and_b32_e32 v40, 0xffff0000, v102
	s_and_b32 vcc_lo, exec_lo, s39
	s_cbranch_vccnz .LBB27_49
; %bb.48:
	s_delay_alu instid0(VALU_DEP_1) | instskip(SKIP_3) | instid1(SALU_CYCLE_1)
	v_dual_mov_b32 v0, v90 :: v_dual_mov_b32 v1, v40
	s_getpc_b64 s[0:1]
	s_add_u32 s0, s0, _ZN12_GLOBAL__N_111calc_igammaIfEET_S1_S1_@rel32@lo+4
	s_addc_u32 s1, s1, _ZN12_GLOBAL__N_111calc_igammaIfEET_S1_S1_@rel32@hi+12
	s_swappc_b64 s[30:31], s[0:1]
	v_mov_b32_e32 v77, v0
	s_cbranch_execz .LBB27_50
	s_branch .LBB27_51
.LBB27_49:
.LBB27_50:
	s_delay_alu instid0(VALU_DEP_1) | instskip(SKIP_3) | instid1(SALU_CYCLE_1)
	v_dual_mov_b32 v0, v90 :: v_dual_mov_b32 v1, v40
	s_getpc_b64 s[0:1]
	s_add_u32 s0, s0, _ZN12_GLOBAL__N_112calc_igammacIfEET_S1_S1_@rel32@lo+4
	s_addc_u32 s1, s1, _ZN12_GLOBAL__N_112calc_igammacIfEET_S1_S1_@rel32@hi+12
	s_swappc_b64 s[30:31], s[0:1]
	v_mov_b32_e32 v77, v0
.LBB27_51:
	s_waitcnt vmcnt(4)
	v_lshlrev_b32_e32 v40, 16, v99
	s_and_b32 vcc_lo, exec_lo, s39
	s_cbranch_vccnz .LBB27_53
; %bb.52:
	s_delay_alu instid0(VALU_DEP_1) | instskip(SKIP_3) | instid1(SALU_CYCLE_1)
	v_dual_mov_b32 v0, v83 :: v_dual_mov_b32 v1, v40
	s_getpc_b64 s[0:1]
	s_add_u32 s0, s0, _ZN12_GLOBAL__N_111calc_igammaIfEET_S1_S1_@rel32@lo+4
	s_addc_u32 s1, s1, _ZN12_GLOBAL__N_111calc_igammaIfEET_S1_S1_@rel32@hi+12
	s_swappc_b64 s[30:31], s[0:1]
	v_mov_b32_e32 v82, v0
	s_cbranch_execz .LBB27_54
	s_branch .LBB27_55
.LBB27_53:
                                        ; implicit-def: $vgpr82
.LBB27_54:
	s_delay_alu instid0(VALU_DEP_1) | instskip(SKIP_3) | instid1(SALU_CYCLE_1)
	v_dual_mov_b32 v0, v83 :: v_dual_mov_b32 v1, v40
	s_getpc_b64 s[0:1]
	s_add_u32 s0, s0, _ZN12_GLOBAL__N_112calc_igammacIfEET_S1_S1_@rel32@lo+4
	s_addc_u32 s1, s1, _ZN12_GLOBAL__N_112calc_igammacIfEET_S1_S1_@rel32@hi+12
	s_swappc_b64 s[30:31], s[0:1]
	v_mov_b32_e32 v82, v0
.LBB27_55:
	v_and_b32_e32 v40, 0xffff0000, v99
	s_and_b32 vcc_lo, exec_lo, s39
	s_cbranch_vccnz .LBB27_57
; %bb.56:
	v_mov_b32_e32 v0, v84
	s_delay_alu instid0(VALU_DEP_2) | instskip(SKIP_3) | instid1(SALU_CYCLE_1)
	v_mov_b32_e32 v1, v40
	s_getpc_b64 s[0:1]
	s_add_u32 s0, s0, _ZN12_GLOBAL__N_111calc_igammaIfEET_S1_S1_@rel32@lo+4
	s_addc_u32 s1, s1, _ZN12_GLOBAL__N_111calc_igammaIfEET_S1_S1_@rel32@hi+12
	s_swappc_b64 s[30:31], s[0:1]
	v_mov_b32_e32 v83, v0
	s_cbranch_execz .LBB27_58
	s_branch .LBB27_59
.LBB27_57:
.LBB27_58:
	v_mov_b32_e32 v0, v84
	s_delay_alu instid0(VALU_DEP_2) | instskip(SKIP_3) | instid1(SALU_CYCLE_1)
	v_mov_b32_e32 v1, v40
	s_getpc_b64 s[0:1]
	s_add_u32 s0, s0, _ZN12_GLOBAL__N_112calc_igammacIfEET_S1_S1_@rel32@lo+4
	s_addc_u32 s1, s1, _ZN12_GLOBAL__N_112calc_igammacIfEET_S1_S1_@rel32@hi+12
	s_swappc_b64 s[30:31], s[0:1]
	v_mov_b32_e32 v83, v0
.LBB27_59:
	v_lshlrev_b32_e32 v40, 16, v100
	s_and_b32 vcc_lo, exec_lo, s39
	s_cbranch_vccnz .LBB27_61
; %bb.60:
	s_delay_alu instid0(VALU_DEP_1) | instskip(SKIP_3) | instid1(SALU_CYCLE_1)
	v_dual_mov_b32 v0, v85 :: v_dual_mov_b32 v1, v40
	s_getpc_b64 s[0:1]
	s_add_u32 s0, s0, _ZN12_GLOBAL__N_111calc_igammaIfEET_S1_S1_@rel32@lo+4
	s_addc_u32 s1, s1, _ZN12_GLOBAL__N_111calc_igammaIfEET_S1_S1_@rel32@hi+12
	s_swappc_b64 s[30:31], s[0:1]
	v_mov_b32_e32 v84, v0
	s_cbranch_execz .LBB27_62
	s_branch .LBB27_63
.LBB27_61:
.LBB27_62:
	s_delay_alu instid0(VALU_DEP_1) | instskip(SKIP_3) | instid1(SALU_CYCLE_1)
	v_dual_mov_b32 v0, v85 :: v_dual_mov_b32 v1, v40
	s_getpc_b64 s[0:1]
	s_add_u32 s0, s0, _ZN12_GLOBAL__N_112calc_igammacIfEET_S1_S1_@rel32@lo+4
	s_addc_u32 s1, s1, _ZN12_GLOBAL__N_112calc_igammacIfEET_S1_S1_@rel32@hi+12
	s_swappc_b64 s[30:31], s[0:1]
	v_mov_b32_e32 v84, v0
.LBB27_63:
	v_and_b32_e32 v40, 0xffff0000, v100
	s_and_b32 vcc_lo, exec_lo, s39
	s_cbranch_vccnz .LBB27_65
; %bb.64:
	s_delay_alu instid0(VALU_DEP_1) | instskip(SKIP_3) | instid1(SALU_CYCLE_1)
	v_dual_mov_b32 v0, v86 :: v_dual_mov_b32 v1, v40
	s_getpc_b64 s[0:1]
	s_add_u32 s0, s0, _ZN12_GLOBAL__N_111calc_igammaIfEET_S1_S1_@rel32@lo+4
	s_addc_u32 s1, s1, _ZN12_GLOBAL__N_111calc_igammaIfEET_S1_S1_@rel32@hi+12
	s_swappc_b64 s[30:31], s[0:1]
	v_mov_b32_e32 v85, v0
	s_cbranch_execz .LBB27_66
	s_branch .LBB27_67
.LBB27_65:
.LBB27_66:
	s_delay_alu instid0(VALU_DEP_1) | instskip(SKIP_3) | instid1(SALU_CYCLE_1)
	v_dual_mov_b32 v0, v86 :: v_dual_mov_b32 v1, v40
	s_getpc_b64 s[0:1]
	s_add_u32 s0, s0, _ZN12_GLOBAL__N_112calc_igammacIfEET_S1_S1_@rel32@lo+4
	s_addc_u32 s1, s1, _ZN12_GLOBAL__N_112calc_igammacIfEET_S1_S1_@rel32@hi+12
	s_swappc_b64 s[30:31], s[0:1]
	v_mov_b32_e32 v85, v0
.LBB27_67:
	s_waitcnt vmcnt(3)
	v_lshlrev_b32_e32 v40, 16, v97
	s_and_b32 vcc_lo, exec_lo, s39
	s_cbranch_vccnz .LBB27_69
; %bb.68:
	s_delay_alu instid0(VALU_DEP_1) | instskip(SKIP_3) | instid1(SALU_CYCLE_1)
	v_dual_mov_b32 v0, v78 :: v_dual_mov_b32 v1, v40
	s_getpc_b64 s[0:1]
	s_add_u32 s0, s0, _ZN12_GLOBAL__N_111calc_igammaIfEET_S1_S1_@rel32@lo+4
	s_addc_u32 s1, s1, _ZN12_GLOBAL__N_111calc_igammaIfEET_S1_S1_@rel32@hi+12
	s_swappc_b64 s[30:31], s[0:1]
	v_mov_b32_e32 v86, v0
	s_cbranch_execz .LBB27_70
	s_branch .LBB27_71
.LBB27_69:
                                        ; implicit-def: $vgpr86
.LBB27_70:
	s_delay_alu instid0(VALU_DEP_1) | instskip(SKIP_3) | instid1(SALU_CYCLE_1)
	v_dual_mov_b32 v0, v78 :: v_dual_mov_b32 v1, v40
	s_getpc_b64 s[0:1]
	s_add_u32 s0, s0, _ZN12_GLOBAL__N_112calc_igammacIfEET_S1_S1_@rel32@lo+4
	s_addc_u32 s1, s1, _ZN12_GLOBAL__N_112calc_igammacIfEET_S1_S1_@rel32@hi+12
	s_swappc_b64 s[30:31], s[0:1]
	v_mov_b32_e32 v86, v0
.LBB27_71:
	v_and_b32_e32 v40, 0xffff0000, v97
	s_and_b32 vcc_lo, exec_lo, s39
	s_cbranch_vccnz .LBB27_73
; %bb.72:
	s_delay_alu instid0(VALU_DEP_1) | instskip(SKIP_3) | instid1(SALU_CYCLE_1)
	v_dual_mov_b32 v0, v79 :: v_dual_mov_b32 v1, v40
	s_getpc_b64 s[0:1]
	s_add_u32 s0, s0, _ZN12_GLOBAL__N_111calc_igammaIfEET_S1_S1_@rel32@lo+4
	s_addc_u32 s1, s1, _ZN12_GLOBAL__N_111calc_igammaIfEET_S1_S1_@rel32@hi+12
	s_swappc_b64 s[30:31], s[0:1]
	v_mov_b32_e32 v87, v0
	s_cbranch_execz .LBB27_74
	s_branch .LBB27_75
.LBB27_73:
.LBB27_74:
	s_delay_alu instid0(VALU_DEP_1) | instskip(SKIP_3) | instid1(SALU_CYCLE_1)
	v_dual_mov_b32 v0, v79 :: v_dual_mov_b32 v1, v40
	s_getpc_b64 s[0:1]
	s_add_u32 s0, s0, _ZN12_GLOBAL__N_112calc_igammacIfEET_S1_S1_@rel32@lo+4
	s_addc_u32 s1, s1, _ZN12_GLOBAL__N_112calc_igammacIfEET_S1_S1_@rel32@hi+12
	s_swappc_b64 s[30:31], s[0:1]
	v_mov_b32_e32 v87, v0
.LBB27_75:
	v_lshlrev_b32_e32 v40, 16, v98
	s_and_b32 vcc_lo, exec_lo, s39
	s_cbranch_vccnz .LBB27_77
; %bb.76:
	v_mov_b32_e32 v0, v80
	s_delay_alu instid0(VALU_DEP_2) | instskip(SKIP_3) | instid1(SALU_CYCLE_1)
	v_mov_b32_e32 v1, v40
	s_getpc_b64 s[0:1]
	s_add_u32 s0, s0, _ZN12_GLOBAL__N_111calc_igammaIfEET_S1_S1_@rel32@lo+4
	s_addc_u32 s1, s1, _ZN12_GLOBAL__N_111calc_igammaIfEET_S1_S1_@rel32@hi+12
	s_swappc_b64 s[30:31], s[0:1]
	v_mov_b32_e32 v88, v0
	s_cbranch_execz .LBB27_78
	s_branch .LBB27_79
.LBB27_77:
.LBB27_78:
	v_mov_b32_e32 v0, v80
	s_delay_alu instid0(VALU_DEP_2) | instskip(SKIP_3) | instid1(SALU_CYCLE_1)
	v_mov_b32_e32 v1, v40
	s_getpc_b64 s[0:1]
	s_add_u32 s0, s0, _ZN12_GLOBAL__N_112calc_igammacIfEET_S1_S1_@rel32@lo+4
	s_addc_u32 s1, s1, _ZN12_GLOBAL__N_112calc_igammacIfEET_S1_S1_@rel32@hi+12
	s_swappc_b64 s[30:31], s[0:1]
	v_mov_b32_e32 v88, v0
.LBB27_79:
	v_and_b32_e32 v40, 0xffff0000, v98
	s_and_b32 vcc_lo, exec_lo, s39
	s_cbranch_vccnz .LBB27_81
; %bb.80:
	s_delay_alu instid0(VALU_DEP_1) | instskip(SKIP_3) | instid1(SALU_CYCLE_1)
	v_dual_mov_b32 v0, v81 :: v_dual_mov_b32 v1, v40
	s_getpc_b64 s[0:1]
	s_add_u32 s0, s0, _ZN12_GLOBAL__N_111calc_igammaIfEET_S1_S1_@rel32@lo+4
	s_addc_u32 s1, s1, _ZN12_GLOBAL__N_111calc_igammaIfEET_S1_S1_@rel32@hi+12
	s_swappc_b64 s[30:31], s[0:1]
	v_mov_b32_e32 v89, v0
	s_cbranch_execz .LBB27_82
	s_branch .LBB27_83
.LBB27_81:
.LBB27_82:
	s_delay_alu instid0(VALU_DEP_1) | instskip(SKIP_3) | instid1(SALU_CYCLE_1)
	v_dual_mov_b32 v0, v81 :: v_dual_mov_b32 v1, v40
	s_getpc_b64 s[0:1]
	s_add_u32 s0, s0, _ZN12_GLOBAL__N_112calc_igammacIfEET_S1_S1_@rel32@lo+4
	s_addc_u32 s1, s1, _ZN12_GLOBAL__N_112calc_igammacIfEET_S1_S1_@rel32@hi+12
	s_swappc_b64 s[30:31], s[0:1]
	v_mov_b32_e32 v89, v0
.LBB27_83:
	s_waitcnt vmcnt(2)
	v_lshlrev_b32_e32 v40, 16, v95
	s_and_b32 vcc_lo, exec_lo, s39
	s_cbranch_vccnz .LBB27_85
; %bb.84:
	s_delay_alu instid0(VALU_DEP_1) | instskip(SKIP_3) | instid1(SALU_CYCLE_1)
	v_dual_mov_b32 v0, v70 :: v_dual_mov_b32 v1, v40
	s_getpc_b64 s[0:1]
	s_add_u32 s0, s0, _ZN12_GLOBAL__N_111calc_igammaIfEET_S1_S1_@rel32@lo+4
	s_addc_u32 s1, s1, _ZN12_GLOBAL__N_111calc_igammaIfEET_S1_S1_@rel32@hi+12
	s_swappc_b64 s[30:31], s[0:1]
	v_mov_b32_e32 v78, v0
	s_cbranch_execz .LBB27_86
	s_branch .LBB27_87
.LBB27_85:
                                        ; implicit-def: $vgpr78
.LBB27_86:
	s_delay_alu instid0(VALU_DEP_1) | instskip(SKIP_3) | instid1(SALU_CYCLE_1)
	v_dual_mov_b32 v0, v70 :: v_dual_mov_b32 v1, v40
	s_getpc_b64 s[0:1]
	s_add_u32 s0, s0, _ZN12_GLOBAL__N_112calc_igammacIfEET_S1_S1_@rel32@lo+4
	s_addc_u32 s1, s1, _ZN12_GLOBAL__N_112calc_igammacIfEET_S1_S1_@rel32@hi+12
	s_swappc_b64 s[30:31], s[0:1]
	v_mov_b32_e32 v78, v0
.LBB27_87:
	v_and_b32_e32 v40, 0xffff0000, v95
	s_and_b32 vcc_lo, exec_lo, s39
	s_cbranch_vccnz .LBB27_89
; %bb.88:
	s_delay_alu instid0(VALU_DEP_1) | instskip(SKIP_3) | instid1(SALU_CYCLE_1)
	v_dual_mov_b32 v0, v71 :: v_dual_mov_b32 v1, v40
	s_getpc_b64 s[0:1]
	s_add_u32 s0, s0, _ZN12_GLOBAL__N_111calc_igammaIfEET_S1_S1_@rel32@lo+4
	s_addc_u32 s1, s1, _ZN12_GLOBAL__N_111calc_igammaIfEET_S1_S1_@rel32@hi+12
	s_swappc_b64 s[30:31], s[0:1]
	v_mov_b32_e32 v79, v0
	s_cbranch_execz .LBB27_90
	s_branch .LBB27_91
.LBB27_89:
.LBB27_90:
	s_delay_alu instid0(VALU_DEP_1) | instskip(SKIP_3) | instid1(SALU_CYCLE_1)
	v_dual_mov_b32 v0, v71 :: v_dual_mov_b32 v1, v40
	s_getpc_b64 s[0:1]
	s_add_u32 s0, s0, _ZN12_GLOBAL__N_112calc_igammacIfEET_S1_S1_@rel32@lo+4
	s_addc_u32 s1, s1, _ZN12_GLOBAL__N_112calc_igammacIfEET_S1_S1_@rel32@hi+12
	s_swappc_b64 s[30:31], s[0:1]
	v_mov_b32_e32 v79, v0
.LBB27_91:
	v_lshlrev_b32_e32 v40, 16, v96
	s_and_b32 vcc_lo, exec_lo, s39
	s_cbranch_vccnz .LBB27_93
; %bb.92:
	v_mov_b32_e32 v0, v72
	s_delay_alu instid0(VALU_DEP_2) | instskip(SKIP_3) | instid1(SALU_CYCLE_1)
	v_mov_b32_e32 v1, v40
	s_getpc_b64 s[0:1]
	s_add_u32 s0, s0, _ZN12_GLOBAL__N_111calc_igammaIfEET_S1_S1_@rel32@lo+4
	s_addc_u32 s1, s1, _ZN12_GLOBAL__N_111calc_igammaIfEET_S1_S1_@rel32@hi+12
	s_swappc_b64 s[30:31], s[0:1]
	v_mov_b32_e32 v80, v0
	s_cbranch_execz .LBB27_94
	s_branch .LBB27_95
.LBB27_93:
.LBB27_94:
	v_mov_b32_e32 v0, v72
	s_delay_alu instid0(VALU_DEP_2) | instskip(SKIP_3) | instid1(SALU_CYCLE_1)
	v_mov_b32_e32 v1, v40
	s_getpc_b64 s[0:1]
	s_add_u32 s0, s0, _ZN12_GLOBAL__N_112calc_igammacIfEET_S1_S1_@rel32@lo+4
	s_addc_u32 s1, s1, _ZN12_GLOBAL__N_112calc_igammacIfEET_S1_S1_@rel32@hi+12
	s_swappc_b64 s[30:31], s[0:1]
	v_mov_b32_e32 v80, v0
.LBB27_95:
	v_and_b32_e32 v40, 0xffff0000, v96
	s_and_b32 vcc_lo, exec_lo, s39
	s_cbranch_vccnz .LBB27_97
; %bb.96:
	s_delay_alu instid0(VALU_DEP_1) | instskip(SKIP_3) | instid1(SALU_CYCLE_1)
	v_dual_mov_b32 v0, v73 :: v_dual_mov_b32 v1, v40
	s_getpc_b64 s[0:1]
	s_add_u32 s0, s0, _ZN12_GLOBAL__N_111calc_igammaIfEET_S1_S1_@rel32@lo+4
	s_addc_u32 s1, s1, _ZN12_GLOBAL__N_111calc_igammaIfEET_S1_S1_@rel32@hi+12
	s_swappc_b64 s[30:31], s[0:1]
	v_mov_b32_e32 v81, v0
	s_cbranch_execz .LBB27_98
	s_branch .LBB27_99
.LBB27_97:
.LBB27_98:
	s_delay_alu instid0(VALU_DEP_1) | instskip(SKIP_3) | instid1(SALU_CYCLE_1)
	v_dual_mov_b32 v0, v73 :: v_dual_mov_b32 v1, v40
	s_getpc_b64 s[0:1]
	s_add_u32 s0, s0, _ZN12_GLOBAL__N_112calc_igammacIfEET_S1_S1_@rel32@lo+4
	s_addc_u32 s1, s1, _ZN12_GLOBAL__N_112calc_igammacIfEET_S1_S1_@rel32@hi+12
	s_swappc_b64 s[30:31], s[0:1]
	v_mov_b32_e32 v81, v0
.LBB27_99:
	s_waitcnt vmcnt(1)
	v_lshlrev_b32_e32 v40, 16, v93
	s_and_b32 vcc_lo, exec_lo, s39
	s_cbranch_vccnz .LBB27_101
; %bb.100:
	s_delay_alu instid0(VALU_DEP_1) | instskip(SKIP_3) | instid1(SALU_CYCLE_1)
	v_dual_mov_b32 v0, v66 :: v_dual_mov_b32 v1, v40
	s_getpc_b64 s[0:1]
	s_add_u32 s0, s0, _ZN12_GLOBAL__N_111calc_igammaIfEET_S1_S1_@rel32@lo+4
	s_addc_u32 s1, s1, _ZN12_GLOBAL__N_111calc_igammaIfEET_S1_S1_@rel32@hi+12
	s_swappc_b64 s[30:31], s[0:1]
	v_mov_b32_e32 v70, v0
	s_cbranch_execz .LBB27_102
	s_branch .LBB27_103
.LBB27_101:
                                        ; implicit-def: $vgpr70
.LBB27_102:
	s_delay_alu instid0(VALU_DEP_1) | instskip(SKIP_3) | instid1(SALU_CYCLE_1)
	v_dual_mov_b32 v0, v66 :: v_dual_mov_b32 v1, v40
	s_getpc_b64 s[0:1]
	s_add_u32 s0, s0, _ZN12_GLOBAL__N_112calc_igammacIfEET_S1_S1_@rel32@lo+4
	s_addc_u32 s1, s1, _ZN12_GLOBAL__N_112calc_igammacIfEET_S1_S1_@rel32@hi+12
	s_swappc_b64 s[30:31], s[0:1]
	v_mov_b32_e32 v70, v0
.LBB27_103:
	v_and_b32_e32 v40, 0xffff0000, v93
	s_and_b32 vcc_lo, exec_lo, s39
	s_cbranch_vccnz .LBB27_105
; %bb.104:
	s_delay_alu instid0(VALU_DEP_1) | instskip(SKIP_3) | instid1(SALU_CYCLE_1)
	v_dual_mov_b32 v0, v67 :: v_dual_mov_b32 v1, v40
	s_getpc_b64 s[0:1]
	s_add_u32 s0, s0, _ZN12_GLOBAL__N_111calc_igammaIfEET_S1_S1_@rel32@lo+4
	s_addc_u32 s1, s1, _ZN12_GLOBAL__N_111calc_igammaIfEET_S1_S1_@rel32@hi+12
	s_swappc_b64 s[30:31], s[0:1]
	v_mov_b32_e32 v71, v0
	s_cbranch_execz .LBB27_106
	s_branch .LBB27_107
.LBB27_105:
.LBB27_106:
	s_delay_alu instid0(VALU_DEP_1) | instskip(SKIP_3) | instid1(SALU_CYCLE_1)
	v_dual_mov_b32 v0, v67 :: v_dual_mov_b32 v1, v40
	s_getpc_b64 s[0:1]
	s_add_u32 s0, s0, _ZN12_GLOBAL__N_112calc_igammacIfEET_S1_S1_@rel32@lo+4
	s_addc_u32 s1, s1, _ZN12_GLOBAL__N_112calc_igammacIfEET_S1_S1_@rel32@hi+12
	s_swappc_b64 s[30:31], s[0:1]
	v_mov_b32_e32 v71, v0
.LBB27_107:
	v_lshlrev_b32_e32 v40, 16, v94
	s_and_b32 vcc_lo, exec_lo, s39
	s_cbranch_vccnz .LBB27_109
; %bb.108:
	v_mov_b32_e32 v0, v68
	s_delay_alu instid0(VALU_DEP_2) | instskip(SKIP_3) | instid1(SALU_CYCLE_1)
	v_mov_b32_e32 v1, v40
	s_getpc_b64 s[0:1]
	s_add_u32 s0, s0, _ZN12_GLOBAL__N_111calc_igammaIfEET_S1_S1_@rel32@lo+4
	s_addc_u32 s1, s1, _ZN12_GLOBAL__N_111calc_igammaIfEET_S1_S1_@rel32@hi+12
	s_swappc_b64 s[30:31], s[0:1]
	v_mov_b32_e32 v72, v0
	s_cbranch_execz .LBB27_110
	s_branch .LBB27_111
.LBB27_109:
.LBB27_110:
	v_mov_b32_e32 v0, v68
	s_delay_alu instid0(VALU_DEP_2) | instskip(SKIP_3) | instid1(SALU_CYCLE_1)
	v_mov_b32_e32 v1, v40
	s_getpc_b64 s[0:1]
	s_add_u32 s0, s0, _ZN12_GLOBAL__N_112calc_igammacIfEET_S1_S1_@rel32@lo+4
	s_addc_u32 s1, s1, _ZN12_GLOBAL__N_112calc_igammacIfEET_S1_S1_@rel32@hi+12
	s_swappc_b64 s[30:31], s[0:1]
	v_mov_b32_e32 v72, v0
.LBB27_111:
	v_and_b32_e32 v40, 0xffff0000, v94
	s_and_b32 vcc_lo, exec_lo, s39
	s_cbranch_vccnz .LBB27_113
; %bb.112:
	s_delay_alu instid0(VALU_DEP_1) | instskip(SKIP_3) | instid1(SALU_CYCLE_1)
	v_dual_mov_b32 v0, v69 :: v_dual_mov_b32 v1, v40
	s_getpc_b64 s[0:1]
	s_add_u32 s0, s0, _ZN12_GLOBAL__N_111calc_igammaIfEET_S1_S1_@rel32@lo+4
	s_addc_u32 s1, s1, _ZN12_GLOBAL__N_111calc_igammaIfEET_S1_S1_@rel32@hi+12
	s_swappc_b64 s[30:31], s[0:1]
	v_mov_b32_e32 v73, v0
	s_cbranch_execz .LBB27_114
	s_branch .LBB27_115
.LBB27_113:
.LBB27_114:
	s_delay_alu instid0(VALU_DEP_1) | instskip(SKIP_3) | instid1(SALU_CYCLE_1)
	v_dual_mov_b32 v0, v69 :: v_dual_mov_b32 v1, v40
	s_getpc_b64 s[0:1]
	s_add_u32 s0, s0, _ZN12_GLOBAL__N_112calc_igammacIfEET_S1_S1_@rel32@lo+4
	s_addc_u32 s1, s1, _ZN12_GLOBAL__N_112calc_igammacIfEET_S1_S1_@rel32@hi+12
	s_swappc_b64 s[30:31], s[0:1]
	v_mov_b32_e32 v73, v0
.LBB27_115:
	s_waitcnt vmcnt(0)
	v_lshlrev_b32_e32 v40, 16, v91
	s_and_b32 vcc_lo, exec_lo, s39
	s_cbranch_vccnz .LBB27_117
; %bb.116:
	s_delay_alu instid0(VALU_DEP_1) | instskip(SKIP_3) | instid1(SALU_CYCLE_1)
	v_dual_mov_b32 v0, v42 :: v_dual_mov_b32 v1, v40
	s_getpc_b64 s[0:1]
	s_add_u32 s0, s0, _ZN12_GLOBAL__N_111calc_igammaIfEET_S1_S1_@rel32@lo+4
	s_addc_u32 s1, s1, _ZN12_GLOBAL__N_111calc_igammaIfEET_S1_S1_@rel32@hi+12
	s_swappc_b64 s[30:31], s[0:1]
	v_mov_b32_e32 v66, v0
	s_cbranch_execz .LBB27_118
	s_branch .LBB27_119
.LBB27_117:
                                        ; implicit-def: $vgpr66
.LBB27_118:
	s_delay_alu instid0(VALU_DEP_1) | instskip(SKIP_3) | instid1(SALU_CYCLE_1)
	v_dual_mov_b32 v0, v42 :: v_dual_mov_b32 v1, v40
	s_getpc_b64 s[0:1]
	s_add_u32 s0, s0, _ZN12_GLOBAL__N_112calc_igammacIfEET_S1_S1_@rel32@lo+4
	s_addc_u32 s1, s1, _ZN12_GLOBAL__N_112calc_igammacIfEET_S1_S1_@rel32@hi+12
	s_swappc_b64 s[30:31], s[0:1]
	v_mov_b32_e32 v66, v0
.LBB27_119:
	v_and_b32_e32 v40, 0xffff0000, v91
	s_and_b32 vcc_lo, exec_lo, s39
	s_cbranch_vccnz .LBB27_121
; %bb.120:
	s_delay_alu instid0(VALU_DEP_1) | instskip(SKIP_3) | instid1(SALU_CYCLE_1)
	v_dual_mov_b32 v0, v43 :: v_dual_mov_b32 v1, v40
	s_getpc_b64 s[0:1]
	s_add_u32 s0, s0, _ZN12_GLOBAL__N_111calc_igammaIfEET_S1_S1_@rel32@lo+4
	s_addc_u32 s1, s1, _ZN12_GLOBAL__N_111calc_igammaIfEET_S1_S1_@rel32@hi+12
	s_swappc_b64 s[30:31], s[0:1]
	v_mov_b32_e32 v67, v0
	s_cbranch_execz .LBB27_122
	s_branch .LBB27_123
.LBB27_121:
.LBB27_122:
	s_delay_alu instid0(VALU_DEP_1) | instskip(SKIP_3) | instid1(SALU_CYCLE_1)
	v_dual_mov_b32 v0, v43 :: v_dual_mov_b32 v1, v40
	s_getpc_b64 s[0:1]
	s_add_u32 s0, s0, _ZN12_GLOBAL__N_112calc_igammacIfEET_S1_S1_@rel32@lo+4
	s_addc_u32 s1, s1, _ZN12_GLOBAL__N_112calc_igammacIfEET_S1_S1_@rel32@hi+12
	s_swappc_b64 s[30:31], s[0:1]
	v_mov_b32_e32 v67, v0
.LBB27_123:
	v_lshlrev_b32_e32 v40, 16, v92
	s_and_b32 vcc_lo, exec_lo, s39
	s_cbranch_vccnz .LBB27_125
; %bb.124:
	v_mov_b32_e32 v0, v44
	s_delay_alu instid0(VALU_DEP_2) | instskip(SKIP_3) | instid1(SALU_CYCLE_1)
	v_mov_b32_e32 v1, v40
	s_getpc_b64 s[0:1]
	s_add_u32 s0, s0, _ZN12_GLOBAL__N_111calc_igammaIfEET_S1_S1_@rel32@lo+4
	s_addc_u32 s1, s1, _ZN12_GLOBAL__N_111calc_igammaIfEET_S1_S1_@rel32@hi+12
	s_swappc_b64 s[30:31], s[0:1]
	v_mov_b32_e32 v68, v0
	s_cbranch_execz .LBB27_126
	s_branch .LBB27_127
.LBB27_125:
.LBB27_126:
	v_mov_b32_e32 v0, v44
	s_delay_alu instid0(VALU_DEP_2) | instskip(SKIP_3) | instid1(SALU_CYCLE_1)
	v_mov_b32_e32 v1, v40
	s_getpc_b64 s[0:1]
	s_add_u32 s0, s0, _ZN12_GLOBAL__N_112calc_igammacIfEET_S1_S1_@rel32@lo+4
	s_addc_u32 s1, s1, _ZN12_GLOBAL__N_112calc_igammacIfEET_S1_S1_@rel32@hi+12
	s_swappc_b64 s[30:31], s[0:1]
	v_mov_b32_e32 v68, v0
.LBB27_127:
	v_and_b32_e32 v40, 0xffff0000, v92
	s_and_b32 vcc_lo, exec_lo, s39
	s_cbranch_vccnz .LBB27_129
; %bb.128:
	s_delay_alu instid0(VALU_DEP_1) | instskip(SKIP_3) | instid1(SALU_CYCLE_1)
	v_dual_mov_b32 v0, v45 :: v_dual_mov_b32 v1, v40
	s_getpc_b64 s[0:1]
	s_add_u32 s0, s0, _ZN12_GLOBAL__N_111calc_igammaIfEET_S1_S1_@rel32@lo+4
	s_addc_u32 s1, s1, _ZN12_GLOBAL__N_111calc_igammaIfEET_S1_S1_@rel32@hi+12
	s_swappc_b64 s[30:31], s[0:1]
	v_mov_b32_e32 v69, v0
	s_cbranch_execz .LBB27_130
	s_branch .LBB27_131
.LBB27_129:
.LBB27_130:
	s_delay_alu instid0(VALU_DEP_1) | instskip(SKIP_3) | instid1(SALU_CYCLE_1)
	v_dual_mov_b32 v0, v45 :: v_dual_mov_b32 v1, v40
	s_getpc_b64 s[0:1]
	s_add_u32 s0, s0, _ZN12_GLOBAL__N_112calc_igammacIfEET_S1_S1_@rel32@lo+4
	s_addc_u32 s1, s1, _ZN12_GLOBAL__N_112calc_igammacIfEET_S1_S1_@rel32@hi+12
	s_swappc_b64 s[30:31], s[0:1]
	v_mov_b32_e32 v69, v0
.LBB27_131:
	s_add_u32 s2, s40, s46
	s_addc_u32 s3, s41, s47
	v_add_co_u32 v6, s0, s2, v106
	s_delay_alu instid0(VALU_DEP_1) | instskip(NEXT) | instid1(VALU_DEP_2)
	v_add_co_ci_u32_e64 v7, null, s3, 0, s0
	v_add_co_u32 v0, vcc_lo, 0x2000, v6
	s_delay_alu instid0(VALU_DEP_2)
	v_add_co_ci_u32_e32 v1, vcc_lo, 0, v7, vcc_lo
	v_add_co_u32 v2, vcc_lo, 0x6000, v6
	v_add_co_ci_u32_e32 v3, vcc_lo, 0, v7, vcc_lo
	v_add_co_u32 v4, vcc_lo, 0xa000, v6
	;; [unrolled: 2-line block ×3, first 2 shown]
	s_clause 0x1
	global_store_b128 v106, v[56:59], s[2:3]
	global_store_b128 v107, v[74:77], s[2:3]
	v_add_co_ci_u32_e32 v7, vcc_lo, 0, v7, vcc_lo
	s_clause 0x5
	global_store_b128 v[0:1], v[60:63], off
	global_store_b128 v[2:3], v[82:85], off
	global_store_b128 v47, v[86:89], s[2:3]
	global_store_b128 v105, v[70:73], s[2:3]
	global_store_b128 v[4:5], v[78:81], off
	global_store_b128 v[6:7], v[66:69], off
	s_branch .LBB27_2
.LBB27_132:
	s_clause 0x1
	s_load_b32 s6, s[36:37], 0x24
	s_load_b128 s[0:3], s[36:37], 0x28
	v_cndmask_b32_e64 v0, 0, 1, s49
	v_dual_mov_b32 v31, v46 :: v_dual_mov_b32 v2, s41
	v_dual_mov_b32 v1, s40 :: v_dual_mov_b32 v4, s43
	;; [unrolled: 1-line block ×3, first 2 shown]
	v_mov_b32_e32 v5, s44
	v_mov_b32_e32 v7, s48
	s_add_u32 s8, s36, 56
	s_addc_u32 s9, s37, 0
	s_mov_b32 s12, s38
	s_getpc_b64 s[4:5]
	s_add_u32 s4, s4, _ZN2at6native25elementwise_kernel_helperILb1EN12_GLOBAL__N_110CalcIgammaIfEENS0_6memory8policies11unroll_baseILi512ESt5arrayIPcLm3EE23TrivialOffsetCalculatorILi2EjESB_ILi1EjENS5_12LoadWithCastILi2EEENS5_13StoreWithCastILi1EEELi32ELi1EEEEEvT0_T1_@rel32@lo+4
	s_addc_u32 s5, s5, _ZN2at6native25elementwise_kernel_helperILb1EN12_GLOBAL__N_110CalcIgammaIfEENS0_6memory8policies11unroll_baseILi512ESt5arrayIPcLm3EE23TrivialOffsetCalculatorILi2EjESB_ILi1EjENS5_12LoadWithCastILi2EEENS5_13StoreWithCastILi1EEELi32ELi1EEEEEvT0_T1_@rel32@hi+12
	s_waitcnt lgkmcnt(0)
	v_lshrrev_b16 v9, 8, s6
	v_mov_b32_e32 v10, s0
	v_dual_mov_b32 v8, s6 :: v_dual_mov_b32 v11, s1
	v_dual_mov_b32 v12, s2 :: v_dual_mov_b32 v13, s3
	s_swappc_b64 s[30:31], s[4:5]
	s_endpgm
	.section	.rodata,"a",@progbits
	.p2align	6, 0x0
	.amdhsa_kernel _ZN2at6native39vectorized_templated_elementwise_kernelILi4EN12_GLOBAL__N_110CalcIgammaIfEESt5arrayIPcLm3EE23TrivialOffsetCalculatorILi2EjES8_ILi1EjENS0_6memory12LoadWithCastILi2EEENSB_13StoreWithCastILi1EEEfJfN3c108BFloat16EEEEviT0_T1_T2_T3_T4_T5_
		.amdhsa_group_segment_fixed_size 0
		.amdhsa_private_segment_fixed_size 448
		.amdhsa_kernarg_size 312
		.amdhsa_user_sgpr_count 15
		.amdhsa_user_sgpr_dispatch_ptr 0
		.amdhsa_user_sgpr_queue_ptr 0
		.amdhsa_user_sgpr_kernarg_segment_ptr 1
		.amdhsa_user_sgpr_dispatch_id 0
		.amdhsa_user_sgpr_private_segment_size 0
		.amdhsa_wavefront_size32 1
		.amdhsa_uses_dynamic_stack 0
		.amdhsa_enable_private_segment 1
		.amdhsa_system_sgpr_workgroup_id_x 1
		.amdhsa_system_sgpr_workgroup_id_y 0
		.amdhsa_system_sgpr_workgroup_id_z 0
		.amdhsa_system_sgpr_workgroup_info 0
		.amdhsa_system_vgpr_workitem_id 0
		.amdhsa_next_free_vgpr 147
		.amdhsa_next_free_sgpr 77
		.amdhsa_reserve_vcc 1
		.amdhsa_float_round_mode_32 0
		.amdhsa_float_round_mode_16_64 0
		.amdhsa_float_denorm_mode_32 3
		.amdhsa_float_denorm_mode_16_64 3
		.amdhsa_dx10_clamp 1
		.amdhsa_ieee_mode 1
		.amdhsa_fp16_overflow 0
		.amdhsa_workgroup_processor_mode 1
		.amdhsa_memory_ordered 1
		.amdhsa_forward_progress 0
		.amdhsa_shared_vgpr_count 0
		.amdhsa_exception_fp_ieee_invalid_op 0
		.amdhsa_exception_fp_denorm_src 0
		.amdhsa_exception_fp_ieee_div_zero 0
		.amdhsa_exception_fp_ieee_overflow 0
		.amdhsa_exception_fp_ieee_underflow 0
		.amdhsa_exception_fp_ieee_inexact 0
		.amdhsa_exception_int_div_zero 0
	.end_amdhsa_kernel
	.section	.text._ZN2at6native39vectorized_templated_elementwise_kernelILi4EN12_GLOBAL__N_110CalcIgammaIfEESt5arrayIPcLm3EE23TrivialOffsetCalculatorILi2EjES8_ILi1EjENS0_6memory12LoadWithCastILi2EEENSB_13StoreWithCastILi1EEEfJfN3c108BFloat16EEEEviT0_T1_T2_T3_T4_T5_,"axG",@progbits,_ZN2at6native39vectorized_templated_elementwise_kernelILi4EN12_GLOBAL__N_110CalcIgammaIfEESt5arrayIPcLm3EE23TrivialOffsetCalculatorILi2EjES8_ILi1EjENS0_6memory12LoadWithCastILi2EEENSB_13StoreWithCastILi1EEEfJfN3c108BFloat16EEEEviT0_T1_T2_T3_T4_T5_,comdat
.Lfunc_end27:
	.size	_ZN2at6native39vectorized_templated_elementwise_kernelILi4EN12_GLOBAL__N_110CalcIgammaIfEESt5arrayIPcLm3EE23TrivialOffsetCalculatorILi2EjES8_ILi1EjENS0_6memory12LoadWithCastILi2EEENSB_13StoreWithCastILi1EEEfJfN3c108BFloat16EEEEviT0_T1_T2_T3_T4_T5_, .Lfunc_end27-_ZN2at6native39vectorized_templated_elementwise_kernelILi4EN12_GLOBAL__N_110CalcIgammaIfEESt5arrayIPcLm3EE23TrivialOffsetCalculatorILi2EjES8_ILi1EjENS0_6memory12LoadWithCastILi2EEENSB_13StoreWithCastILi1EEEfJfN3c108BFloat16EEEEviT0_T1_T2_T3_T4_T5_
                                        ; -- End function
	.section	.AMDGPU.csdata,"",@progbits
; Kernel info:
; codeLenInByte = 4144
; NumSgprs: 79
; NumVgprs: 147
; ScratchSize: 448
; MemoryBound: 0
; FloatMode: 240
; IeeeMode: 1
; LDSByteSize: 0 bytes/workgroup (compile time only)
; SGPRBlocks: 9
; VGPRBlocks: 18
; NumSGPRsForWavesPerEU: 79
; NumVGPRsForWavesPerEU: 147
; Occupancy: 9
; WaveLimiterHint : 0
; COMPUTE_PGM_RSRC2:SCRATCH_EN: 1
; COMPUTE_PGM_RSRC2:USER_SGPR: 15
; COMPUTE_PGM_RSRC2:TRAP_HANDLER: 0
; COMPUTE_PGM_RSRC2:TGID_X_EN: 1
; COMPUTE_PGM_RSRC2:TGID_Y_EN: 0
; COMPUTE_PGM_RSRC2:TGID_Z_EN: 0
; COMPUTE_PGM_RSRC2:TIDIG_COMP_CNT: 0
	.section	.text._ZN2at6native39vectorized_templated_elementwise_kernelILi2EN12_GLOBAL__N_110CalcIgammaIfEESt5arrayIPcLm3EE23TrivialOffsetCalculatorILi2EjES8_ILi1EjENS0_6memory12LoadWithCastILi2EEENSB_13StoreWithCastILi1EEEfJfN3c108BFloat16EEEEviT0_T1_T2_T3_T4_T5_,"axG",@progbits,_ZN2at6native39vectorized_templated_elementwise_kernelILi2EN12_GLOBAL__N_110CalcIgammaIfEESt5arrayIPcLm3EE23TrivialOffsetCalculatorILi2EjES8_ILi1EjENS0_6memory12LoadWithCastILi2EEENSB_13StoreWithCastILi1EEEfJfN3c108BFloat16EEEEviT0_T1_T2_T3_T4_T5_,comdat
	.globl	_ZN2at6native39vectorized_templated_elementwise_kernelILi2EN12_GLOBAL__N_110CalcIgammaIfEESt5arrayIPcLm3EE23TrivialOffsetCalculatorILi2EjES8_ILi1EjENS0_6memory12LoadWithCastILi2EEENSB_13StoreWithCastILi1EEEfJfN3c108BFloat16EEEEviT0_T1_T2_T3_T4_T5_ ; -- Begin function _ZN2at6native39vectorized_templated_elementwise_kernelILi2EN12_GLOBAL__N_110CalcIgammaIfEESt5arrayIPcLm3EE23TrivialOffsetCalculatorILi2EjES8_ILi1EjENS0_6memory12LoadWithCastILi2EEENSB_13StoreWithCastILi1EEEfJfN3c108BFloat16EEEEviT0_T1_T2_T3_T4_T5_
	.p2align	8
	.type	_ZN2at6native39vectorized_templated_elementwise_kernelILi2EN12_GLOBAL__N_110CalcIgammaIfEESt5arrayIPcLm3EE23TrivialOffsetCalculatorILi2EjES8_ILi1EjENS0_6memory12LoadWithCastILi2EEENSB_13StoreWithCastILi1EEEfJfN3c108BFloat16EEEEviT0_T1_T2_T3_T4_T5_,@function
_ZN2at6native39vectorized_templated_elementwise_kernelILi2EN12_GLOBAL__N_110CalcIgammaIfEESt5arrayIPcLm3EE23TrivialOffsetCalculatorILi2EjES8_ILi1EjENS0_6memory12LoadWithCastILi2EEENSB_13StoreWithCastILi1EEEfJfN3c108BFloat16EEEEviT0_T1_T2_T3_T4_T5_: ; @_ZN2at6native39vectorized_templated_elementwise_kernelILi2EN12_GLOBAL__N_110CalcIgammaIfEESt5arrayIPcLm3EE23TrivialOffsetCalculatorILi2EjES8_ILi1EjENS0_6memory12LoadWithCastILi2EEENSB_13StoreWithCastILi1EEEfJfN3c108BFloat16EEEEviT0_T1_T2_T3_T4_T5_
; %bb.0:
	s_mov_b64 s[36:37], s[0:1]
	s_clause 0x1
	s_load_b64 s[2:3], s[0:1], 0x0
	s_load_b32 s0, s[0:1], 0x38
	s_clause 0x1
	s_load_b64 s[44:45], s[36:37], 0x18
	s_load_b128 s[40:43], s[36:37], 0x8
	v_mov_b32_e32 v87, v0
	s_mov_b32 s38, s15
	s_mov_b32 s32, 0
	s_waitcnt lgkmcnt(0)
	s_bitcmp1_b32 s3, 0
	s_cselect_b32 s49, -1, 0
	s_not_b32 s1, s15
	s_delay_alu instid0(SALU_CYCLE_1) | instskip(SKIP_2) | instid1(SALU_CYCLE_1)
	s_add_i32 s0, s0, s1
	s_mov_b32 s1, -1
	s_lshl_b32 s0, s0, 14
	s_sub_i32 s48, s2, s0
	s_delay_alu instid0(SALU_CYCLE_1)
	s_cmpk_gt_i32 s48, 0x3fff
	s_cbranch_scc1 .LBB28_3
; %bb.1:
	s_and_b32 vcc_lo, exec_lo, s1
	s_cbranch_vccnz .LBB28_132
.LBB28_2:
	s_endpgm
.LBB28_3:
	s_ashr_i32 s1, s0, 31
	v_lshlrev_b32_e32 v88, 3, v87
	s_lshl_b64 s[46:47], s[0:1], 2
	s_xor_b32 s50, s49, -1
	s_add_u32 s2, s42, s46
	s_addc_u32 s3, s43, s47
	v_add_co_u32 v4, s4, s2, v88
	s_delay_alu instid0(VALU_DEP_1) | instskip(SKIP_1) | instid1(VALU_DEP_3)
	v_add_co_ci_u32_e64 v5, null, s3, 0, s4
	v_or_b32_e32 v6, 0x400, v87
	v_add_co_u32 v0, vcc_lo, 0x1000, v4
	s_delay_alu instid0(VALU_DEP_3) | instskip(SKIP_1) | instid1(VALU_DEP_4)
	v_add_co_ci_u32_e32 v1, vcc_lo, 0, v5, vcc_lo
	v_add_co_u32 v2, vcc_lo, 0x3000, v4
	v_lshlrev_b32_e32 v91, 3, v6
	v_or_b32_e32 v7, 0x800, v87
	v_add_co_ci_u32_e32 v3, vcc_lo, 0, v5, vcc_lo
	v_or_b32_e32 v8, 0xc00, v87
	s_clause 0x3
	global_load_b64 v[56:57], v88, s[2:3]
	global_load_b64 v[60:61], v[0:1], off
	global_load_b64 v[66:67], v91, s[2:3]
	global_load_b64 v[70:71], v[2:3], off
	v_add_co_u32 v0, vcc_lo, 0x5000, v4
	v_lshlrev_b32_e32 v93, 3, v7
	v_add_co_ci_u32_e32 v1, vcc_lo, 0, v5, vcc_lo
	v_add_co_u32 v2, vcc_lo, 0x7000, v4
	v_lshlrev_b32_e32 v95, 3, v8
	v_or_b32_e32 v9, 0x1000, v87
	v_add_co_ci_u32_e32 v3, vcc_lo, 0, v5, vcc_lo
	v_or_b32_e32 v10, 0x1400, v87
	s_clause 0x3
	global_load_b64 v[74:75], v93, s[2:3]
	global_load_b64 v[78:79], v[0:1], off
	global_load_b64 v[85:86], v95, s[2:3]
	global_load_b64 v[83:84], v[2:3], off
	v_add_co_u32 v0, vcc_lo, 0x9000, v4
	v_lshlrev_b32_e32 v89, 3, v9
	v_add_co_ci_u32_e32 v1, vcc_lo, 0, v5, vcc_lo
	v_add_co_u32 v2, vcc_lo, 0xb000, v4
	v_lshlrev_b32_e32 v90, 3, v10
	v_or_b32_e32 v11, 0x1800, v87
	v_add_co_ci_u32_e32 v3, vcc_lo, 0, v5, vcc_lo
	v_or_b32_e32 v12, 0x1c00, v87
	s_clause 0x3
	global_load_b64 v[80:81], v89, s[2:3]
	global_load_b64 v[76:77], v[0:1], off
	global_load_b64 v[72:73], v90, s[2:3]
	global_load_b64 v[68:69], v[2:3], off
	v_add_co_u32 v0, vcc_lo, 0xd000, v4
	v_lshlrev_b32_e32 v92, 3, v11
	v_add_co_ci_u32_e32 v1, vcc_lo, 0, v5, vcc_lo
	v_lshlrev_b32_e32 v13, 2, v87
	v_add_co_u32 v2, vcc_lo, 0xf000, v4
	s_lshl_b64 s[0:1], s[0:1], 1
	v_lshlrev_b32_e32 v94, 3, v12
	v_add_co_ci_u32_e32 v3, vcc_lo, 0, v5, vcc_lo
	s_add_u32 s0, s44, s0
	s_clause 0x3
	global_load_b64 v[62:63], v92, s[2:3]
	global_load_b64 v[58:59], v[0:1], off
	global_load_b64 v[46:47], v94, s[2:3]
	global_load_b64 v[42:43], v[2:3], off
	s_addc_u32 s1, s45, s1
	v_add_co_u32 v14, s2, s0, v13
	s_delay_alu instid0(VALU_DEP_1) | instskip(SKIP_1) | instid1(VALU_DEP_3)
	v_add_co_ci_u32_e64 v15, null, s1, 0, s2
	v_lshlrev_b32_e32 v6, 2, v6
	v_add_co_u32 v0, vcc_lo, 0x1000, v14
	s_delay_alu instid0(VALU_DEP_3)
	v_add_co_ci_u32_e32 v1, vcc_lo, 0, v15, vcc_lo
	v_add_co_u32 v2, vcc_lo, 0x2000, v14
	v_add_co_ci_u32_e32 v3, vcc_lo, 0, v15, vcc_lo
	v_add_co_u32 v4, vcc_lo, 0x3000, v14
	v_lshlrev_b32_e32 v7, 2, v7
	v_add_co_ci_u32_e32 v5, vcc_lo, 0, v15, vcc_lo
	v_lshlrev_b32_e32 v8, 2, v8
	s_clause 0x7
	global_load_b32 v45, v13, s[0:1]
	global_load_b32 v109, v13, s[0:1] offset:2048
	global_load_b32 v108, v6, s[0:1]
	global_load_b32 v107, v[0:1], off offset:2048
	global_load_b32 v106, v7, s[0:1]
	global_load_b32 v105, v[2:3], off offset:2048
	;; [unrolled: 2-line block ×3, first 2 shown]
	v_add_co_u32 v0, vcc_lo, 0x4000, v14
	v_add_co_ci_u32_e32 v1, vcc_lo, 0, v15, vcc_lo
	v_add_co_u32 v2, vcc_lo, 0x5000, v14
	v_add_co_ci_u32_e32 v3, vcc_lo, 0, v15, vcc_lo
	v_lshlrev_b32_e32 v8, 2, v9
	v_add_co_u32 v4, vcc_lo, 0x6000, v14
	v_lshlrev_b32_e32 v9, 2, v10
	v_add_co_ci_u32_e32 v5, vcc_lo, 0, v15, vcc_lo
	v_add_co_u32 v6, vcc_lo, 0x7000, v14
	v_lshlrev_b32_e32 v10, 2, v11
	v_lshlrev_b32_e32 v11, 2, v12
	v_add_co_ci_u32_e32 v7, vcc_lo, 0, v15, vcc_lo
	s_clause 0x7
	global_load_b32 v103, v8, s[0:1]
	global_load_b32 v102, v[0:1], off offset:2048
	global_load_b32 v101, v9, s[0:1]
	global_load_b32 v100, v[2:3], off offset:2048
	;; [unrolled: 2-line block ×4, first 2 shown]
	s_and_b32 vcc_lo, exec_lo, s50
	s_mov_b32 s39, 0
	s_waitcnt vmcnt(15)
	v_lshlrev_b32_e32 v40, 16, v45
	s_cbranch_vccz .LBB28_5
; %bb.4:
	v_mov_b32_e32 v0, v56
	s_delay_alu instid0(VALU_DEP_2) | instskip(SKIP_3) | instid1(SALU_CYCLE_1)
	v_mov_b32_e32 v1, v40
	s_getpc_b64 s[0:1]
	s_add_u32 s0, s0, _ZN12_GLOBAL__N_111calc_igammaIfEET_S1_S1_@rel32@lo+4
	s_addc_u32 s1, s1, _ZN12_GLOBAL__N_111calc_igammaIfEET_S1_S1_@rel32@hi+12
	s_swappc_b64 s[30:31], s[0:1]
	v_mov_b32_e32 v44, v0
	s_and_not1_b32 vcc_lo, exec_lo, s39
	s_cbranch_vccz .LBB28_6
	s_branch .LBB28_7
.LBB28_5:
                                        ; implicit-def: $vgpr44
.LBB28_6:
	v_mov_b32_e32 v0, v56
	s_delay_alu instid0(VALU_DEP_2) | instskip(SKIP_3) | instid1(SALU_CYCLE_1)
	v_mov_b32_e32 v1, v40
	s_getpc_b64 s[0:1]
	s_add_u32 s0, s0, _ZN12_GLOBAL__N_112calc_igammacIfEET_S1_S1_@rel32@lo+4
	s_addc_u32 s1, s1, _ZN12_GLOBAL__N_112calc_igammacIfEET_S1_S1_@rel32@hi+12
	s_swappc_b64 s[30:31], s[0:1]
	v_mov_b32_e32 v44, v0
.LBB28_7:
	v_cndmask_b32_e64 v0, 0, 1, s50
	v_and_b32_e32 v40, 0xffff0000, v45
	s_and_not1_b32 vcc_lo, exec_lo, s50
	s_delay_alu instid0(VALU_DEP_2)
	v_cmp_ne_u32_e64 s39, 1, v0
	s_cbranch_vccnz .LBB28_9
; %bb.8:
	s_delay_alu instid0(VALU_DEP_2) | instskip(SKIP_3) | instid1(SALU_CYCLE_1)
	v_dual_mov_b32 v0, v57 :: v_dual_mov_b32 v1, v40
	s_getpc_b64 s[0:1]
	s_add_u32 s0, s0, _ZN12_GLOBAL__N_111calc_igammaIfEET_S1_S1_@rel32@lo+4
	s_addc_u32 s1, s1, _ZN12_GLOBAL__N_111calc_igammaIfEET_S1_S1_@rel32@hi+12
	s_swappc_b64 s[30:31], s[0:1]
	v_mov_b32_e32 v45, v0
	s_cbranch_execz .LBB28_10
	s_branch .LBB28_11
.LBB28_9:
.LBB28_10:
	s_delay_alu instid0(VALU_DEP_2) | instskip(SKIP_3) | instid1(SALU_CYCLE_1)
	v_dual_mov_b32 v0, v57 :: v_dual_mov_b32 v1, v40
	s_getpc_b64 s[0:1]
	s_add_u32 s0, s0, _ZN12_GLOBAL__N_112calc_igammacIfEET_S1_S1_@rel32@lo+4
	s_addc_u32 s1, s1, _ZN12_GLOBAL__N_112calc_igammacIfEET_S1_S1_@rel32@hi+12
	s_swappc_b64 s[30:31], s[0:1]
	v_mov_b32_e32 v45, v0
.LBB28_11:
	s_waitcnt vmcnt(14)
	v_lshlrev_b32_e32 v40, 16, v109
	s_and_b32 vcc_lo, exec_lo, s39
	s_cbranch_vccnz .LBB28_13
; %bb.12:
	v_mov_b32_e32 v0, v60
	s_delay_alu instid0(VALU_DEP_2) | instskip(SKIP_3) | instid1(SALU_CYCLE_1)
	v_mov_b32_e32 v1, v40
	s_getpc_b64 s[0:1]
	s_add_u32 s0, s0, _ZN12_GLOBAL__N_111calc_igammaIfEET_S1_S1_@rel32@lo+4
	s_addc_u32 s1, s1, _ZN12_GLOBAL__N_111calc_igammaIfEET_S1_S1_@rel32@hi+12
	s_swappc_b64 s[30:31], s[0:1]
	v_mov_b32_e32 v56, v0
	s_cbranch_execz .LBB28_14
	s_branch .LBB28_15
.LBB28_13:
                                        ; implicit-def: $vgpr56
.LBB28_14:
	v_mov_b32_e32 v0, v60
	s_delay_alu instid0(VALU_DEP_2) | instskip(SKIP_3) | instid1(SALU_CYCLE_1)
	v_mov_b32_e32 v1, v40
	s_getpc_b64 s[0:1]
	s_add_u32 s0, s0, _ZN12_GLOBAL__N_112calc_igammacIfEET_S1_S1_@rel32@lo+4
	s_addc_u32 s1, s1, _ZN12_GLOBAL__N_112calc_igammacIfEET_S1_S1_@rel32@hi+12
	s_swappc_b64 s[30:31], s[0:1]
	v_mov_b32_e32 v56, v0
.LBB28_15:
	v_and_b32_e32 v40, 0xffff0000, v109
	s_and_b32 vcc_lo, exec_lo, s39
	s_cbranch_vccnz .LBB28_17
; %bb.16:
	s_delay_alu instid0(VALU_DEP_1) | instskip(SKIP_3) | instid1(SALU_CYCLE_1)
	v_dual_mov_b32 v0, v61 :: v_dual_mov_b32 v1, v40
	s_getpc_b64 s[0:1]
	s_add_u32 s0, s0, _ZN12_GLOBAL__N_111calc_igammaIfEET_S1_S1_@rel32@lo+4
	s_addc_u32 s1, s1, _ZN12_GLOBAL__N_111calc_igammaIfEET_S1_S1_@rel32@hi+12
	s_swappc_b64 s[30:31], s[0:1]
	v_mov_b32_e32 v57, v0
	s_cbranch_execz .LBB28_18
	s_branch .LBB28_19
.LBB28_17:
.LBB28_18:
	s_delay_alu instid0(VALU_DEP_1) | instskip(SKIP_3) | instid1(SALU_CYCLE_1)
	v_dual_mov_b32 v0, v61 :: v_dual_mov_b32 v1, v40
	s_getpc_b64 s[0:1]
	s_add_u32 s0, s0, _ZN12_GLOBAL__N_112calc_igammacIfEET_S1_S1_@rel32@lo+4
	s_addc_u32 s1, s1, _ZN12_GLOBAL__N_112calc_igammacIfEET_S1_S1_@rel32@hi+12
	s_swappc_b64 s[30:31], s[0:1]
	v_mov_b32_e32 v57, v0
.LBB28_19:
	s_waitcnt vmcnt(13)
	v_lshlrev_b32_e32 v40, 16, v108
	s_and_b32 vcc_lo, exec_lo, s39
	s_cbranch_vccnz .LBB28_21
; %bb.20:
	s_delay_alu instid0(VALU_DEP_1) | instskip(SKIP_3) | instid1(SALU_CYCLE_1)
	v_dual_mov_b32 v0, v66 :: v_dual_mov_b32 v1, v40
	s_getpc_b64 s[0:1]
	s_add_u32 s0, s0, _ZN12_GLOBAL__N_111calc_igammaIfEET_S1_S1_@rel32@lo+4
	s_addc_u32 s1, s1, _ZN12_GLOBAL__N_111calc_igammaIfEET_S1_S1_@rel32@hi+12
	s_swappc_b64 s[30:31], s[0:1]
	v_mov_b32_e32 v60, v0
	s_cbranch_execz .LBB28_22
	s_branch .LBB28_23
.LBB28_21:
                                        ; implicit-def: $vgpr60
.LBB28_22:
	s_delay_alu instid0(VALU_DEP_1) | instskip(SKIP_3) | instid1(SALU_CYCLE_1)
	v_dual_mov_b32 v0, v66 :: v_dual_mov_b32 v1, v40
	s_getpc_b64 s[0:1]
	s_add_u32 s0, s0, _ZN12_GLOBAL__N_112calc_igammacIfEET_S1_S1_@rel32@lo+4
	s_addc_u32 s1, s1, _ZN12_GLOBAL__N_112calc_igammacIfEET_S1_S1_@rel32@hi+12
	s_swappc_b64 s[30:31], s[0:1]
	v_mov_b32_e32 v60, v0
.LBB28_23:
	v_and_b32_e32 v40, 0xffff0000, v108
	s_and_b32 vcc_lo, exec_lo, s39
	s_cbranch_vccnz .LBB28_25
; %bb.24:
	s_delay_alu instid0(VALU_DEP_1) | instskip(SKIP_3) | instid1(SALU_CYCLE_1)
	v_dual_mov_b32 v0, v67 :: v_dual_mov_b32 v1, v40
	s_getpc_b64 s[0:1]
	s_add_u32 s0, s0, _ZN12_GLOBAL__N_111calc_igammaIfEET_S1_S1_@rel32@lo+4
	s_addc_u32 s1, s1, _ZN12_GLOBAL__N_111calc_igammaIfEET_S1_S1_@rel32@hi+12
	s_swappc_b64 s[30:31], s[0:1]
	v_mov_b32_e32 v61, v0
	s_cbranch_execz .LBB28_26
	s_branch .LBB28_27
.LBB28_25:
.LBB28_26:
	s_delay_alu instid0(VALU_DEP_1) | instskip(SKIP_3) | instid1(SALU_CYCLE_1)
	v_dual_mov_b32 v0, v67 :: v_dual_mov_b32 v1, v40
	s_getpc_b64 s[0:1]
	s_add_u32 s0, s0, _ZN12_GLOBAL__N_112calc_igammacIfEET_S1_S1_@rel32@lo+4
	s_addc_u32 s1, s1, _ZN12_GLOBAL__N_112calc_igammacIfEET_S1_S1_@rel32@hi+12
	s_swappc_b64 s[30:31], s[0:1]
	v_mov_b32_e32 v61, v0
.LBB28_27:
	s_waitcnt vmcnt(12)
	v_lshlrev_b32_e32 v40, 16, v107
	s_and_b32 vcc_lo, exec_lo, s39
	s_cbranch_vccnz .LBB28_29
; %bb.28:
	s_delay_alu instid0(VALU_DEP_1) | instskip(SKIP_3) | instid1(SALU_CYCLE_1)
	v_dual_mov_b32 v0, v70 :: v_dual_mov_b32 v1, v40
	s_getpc_b64 s[0:1]
	s_add_u32 s0, s0, _ZN12_GLOBAL__N_111calc_igammaIfEET_S1_S1_@rel32@lo+4
	s_addc_u32 s1, s1, _ZN12_GLOBAL__N_111calc_igammaIfEET_S1_S1_@rel32@hi+12
	s_swappc_b64 s[30:31], s[0:1]
	v_mov_b32_e32 v66, v0
	s_cbranch_execz .LBB28_30
	s_branch .LBB28_31
.LBB28_29:
                                        ; implicit-def: $vgpr66
.LBB28_30:
	s_delay_alu instid0(VALU_DEP_1) | instskip(SKIP_3) | instid1(SALU_CYCLE_1)
	v_dual_mov_b32 v0, v70 :: v_dual_mov_b32 v1, v40
	s_getpc_b64 s[0:1]
	s_add_u32 s0, s0, _ZN12_GLOBAL__N_112calc_igammacIfEET_S1_S1_@rel32@lo+4
	s_addc_u32 s1, s1, _ZN12_GLOBAL__N_112calc_igammacIfEET_S1_S1_@rel32@hi+12
	s_swappc_b64 s[30:31], s[0:1]
	v_mov_b32_e32 v66, v0
.LBB28_31:
	v_and_b32_e32 v40, 0xffff0000, v107
	s_and_b32 vcc_lo, exec_lo, s39
	s_cbranch_vccnz .LBB28_33
; %bb.32:
	s_delay_alu instid0(VALU_DEP_1) | instskip(SKIP_3) | instid1(SALU_CYCLE_1)
	v_dual_mov_b32 v0, v71 :: v_dual_mov_b32 v1, v40
	s_getpc_b64 s[0:1]
	s_add_u32 s0, s0, _ZN12_GLOBAL__N_111calc_igammaIfEET_S1_S1_@rel32@lo+4
	s_addc_u32 s1, s1, _ZN12_GLOBAL__N_111calc_igammaIfEET_S1_S1_@rel32@hi+12
	s_swappc_b64 s[30:31], s[0:1]
	v_mov_b32_e32 v67, v0
	s_cbranch_execz .LBB28_34
	s_branch .LBB28_35
.LBB28_33:
.LBB28_34:
	s_delay_alu instid0(VALU_DEP_1) | instskip(SKIP_3) | instid1(SALU_CYCLE_1)
	v_dual_mov_b32 v0, v71 :: v_dual_mov_b32 v1, v40
	s_getpc_b64 s[0:1]
	s_add_u32 s0, s0, _ZN12_GLOBAL__N_112calc_igammacIfEET_S1_S1_@rel32@lo+4
	s_addc_u32 s1, s1, _ZN12_GLOBAL__N_112calc_igammacIfEET_S1_S1_@rel32@hi+12
	s_swappc_b64 s[30:31], s[0:1]
	v_mov_b32_e32 v67, v0
.LBB28_35:
	s_waitcnt vmcnt(11)
	v_lshlrev_b32_e32 v40, 16, v106
	s_and_b32 vcc_lo, exec_lo, s39
	s_cbranch_vccnz .LBB28_37
; %bb.36:
	s_delay_alu instid0(VALU_DEP_1) | instskip(SKIP_3) | instid1(SALU_CYCLE_1)
	v_dual_mov_b32 v0, v74 :: v_dual_mov_b32 v1, v40
	s_getpc_b64 s[0:1]
	s_add_u32 s0, s0, _ZN12_GLOBAL__N_111calc_igammaIfEET_S1_S1_@rel32@lo+4
	s_addc_u32 s1, s1, _ZN12_GLOBAL__N_111calc_igammaIfEET_S1_S1_@rel32@hi+12
	s_swappc_b64 s[30:31], s[0:1]
	v_mov_b32_e32 v70, v0
	s_cbranch_execz .LBB28_38
	s_branch .LBB28_39
.LBB28_37:
                                        ; implicit-def: $vgpr70
.LBB28_38:
	s_delay_alu instid0(VALU_DEP_1) | instskip(SKIP_3) | instid1(SALU_CYCLE_1)
	v_dual_mov_b32 v0, v74 :: v_dual_mov_b32 v1, v40
	s_getpc_b64 s[0:1]
	s_add_u32 s0, s0, _ZN12_GLOBAL__N_112calc_igammacIfEET_S1_S1_@rel32@lo+4
	s_addc_u32 s1, s1, _ZN12_GLOBAL__N_112calc_igammacIfEET_S1_S1_@rel32@hi+12
	s_swappc_b64 s[30:31], s[0:1]
	v_mov_b32_e32 v70, v0
.LBB28_39:
	v_and_b32_e32 v40, 0xffff0000, v106
	s_and_b32 vcc_lo, exec_lo, s39
	s_cbranch_vccnz .LBB28_41
; %bb.40:
	s_delay_alu instid0(VALU_DEP_1) | instskip(SKIP_3) | instid1(SALU_CYCLE_1)
	v_dual_mov_b32 v0, v75 :: v_dual_mov_b32 v1, v40
	s_getpc_b64 s[0:1]
	s_add_u32 s0, s0, _ZN12_GLOBAL__N_111calc_igammaIfEET_S1_S1_@rel32@lo+4
	s_addc_u32 s1, s1, _ZN12_GLOBAL__N_111calc_igammaIfEET_S1_S1_@rel32@hi+12
	s_swappc_b64 s[30:31], s[0:1]
	v_mov_b32_e32 v71, v0
	s_cbranch_execz .LBB28_42
	s_branch .LBB28_43
.LBB28_41:
.LBB28_42:
	s_delay_alu instid0(VALU_DEP_1) | instskip(SKIP_3) | instid1(SALU_CYCLE_1)
	v_dual_mov_b32 v0, v75 :: v_dual_mov_b32 v1, v40
	s_getpc_b64 s[0:1]
	s_add_u32 s0, s0, _ZN12_GLOBAL__N_112calc_igammacIfEET_S1_S1_@rel32@lo+4
	s_addc_u32 s1, s1, _ZN12_GLOBAL__N_112calc_igammacIfEET_S1_S1_@rel32@hi+12
	s_swappc_b64 s[30:31], s[0:1]
	v_mov_b32_e32 v71, v0
.LBB28_43:
	s_waitcnt vmcnt(10)
	v_lshlrev_b32_e32 v40, 16, v105
	s_and_b32 vcc_lo, exec_lo, s39
	s_cbranch_vccnz .LBB28_45
; %bb.44:
	s_delay_alu instid0(VALU_DEP_1) | instskip(SKIP_3) | instid1(SALU_CYCLE_1)
	v_dual_mov_b32 v0, v78 :: v_dual_mov_b32 v1, v40
	s_getpc_b64 s[0:1]
	s_add_u32 s0, s0, _ZN12_GLOBAL__N_111calc_igammaIfEET_S1_S1_@rel32@lo+4
	s_addc_u32 s1, s1, _ZN12_GLOBAL__N_111calc_igammaIfEET_S1_S1_@rel32@hi+12
	s_swappc_b64 s[30:31], s[0:1]
	v_mov_b32_e32 v74, v0
	s_cbranch_execz .LBB28_46
	s_branch .LBB28_47
.LBB28_45:
                                        ; implicit-def: $vgpr74
.LBB28_46:
	s_delay_alu instid0(VALU_DEP_1) | instskip(SKIP_3) | instid1(SALU_CYCLE_1)
	v_dual_mov_b32 v0, v78 :: v_dual_mov_b32 v1, v40
	s_getpc_b64 s[0:1]
	s_add_u32 s0, s0, _ZN12_GLOBAL__N_112calc_igammacIfEET_S1_S1_@rel32@lo+4
	s_addc_u32 s1, s1, _ZN12_GLOBAL__N_112calc_igammacIfEET_S1_S1_@rel32@hi+12
	s_swappc_b64 s[30:31], s[0:1]
	v_mov_b32_e32 v74, v0
.LBB28_47:
	v_and_b32_e32 v40, 0xffff0000, v105
	s_and_b32 vcc_lo, exec_lo, s39
	s_cbranch_vccnz .LBB28_49
; %bb.48:
	s_delay_alu instid0(VALU_DEP_1) | instskip(SKIP_3) | instid1(SALU_CYCLE_1)
	v_dual_mov_b32 v0, v79 :: v_dual_mov_b32 v1, v40
	s_getpc_b64 s[0:1]
	s_add_u32 s0, s0, _ZN12_GLOBAL__N_111calc_igammaIfEET_S1_S1_@rel32@lo+4
	s_addc_u32 s1, s1, _ZN12_GLOBAL__N_111calc_igammaIfEET_S1_S1_@rel32@hi+12
	s_swappc_b64 s[30:31], s[0:1]
	v_mov_b32_e32 v75, v0
	s_cbranch_execz .LBB28_50
	s_branch .LBB28_51
.LBB28_49:
.LBB28_50:
	s_delay_alu instid0(VALU_DEP_1) | instskip(SKIP_3) | instid1(SALU_CYCLE_1)
	v_dual_mov_b32 v0, v79 :: v_dual_mov_b32 v1, v40
	s_getpc_b64 s[0:1]
	s_add_u32 s0, s0, _ZN12_GLOBAL__N_112calc_igammacIfEET_S1_S1_@rel32@lo+4
	s_addc_u32 s1, s1, _ZN12_GLOBAL__N_112calc_igammacIfEET_S1_S1_@rel32@hi+12
	s_swappc_b64 s[30:31], s[0:1]
	v_mov_b32_e32 v75, v0
.LBB28_51:
	s_waitcnt vmcnt(9)
	v_lshlrev_b32_e32 v40, 16, v82
	s_and_b32 vcc_lo, exec_lo, s39
	s_cbranch_vccnz .LBB28_53
; %bb.52:
	s_delay_alu instid0(VALU_DEP_1) | instskip(SKIP_3) | instid1(SALU_CYCLE_1)
	v_dual_mov_b32 v0, v85 :: v_dual_mov_b32 v1, v40
	s_getpc_b64 s[0:1]
	s_add_u32 s0, s0, _ZN12_GLOBAL__N_111calc_igammaIfEET_S1_S1_@rel32@lo+4
	s_addc_u32 s1, s1, _ZN12_GLOBAL__N_111calc_igammaIfEET_S1_S1_@rel32@hi+12
	s_swappc_b64 s[30:31], s[0:1]
	v_mov_b32_e32 v78, v0
	s_cbranch_execz .LBB28_54
	s_branch .LBB28_55
.LBB28_53:
                                        ; implicit-def: $vgpr78
.LBB28_54:
	s_delay_alu instid0(VALU_DEP_1) | instskip(SKIP_3) | instid1(SALU_CYCLE_1)
	v_dual_mov_b32 v0, v85 :: v_dual_mov_b32 v1, v40
	s_getpc_b64 s[0:1]
	s_add_u32 s0, s0, _ZN12_GLOBAL__N_112calc_igammacIfEET_S1_S1_@rel32@lo+4
	s_addc_u32 s1, s1, _ZN12_GLOBAL__N_112calc_igammacIfEET_S1_S1_@rel32@hi+12
	s_swappc_b64 s[30:31], s[0:1]
	v_mov_b32_e32 v78, v0
.LBB28_55:
	v_and_b32_e32 v40, 0xffff0000, v82
	s_and_b32 vcc_lo, exec_lo, s39
	s_cbranch_vccnz .LBB28_57
; %bb.56:
	s_delay_alu instid0(VALU_DEP_1) | instskip(SKIP_3) | instid1(SALU_CYCLE_1)
	v_dual_mov_b32 v0, v86 :: v_dual_mov_b32 v1, v40
	s_getpc_b64 s[0:1]
	s_add_u32 s0, s0, _ZN12_GLOBAL__N_111calc_igammaIfEET_S1_S1_@rel32@lo+4
	s_addc_u32 s1, s1, _ZN12_GLOBAL__N_111calc_igammaIfEET_S1_S1_@rel32@hi+12
	s_swappc_b64 s[30:31], s[0:1]
	v_mov_b32_e32 v79, v0
	s_cbranch_execz .LBB28_58
	s_branch .LBB28_59
.LBB28_57:
.LBB28_58:
	s_delay_alu instid0(VALU_DEP_1) | instskip(SKIP_3) | instid1(SALU_CYCLE_1)
	v_dual_mov_b32 v0, v86 :: v_dual_mov_b32 v1, v40
	s_getpc_b64 s[0:1]
	s_add_u32 s0, s0, _ZN12_GLOBAL__N_112calc_igammacIfEET_S1_S1_@rel32@lo+4
	s_addc_u32 s1, s1, _ZN12_GLOBAL__N_112calc_igammacIfEET_S1_S1_@rel32@hi+12
	s_swappc_b64 s[30:31], s[0:1]
	v_mov_b32_e32 v79, v0
.LBB28_59:
	s_waitcnt vmcnt(8)
	v_lshlrev_b32_e32 v40, 16, v104
	s_and_b32 vcc_lo, exec_lo, s39
	s_cbranch_vccnz .LBB28_61
; %bb.60:
	s_delay_alu instid0(VALU_DEP_1) | instskip(SKIP_3) | instid1(SALU_CYCLE_1)
	v_dual_mov_b32 v0, v83 :: v_dual_mov_b32 v1, v40
	s_getpc_b64 s[0:1]
	s_add_u32 s0, s0, _ZN12_GLOBAL__N_111calc_igammaIfEET_S1_S1_@rel32@lo+4
	s_addc_u32 s1, s1, _ZN12_GLOBAL__N_111calc_igammaIfEET_S1_S1_@rel32@hi+12
	s_swappc_b64 s[30:31], s[0:1]
	v_mov_b32_e32 v82, v0
	s_cbranch_execz .LBB28_62
	s_branch .LBB28_63
.LBB28_61:
                                        ; implicit-def: $vgpr82
.LBB28_62:
	s_delay_alu instid0(VALU_DEP_1) | instskip(SKIP_3) | instid1(SALU_CYCLE_1)
	v_dual_mov_b32 v0, v83 :: v_dual_mov_b32 v1, v40
	s_getpc_b64 s[0:1]
	s_add_u32 s0, s0, _ZN12_GLOBAL__N_112calc_igammacIfEET_S1_S1_@rel32@lo+4
	s_addc_u32 s1, s1, _ZN12_GLOBAL__N_112calc_igammacIfEET_S1_S1_@rel32@hi+12
	s_swappc_b64 s[30:31], s[0:1]
	v_mov_b32_e32 v82, v0
.LBB28_63:
	v_and_b32_e32 v40, 0xffff0000, v104
	s_and_b32 vcc_lo, exec_lo, s39
	s_cbranch_vccnz .LBB28_65
; %bb.64:
	v_mov_b32_e32 v0, v84
	s_delay_alu instid0(VALU_DEP_2) | instskip(SKIP_3) | instid1(SALU_CYCLE_1)
	v_mov_b32_e32 v1, v40
	s_getpc_b64 s[0:1]
	s_add_u32 s0, s0, _ZN12_GLOBAL__N_111calc_igammaIfEET_S1_S1_@rel32@lo+4
	s_addc_u32 s1, s1, _ZN12_GLOBAL__N_111calc_igammaIfEET_S1_S1_@rel32@hi+12
	s_swappc_b64 s[30:31], s[0:1]
	v_mov_b32_e32 v83, v0
	s_cbranch_execz .LBB28_66
	s_branch .LBB28_67
.LBB28_65:
.LBB28_66:
	v_mov_b32_e32 v0, v84
	s_delay_alu instid0(VALU_DEP_2) | instskip(SKIP_3) | instid1(SALU_CYCLE_1)
	v_mov_b32_e32 v1, v40
	s_getpc_b64 s[0:1]
	s_add_u32 s0, s0, _ZN12_GLOBAL__N_112calc_igammacIfEET_S1_S1_@rel32@lo+4
	s_addc_u32 s1, s1, _ZN12_GLOBAL__N_112calc_igammacIfEET_S1_S1_@rel32@hi+12
	s_swappc_b64 s[30:31], s[0:1]
	v_mov_b32_e32 v83, v0
.LBB28_67:
	s_waitcnt vmcnt(7)
	v_lshlrev_b32_e32 v40, 16, v103
	s_and_b32 vcc_lo, exec_lo, s39
	s_cbranch_vccnz .LBB28_69
; %bb.68:
	v_mov_b32_e32 v0, v80
	s_delay_alu instid0(VALU_DEP_2) | instskip(SKIP_3) | instid1(SALU_CYCLE_1)
	v_mov_b32_e32 v1, v40
	s_getpc_b64 s[0:1]
	s_add_u32 s0, s0, _ZN12_GLOBAL__N_111calc_igammaIfEET_S1_S1_@rel32@lo+4
	s_addc_u32 s1, s1, _ZN12_GLOBAL__N_111calc_igammaIfEET_S1_S1_@rel32@hi+12
	s_swappc_b64 s[30:31], s[0:1]
	v_mov_b32_e32 v84, v0
	s_cbranch_execz .LBB28_70
	s_branch .LBB28_71
.LBB28_69:
                                        ; implicit-def: $vgpr84
.LBB28_70:
	v_mov_b32_e32 v0, v80
	s_delay_alu instid0(VALU_DEP_2) | instskip(SKIP_3) | instid1(SALU_CYCLE_1)
	v_mov_b32_e32 v1, v40
	s_getpc_b64 s[0:1]
	s_add_u32 s0, s0, _ZN12_GLOBAL__N_112calc_igammacIfEET_S1_S1_@rel32@lo+4
	s_addc_u32 s1, s1, _ZN12_GLOBAL__N_112calc_igammacIfEET_S1_S1_@rel32@hi+12
	s_swappc_b64 s[30:31], s[0:1]
	v_mov_b32_e32 v84, v0
.LBB28_71:
	v_and_b32_e32 v40, 0xffff0000, v103
	s_and_b32 vcc_lo, exec_lo, s39
	s_cbranch_vccnz .LBB28_73
; %bb.72:
	s_delay_alu instid0(VALU_DEP_1) | instskip(SKIP_3) | instid1(SALU_CYCLE_1)
	v_dual_mov_b32 v0, v81 :: v_dual_mov_b32 v1, v40
	s_getpc_b64 s[0:1]
	s_add_u32 s0, s0, _ZN12_GLOBAL__N_111calc_igammaIfEET_S1_S1_@rel32@lo+4
	s_addc_u32 s1, s1, _ZN12_GLOBAL__N_111calc_igammaIfEET_S1_S1_@rel32@hi+12
	s_swappc_b64 s[30:31], s[0:1]
	v_mov_b32_e32 v85, v0
	s_cbranch_execz .LBB28_74
	s_branch .LBB28_75
.LBB28_73:
.LBB28_74:
	s_delay_alu instid0(VALU_DEP_1) | instskip(SKIP_3) | instid1(SALU_CYCLE_1)
	v_dual_mov_b32 v0, v81 :: v_dual_mov_b32 v1, v40
	s_getpc_b64 s[0:1]
	s_add_u32 s0, s0, _ZN12_GLOBAL__N_112calc_igammacIfEET_S1_S1_@rel32@lo+4
	s_addc_u32 s1, s1, _ZN12_GLOBAL__N_112calc_igammacIfEET_S1_S1_@rel32@hi+12
	s_swappc_b64 s[30:31], s[0:1]
	v_mov_b32_e32 v85, v0
.LBB28_75:
	s_waitcnt vmcnt(6)
	v_lshlrev_b32_e32 v40, 16, v102
	s_and_b32 vcc_lo, exec_lo, s39
	s_cbranch_vccnz .LBB28_77
; %bb.76:
	v_mov_b32_e32 v0, v76
	s_delay_alu instid0(VALU_DEP_2) | instskip(SKIP_3) | instid1(SALU_CYCLE_1)
	v_mov_b32_e32 v1, v40
	s_getpc_b64 s[0:1]
	s_add_u32 s0, s0, _ZN12_GLOBAL__N_111calc_igammaIfEET_S1_S1_@rel32@lo+4
	s_addc_u32 s1, s1, _ZN12_GLOBAL__N_111calc_igammaIfEET_S1_S1_@rel32@hi+12
	s_swappc_b64 s[30:31], s[0:1]
	v_mov_b32_e32 v80, v0
	s_cbranch_execz .LBB28_78
	s_branch .LBB28_79
.LBB28_77:
                                        ; implicit-def: $vgpr80
.LBB28_78:
	v_mov_b32_e32 v0, v76
	s_delay_alu instid0(VALU_DEP_2) | instskip(SKIP_3) | instid1(SALU_CYCLE_1)
	v_mov_b32_e32 v1, v40
	s_getpc_b64 s[0:1]
	s_add_u32 s0, s0, _ZN12_GLOBAL__N_112calc_igammacIfEET_S1_S1_@rel32@lo+4
	s_addc_u32 s1, s1, _ZN12_GLOBAL__N_112calc_igammacIfEET_S1_S1_@rel32@hi+12
	s_swappc_b64 s[30:31], s[0:1]
	v_mov_b32_e32 v80, v0
.LBB28_79:
	v_and_b32_e32 v40, 0xffff0000, v102
	s_and_b32 vcc_lo, exec_lo, s39
	s_cbranch_vccnz .LBB28_81
; %bb.80:
	s_delay_alu instid0(VALU_DEP_1) | instskip(SKIP_3) | instid1(SALU_CYCLE_1)
	v_dual_mov_b32 v0, v77 :: v_dual_mov_b32 v1, v40
	s_getpc_b64 s[0:1]
	s_add_u32 s0, s0, _ZN12_GLOBAL__N_111calc_igammaIfEET_S1_S1_@rel32@lo+4
	s_addc_u32 s1, s1, _ZN12_GLOBAL__N_111calc_igammaIfEET_S1_S1_@rel32@hi+12
	s_swappc_b64 s[30:31], s[0:1]
	v_mov_b32_e32 v81, v0
	s_cbranch_execz .LBB28_82
	s_branch .LBB28_83
.LBB28_81:
.LBB28_82:
	s_delay_alu instid0(VALU_DEP_1) | instskip(SKIP_3) | instid1(SALU_CYCLE_1)
	v_dual_mov_b32 v0, v77 :: v_dual_mov_b32 v1, v40
	s_getpc_b64 s[0:1]
	s_add_u32 s0, s0, _ZN12_GLOBAL__N_112calc_igammacIfEET_S1_S1_@rel32@lo+4
	s_addc_u32 s1, s1, _ZN12_GLOBAL__N_112calc_igammacIfEET_S1_S1_@rel32@hi+12
	s_swappc_b64 s[30:31], s[0:1]
	v_mov_b32_e32 v81, v0
.LBB28_83:
	s_waitcnt vmcnt(5)
	v_lshlrev_b32_e32 v40, 16, v101
	s_and_b32 vcc_lo, exec_lo, s39
	s_cbranch_vccnz .LBB28_85
; %bb.84:
	v_mov_b32_e32 v0, v72
	s_delay_alu instid0(VALU_DEP_2) | instskip(SKIP_3) | instid1(SALU_CYCLE_1)
	v_mov_b32_e32 v1, v40
	s_getpc_b64 s[0:1]
	s_add_u32 s0, s0, _ZN12_GLOBAL__N_111calc_igammaIfEET_S1_S1_@rel32@lo+4
	s_addc_u32 s1, s1, _ZN12_GLOBAL__N_111calc_igammaIfEET_S1_S1_@rel32@hi+12
	s_swappc_b64 s[30:31], s[0:1]
	v_mov_b32_e32 v76, v0
	s_cbranch_execz .LBB28_86
	s_branch .LBB28_87
.LBB28_85:
                                        ; implicit-def: $vgpr76
.LBB28_86:
	v_mov_b32_e32 v0, v72
	s_delay_alu instid0(VALU_DEP_2) | instskip(SKIP_3) | instid1(SALU_CYCLE_1)
	v_mov_b32_e32 v1, v40
	s_getpc_b64 s[0:1]
	s_add_u32 s0, s0, _ZN12_GLOBAL__N_112calc_igammacIfEET_S1_S1_@rel32@lo+4
	s_addc_u32 s1, s1, _ZN12_GLOBAL__N_112calc_igammacIfEET_S1_S1_@rel32@hi+12
	s_swappc_b64 s[30:31], s[0:1]
	v_mov_b32_e32 v76, v0
.LBB28_87:
	v_and_b32_e32 v40, 0xffff0000, v101
	s_and_b32 vcc_lo, exec_lo, s39
	s_cbranch_vccnz .LBB28_89
; %bb.88:
	s_delay_alu instid0(VALU_DEP_1) | instskip(SKIP_3) | instid1(SALU_CYCLE_1)
	v_dual_mov_b32 v0, v73 :: v_dual_mov_b32 v1, v40
	s_getpc_b64 s[0:1]
	s_add_u32 s0, s0, _ZN12_GLOBAL__N_111calc_igammaIfEET_S1_S1_@rel32@lo+4
	s_addc_u32 s1, s1, _ZN12_GLOBAL__N_111calc_igammaIfEET_S1_S1_@rel32@hi+12
	s_swappc_b64 s[30:31], s[0:1]
	v_mov_b32_e32 v77, v0
	s_cbranch_execz .LBB28_90
	s_branch .LBB28_91
.LBB28_89:
.LBB28_90:
	s_delay_alu instid0(VALU_DEP_1) | instskip(SKIP_3) | instid1(SALU_CYCLE_1)
	v_dual_mov_b32 v0, v73 :: v_dual_mov_b32 v1, v40
	s_getpc_b64 s[0:1]
	s_add_u32 s0, s0, _ZN12_GLOBAL__N_112calc_igammacIfEET_S1_S1_@rel32@lo+4
	s_addc_u32 s1, s1, _ZN12_GLOBAL__N_112calc_igammacIfEET_S1_S1_@rel32@hi+12
	s_swappc_b64 s[30:31], s[0:1]
	v_mov_b32_e32 v77, v0
.LBB28_91:
	s_waitcnt vmcnt(4)
	v_lshlrev_b32_e32 v40, 16, v100
	s_and_b32 vcc_lo, exec_lo, s39
	s_cbranch_vccnz .LBB28_93
; %bb.92:
	v_mov_b32_e32 v0, v68
	s_delay_alu instid0(VALU_DEP_2) | instskip(SKIP_3) | instid1(SALU_CYCLE_1)
	v_mov_b32_e32 v1, v40
	s_getpc_b64 s[0:1]
	s_add_u32 s0, s0, _ZN12_GLOBAL__N_111calc_igammaIfEET_S1_S1_@rel32@lo+4
	s_addc_u32 s1, s1, _ZN12_GLOBAL__N_111calc_igammaIfEET_S1_S1_@rel32@hi+12
	s_swappc_b64 s[30:31], s[0:1]
	v_mov_b32_e32 v72, v0
	s_cbranch_execz .LBB28_94
	s_branch .LBB28_95
.LBB28_93:
                                        ; implicit-def: $vgpr72
.LBB28_94:
	v_mov_b32_e32 v0, v68
	s_delay_alu instid0(VALU_DEP_2) | instskip(SKIP_3) | instid1(SALU_CYCLE_1)
	v_mov_b32_e32 v1, v40
	s_getpc_b64 s[0:1]
	s_add_u32 s0, s0, _ZN12_GLOBAL__N_112calc_igammacIfEET_S1_S1_@rel32@lo+4
	s_addc_u32 s1, s1, _ZN12_GLOBAL__N_112calc_igammacIfEET_S1_S1_@rel32@hi+12
	s_swappc_b64 s[30:31], s[0:1]
	v_mov_b32_e32 v72, v0
.LBB28_95:
	v_and_b32_e32 v40, 0xffff0000, v100
	s_and_b32 vcc_lo, exec_lo, s39
	s_cbranch_vccnz .LBB28_97
; %bb.96:
	s_delay_alu instid0(VALU_DEP_1) | instskip(SKIP_3) | instid1(SALU_CYCLE_1)
	v_dual_mov_b32 v0, v69 :: v_dual_mov_b32 v1, v40
	s_getpc_b64 s[0:1]
	s_add_u32 s0, s0, _ZN12_GLOBAL__N_111calc_igammaIfEET_S1_S1_@rel32@lo+4
	s_addc_u32 s1, s1, _ZN12_GLOBAL__N_111calc_igammaIfEET_S1_S1_@rel32@hi+12
	s_swappc_b64 s[30:31], s[0:1]
	v_mov_b32_e32 v73, v0
	s_cbranch_execz .LBB28_98
	s_branch .LBB28_99
.LBB28_97:
.LBB28_98:
	s_delay_alu instid0(VALU_DEP_1) | instskip(SKIP_3) | instid1(SALU_CYCLE_1)
	v_dual_mov_b32 v0, v69 :: v_dual_mov_b32 v1, v40
	s_getpc_b64 s[0:1]
	s_add_u32 s0, s0, _ZN12_GLOBAL__N_112calc_igammacIfEET_S1_S1_@rel32@lo+4
	s_addc_u32 s1, s1, _ZN12_GLOBAL__N_112calc_igammacIfEET_S1_S1_@rel32@hi+12
	s_swappc_b64 s[30:31], s[0:1]
	v_mov_b32_e32 v73, v0
.LBB28_99:
	s_waitcnt vmcnt(3)
	v_lshlrev_b32_e32 v40, 16, v99
	s_and_b32 vcc_lo, exec_lo, s39
	s_cbranch_vccnz .LBB28_101
; %bb.100:
	s_delay_alu instid0(VALU_DEP_1) | instskip(SKIP_3) | instid1(SALU_CYCLE_1)
	v_dual_mov_b32 v0, v62 :: v_dual_mov_b32 v1, v40
	s_getpc_b64 s[0:1]
	s_add_u32 s0, s0, _ZN12_GLOBAL__N_111calc_igammaIfEET_S1_S1_@rel32@lo+4
	s_addc_u32 s1, s1, _ZN12_GLOBAL__N_111calc_igammaIfEET_S1_S1_@rel32@hi+12
	s_swappc_b64 s[30:31], s[0:1]
	v_mov_b32_e32 v68, v0
	s_cbranch_execz .LBB28_102
	s_branch .LBB28_103
.LBB28_101:
                                        ; implicit-def: $vgpr68
.LBB28_102:
	s_delay_alu instid0(VALU_DEP_1) | instskip(SKIP_3) | instid1(SALU_CYCLE_1)
	v_dual_mov_b32 v0, v62 :: v_dual_mov_b32 v1, v40
	s_getpc_b64 s[0:1]
	s_add_u32 s0, s0, _ZN12_GLOBAL__N_112calc_igammacIfEET_S1_S1_@rel32@lo+4
	s_addc_u32 s1, s1, _ZN12_GLOBAL__N_112calc_igammacIfEET_S1_S1_@rel32@hi+12
	s_swappc_b64 s[30:31], s[0:1]
	v_mov_b32_e32 v68, v0
.LBB28_103:
	v_and_b32_e32 v40, 0xffff0000, v99
	s_and_b32 vcc_lo, exec_lo, s39
	s_cbranch_vccnz .LBB28_105
; %bb.104:
	s_delay_alu instid0(VALU_DEP_1) | instskip(SKIP_3) | instid1(SALU_CYCLE_1)
	v_dual_mov_b32 v0, v63 :: v_dual_mov_b32 v1, v40
	s_getpc_b64 s[0:1]
	s_add_u32 s0, s0, _ZN12_GLOBAL__N_111calc_igammaIfEET_S1_S1_@rel32@lo+4
	s_addc_u32 s1, s1, _ZN12_GLOBAL__N_111calc_igammaIfEET_S1_S1_@rel32@hi+12
	s_swappc_b64 s[30:31], s[0:1]
	v_mov_b32_e32 v69, v0
	s_cbranch_execz .LBB28_106
	s_branch .LBB28_107
.LBB28_105:
.LBB28_106:
	s_delay_alu instid0(VALU_DEP_1) | instskip(SKIP_3) | instid1(SALU_CYCLE_1)
	v_dual_mov_b32 v0, v63 :: v_dual_mov_b32 v1, v40
	s_getpc_b64 s[0:1]
	s_add_u32 s0, s0, _ZN12_GLOBAL__N_112calc_igammacIfEET_S1_S1_@rel32@lo+4
	s_addc_u32 s1, s1, _ZN12_GLOBAL__N_112calc_igammacIfEET_S1_S1_@rel32@hi+12
	s_swappc_b64 s[30:31], s[0:1]
	v_mov_b32_e32 v69, v0
.LBB28_107:
	s_waitcnt vmcnt(2)
	v_lshlrev_b32_e32 v40, 16, v98
	s_and_b32 vcc_lo, exec_lo, s39
	s_cbranch_vccnz .LBB28_109
; %bb.108:
	s_delay_alu instid0(VALU_DEP_1) | instskip(SKIP_3) | instid1(SALU_CYCLE_1)
	v_dual_mov_b32 v0, v58 :: v_dual_mov_b32 v1, v40
	s_getpc_b64 s[0:1]
	s_add_u32 s0, s0, _ZN12_GLOBAL__N_111calc_igammaIfEET_S1_S1_@rel32@lo+4
	s_addc_u32 s1, s1, _ZN12_GLOBAL__N_111calc_igammaIfEET_S1_S1_@rel32@hi+12
	s_swappc_b64 s[30:31], s[0:1]
	v_mov_b32_e32 v62, v0
	s_cbranch_execz .LBB28_110
	s_branch .LBB28_111
.LBB28_109:
                                        ; implicit-def: $vgpr62
.LBB28_110:
	s_delay_alu instid0(VALU_DEP_1) | instskip(SKIP_3) | instid1(SALU_CYCLE_1)
	v_dual_mov_b32 v0, v58 :: v_dual_mov_b32 v1, v40
	s_getpc_b64 s[0:1]
	s_add_u32 s0, s0, _ZN12_GLOBAL__N_112calc_igammacIfEET_S1_S1_@rel32@lo+4
	s_addc_u32 s1, s1, _ZN12_GLOBAL__N_112calc_igammacIfEET_S1_S1_@rel32@hi+12
	s_swappc_b64 s[30:31], s[0:1]
	v_mov_b32_e32 v62, v0
.LBB28_111:
	v_and_b32_e32 v40, 0xffff0000, v98
	s_and_b32 vcc_lo, exec_lo, s39
	s_cbranch_vccnz .LBB28_113
; %bb.112:
	s_delay_alu instid0(VALU_DEP_1) | instskip(SKIP_3) | instid1(SALU_CYCLE_1)
	v_dual_mov_b32 v0, v59 :: v_dual_mov_b32 v1, v40
	s_getpc_b64 s[0:1]
	s_add_u32 s0, s0, _ZN12_GLOBAL__N_111calc_igammaIfEET_S1_S1_@rel32@lo+4
	s_addc_u32 s1, s1, _ZN12_GLOBAL__N_111calc_igammaIfEET_S1_S1_@rel32@hi+12
	s_swappc_b64 s[30:31], s[0:1]
	v_mov_b32_e32 v63, v0
	s_cbranch_execz .LBB28_114
	s_branch .LBB28_115
.LBB28_113:
.LBB28_114:
	s_delay_alu instid0(VALU_DEP_1) | instskip(SKIP_3) | instid1(SALU_CYCLE_1)
	v_dual_mov_b32 v0, v59 :: v_dual_mov_b32 v1, v40
	s_getpc_b64 s[0:1]
	s_add_u32 s0, s0, _ZN12_GLOBAL__N_112calc_igammacIfEET_S1_S1_@rel32@lo+4
	s_addc_u32 s1, s1, _ZN12_GLOBAL__N_112calc_igammacIfEET_S1_S1_@rel32@hi+12
	s_swappc_b64 s[30:31], s[0:1]
	v_mov_b32_e32 v63, v0
.LBB28_115:
	s_waitcnt vmcnt(1)
	v_lshlrev_b32_e32 v40, 16, v97
	s_and_b32 vcc_lo, exec_lo, s39
	s_cbranch_vccnz .LBB28_117
; %bb.116:
	s_delay_alu instid0(VALU_DEP_1) | instskip(SKIP_3) | instid1(SALU_CYCLE_1)
	v_dual_mov_b32 v0, v46 :: v_dual_mov_b32 v1, v40
	s_getpc_b64 s[0:1]
	s_add_u32 s0, s0, _ZN12_GLOBAL__N_111calc_igammaIfEET_S1_S1_@rel32@lo+4
	s_addc_u32 s1, s1, _ZN12_GLOBAL__N_111calc_igammaIfEET_S1_S1_@rel32@hi+12
	s_swappc_b64 s[30:31], s[0:1]
	v_mov_b32_e32 v58, v0
	s_cbranch_execz .LBB28_118
	s_branch .LBB28_119
.LBB28_117:
                                        ; implicit-def: $vgpr58
.LBB28_118:
	s_delay_alu instid0(VALU_DEP_1) | instskip(SKIP_3) | instid1(SALU_CYCLE_1)
	v_dual_mov_b32 v0, v46 :: v_dual_mov_b32 v1, v40
	s_getpc_b64 s[0:1]
	s_add_u32 s0, s0, _ZN12_GLOBAL__N_112calc_igammacIfEET_S1_S1_@rel32@lo+4
	s_addc_u32 s1, s1, _ZN12_GLOBAL__N_112calc_igammacIfEET_S1_S1_@rel32@hi+12
	s_swappc_b64 s[30:31], s[0:1]
	v_mov_b32_e32 v58, v0
.LBB28_119:
	v_and_b32_e32 v40, 0xffff0000, v97
	s_and_b32 vcc_lo, exec_lo, s39
	s_cbranch_vccnz .LBB28_121
; %bb.120:
	s_delay_alu instid0(VALU_DEP_1) | instskip(SKIP_3) | instid1(SALU_CYCLE_1)
	v_dual_mov_b32 v0, v47 :: v_dual_mov_b32 v1, v40
	s_getpc_b64 s[0:1]
	s_add_u32 s0, s0, _ZN12_GLOBAL__N_111calc_igammaIfEET_S1_S1_@rel32@lo+4
	s_addc_u32 s1, s1, _ZN12_GLOBAL__N_111calc_igammaIfEET_S1_S1_@rel32@hi+12
	s_swappc_b64 s[30:31], s[0:1]
	v_mov_b32_e32 v59, v0
	s_cbranch_execz .LBB28_122
	s_branch .LBB28_123
.LBB28_121:
.LBB28_122:
	s_delay_alu instid0(VALU_DEP_1) | instskip(SKIP_3) | instid1(SALU_CYCLE_1)
	v_dual_mov_b32 v0, v47 :: v_dual_mov_b32 v1, v40
	s_getpc_b64 s[0:1]
	s_add_u32 s0, s0, _ZN12_GLOBAL__N_112calc_igammacIfEET_S1_S1_@rel32@lo+4
	s_addc_u32 s1, s1, _ZN12_GLOBAL__N_112calc_igammacIfEET_S1_S1_@rel32@hi+12
	s_swappc_b64 s[30:31], s[0:1]
	v_mov_b32_e32 v59, v0
.LBB28_123:
	s_waitcnt vmcnt(0)
	v_lshlrev_b32_e32 v40, 16, v96
	s_and_b32 vcc_lo, exec_lo, s39
	s_cbranch_vccnz .LBB28_125
; %bb.124:
	s_delay_alu instid0(VALU_DEP_1) | instskip(SKIP_3) | instid1(SALU_CYCLE_1)
	v_dual_mov_b32 v0, v42 :: v_dual_mov_b32 v1, v40
	s_getpc_b64 s[0:1]
	s_add_u32 s0, s0, _ZN12_GLOBAL__N_111calc_igammaIfEET_S1_S1_@rel32@lo+4
	s_addc_u32 s1, s1, _ZN12_GLOBAL__N_111calc_igammaIfEET_S1_S1_@rel32@hi+12
	s_swappc_b64 s[30:31], s[0:1]
	v_mov_b32_e32 v46, v0
	s_cbranch_execz .LBB28_126
	s_branch .LBB28_127
.LBB28_125:
                                        ; implicit-def: $vgpr46
.LBB28_126:
	s_delay_alu instid0(VALU_DEP_1) | instskip(SKIP_3) | instid1(SALU_CYCLE_1)
	v_dual_mov_b32 v0, v42 :: v_dual_mov_b32 v1, v40
	s_getpc_b64 s[0:1]
	s_add_u32 s0, s0, _ZN12_GLOBAL__N_112calc_igammacIfEET_S1_S1_@rel32@lo+4
	s_addc_u32 s1, s1, _ZN12_GLOBAL__N_112calc_igammacIfEET_S1_S1_@rel32@hi+12
	s_swappc_b64 s[30:31], s[0:1]
	v_mov_b32_e32 v46, v0
.LBB28_127:
	v_and_b32_e32 v40, 0xffff0000, v96
	s_and_b32 vcc_lo, exec_lo, s39
	s_cbranch_vccnz .LBB28_129
; %bb.128:
	s_delay_alu instid0(VALU_DEP_1) | instskip(SKIP_3) | instid1(SALU_CYCLE_1)
	v_dual_mov_b32 v0, v43 :: v_dual_mov_b32 v1, v40
	s_getpc_b64 s[0:1]
	s_add_u32 s0, s0, _ZN12_GLOBAL__N_111calc_igammaIfEET_S1_S1_@rel32@lo+4
	s_addc_u32 s1, s1, _ZN12_GLOBAL__N_111calc_igammaIfEET_S1_S1_@rel32@hi+12
	s_swappc_b64 s[30:31], s[0:1]
	v_mov_b32_e32 v47, v0
	s_cbranch_execz .LBB28_130
	s_branch .LBB28_131
.LBB28_129:
.LBB28_130:
	s_delay_alu instid0(VALU_DEP_1) | instskip(SKIP_3) | instid1(SALU_CYCLE_1)
	v_dual_mov_b32 v0, v43 :: v_dual_mov_b32 v1, v40
	s_getpc_b64 s[0:1]
	s_add_u32 s0, s0, _ZN12_GLOBAL__N_112calc_igammacIfEET_S1_S1_@rel32@lo+4
	s_addc_u32 s1, s1, _ZN12_GLOBAL__N_112calc_igammacIfEET_S1_S1_@rel32@hi+12
	s_swappc_b64 s[30:31], s[0:1]
	v_mov_b32_e32 v47, v0
.LBB28_131:
	s_add_u32 s2, s40, s46
	s_addc_u32 s3, s41, s47
	v_add_co_u32 v8, s0, s2, v88
	s_delay_alu instid0(VALU_DEP_1) | instskip(NEXT) | instid1(VALU_DEP_2)
	v_add_co_ci_u32_e64 v9, null, s3, 0, s0
	v_add_co_u32 v0, vcc_lo, 0x1000, v8
	s_delay_alu instid0(VALU_DEP_2)
	v_add_co_ci_u32_e32 v1, vcc_lo, 0, v9, vcc_lo
	v_add_co_u32 v2, vcc_lo, 0x3000, v8
	v_add_co_ci_u32_e32 v3, vcc_lo, 0, v9, vcc_lo
	v_add_co_u32 v4, vcc_lo, 0x5000, v8
	;; [unrolled: 2-line block ×3, first 2 shown]
	v_add_co_ci_u32_e32 v7, vcc_lo, 0, v9, vcc_lo
	s_clause 0x7
	global_store_b64 v88, v[44:45], s[2:3]
	global_store_b64 v91, v[60:61], s[2:3]
	;; [unrolled: 1-line block ×4, first 2 shown]
	global_store_b64 v[0:1], v[56:57], off
	global_store_b64 v[2:3], v[66:67], off
	;; [unrolled: 1-line block ×4, first 2 shown]
	v_add_co_u32 v0, vcc_lo, 0x9000, v8
	v_add_co_ci_u32_e32 v1, vcc_lo, 0, v9, vcc_lo
	v_add_co_u32 v2, vcc_lo, 0xb000, v8
	v_add_co_ci_u32_e32 v3, vcc_lo, 0, v9, vcc_lo
	;; [unrolled: 2-line block ×4, first 2 shown]
	s_clause 0x7
	global_store_b64 v89, v[84:85], s[2:3]
	global_store_b64 v90, v[76:77], s[2:3]
	;; [unrolled: 1-line block ×4, first 2 shown]
	global_store_b64 v[0:1], v[80:81], off
	global_store_b64 v[2:3], v[72:73], off
	;; [unrolled: 1-line block ×4, first 2 shown]
	s_branch .LBB28_2
.LBB28_132:
	s_clause 0x1
	s_load_b32 s6, s[36:37], 0x24
	s_load_b128 s[0:3], s[36:37], 0x28
	v_cndmask_b32_e64 v0, 0, 1, s49
	v_dual_mov_b32 v31, v87 :: v_dual_mov_b32 v2, s41
	v_dual_mov_b32 v1, s40 :: v_dual_mov_b32 v4, s43
	;; [unrolled: 1-line block ×3, first 2 shown]
	v_mov_b32_e32 v5, s44
	v_mov_b32_e32 v7, s48
	s_add_u32 s8, s36, 56
	s_addc_u32 s9, s37, 0
	s_mov_b32 s12, s38
	s_getpc_b64 s[4:5]
	s_add_u32 s4, s4, _ZN2at6native25elementwise_kernel_helperILb1EN12_GLOBAL__N_110CalcIgammaIfEENS0_6memory8policies11unroll_baseILi512ESt5arrayIPcLm3EE23TrivialOffsetCalculatorILi2EjESB_ILi1EjENS5_12LoadWithCastILi2EEENS5_13StoreWithCastILi1EEELi32ELi1EEEEEvT0_T1_@rel32@lo+4
	s_addc_u32 s5, s5, _ZN2at6native25elementwise_kernel_helperILb1EN12_GLOBAL__N_110CalcIgammaIfEENS0_6memory8policies11unroll_baseILi512ESt5arrayIPcLm3EE23TrivialOffsetCalculatorILi2EjESB_ILi1EjENS5_12LoadWithCastILi2EEENS5_13StoreWithCastILi1EEELi32ELi1EEEEEvT0_T1_@rel32@hi+12
	s_waitcnt lgkmcnt(0)
	v_lshrrev_b16 v9, 8, s6
	v_mov_b32_e32 v10, s0
	v_dual_mov_b32 v8, s6 :: v_dual_mov_b32 v11, s1
	v_dual_mov_b32 v12, s2 :: v_dual_mov_b32 v13, s3
	s_swappc_b64 s[30:31], s[4:5]
	s_endpgm
	.section	.rodata,"a",@progbits
	.p2align	6, 0x0
	.amdhsa_kernel _ZN2at6native39vectorized_templated_elementwise_kernelILi2EN12_GLOBAL__N_110CalcIgammaIfEESt5arrayIPcLm3EE23TrivialOffsetCalculatorILi2EjES8_ILi1EjENS0_6memory12LoadWithCastILi2EEENSB_13StoreWithCastILi1EEEfJfN3c108BFloat16EEEEviT0_T1_T2_T3_T4_T5_
		.amdhsa_group_segment_fixed_size 0
		.amdhsa_private_segment_fixed_size 448
		.amdhsa_kernarg_size 312
		.amdhsa_user_sgpr_count 15
		.amdhsa_user_sgpr_dispatch_ptr 0
		.amdhsa_user_sgpr_queue_ptr 0
		.amdhsa_user_sgpr_kernarg_segment_ptr 1
		.amdhsa_user_sgpr_dispatch_id 0
		.amdhsa_user_sgpr_private_segment_size 0
		.amdhsa_wavefront_size32 1
		.amdhsa_uses_dynamic_stack 0
		.amdhsa_enable_private_segment 1
		.amdhsa_system_sgpr_workgroup_id_x 1
		.amdhsa_system_sgpr_workgroup_id_y 0
		.amdhsa_system_sgpr_workgroup_id_z 0
		.amdhsa_system_sgpr_workgroup_info 0
		.amdhsa_system_vgpr_workitem_id 0
		.amdhsa_next_free_vgpr 147
		.amdhsa_next_free_sgpr 77
		.amdhsa_reserve_vcc 1
		.amdhsa_float_round_mode_32 0
		.amdhsa_float_round_mode_16_64 0
		.amdhsa_float_denorm_mode_32 3
		.amdhsa_float_denorm_mode_16_64 3
		.amdhsa_dx10_clamp 1
		.amdhsa_ieee_mode 1
		.amdhsa_fp16_overflow 0
		.amdhsa_workgroup_processor_mode 1
		.amdhsa_memory_ordered 1
		.amdhsa_forward_progress 0
		.amdhsa_shared_vgpr_count 0
		.amdhsa_exception_fp_ieee_invalid_op 0
		.amdhsa_exception_fp_denorm_src 0
		.amdhsa_exception_fp_ieee_div_zero 0
		.amdhsa_exception_fp_ieee_overflow 0
		.amdhsa_exception_fp_ieee_underflow 0
		.amdhsa_exception_fp_ieee_inexact 0
		.amdhsa_exception_int_div_zero 0
	.end_amdhsa_kernel
	.section	.text._ZN2at6native39vectorized_templated_elementwise_kernelILi2EN12_GLOBAL__N_110CalcIgammaIfEESt5arrayIPcLm3EE23TrivialOffsetCalculatorILi2EjES8_ILi1EjENS0_6memory12LoadWithCastILi2EEENSB_13StoreWithCastILi1EEEfJfN3c108BFloat16EEEEviT0_T1_T2_T3_T4_T5_,"axG",@progbits,_ZN2at6native39vectorized_templated_elementwise_kernelILi2EN12_GLOBAL__N_110CalcIgammaIfEESt5arrayIPcLm3EE23TrivialOffsetCalculatorILi2EjES8_ILi1EjENS0_6memory12LoadWithCastILi2EEENSB_13StoreWithCastILi1EEEfJfN3c108BFloat16EEEEviT0_T1_T2_T3_T4_T5_,comdat
.Lfunc_end28:
	.size	_ZN2at6native39vectorized_templated_elementwise_kernelILi2EN12_GLOBAL__N_110CalcIgammaIfEESt5arrayIPcLm3EE23TrivialOffsetCalculatorILi2EjES8_ILi1EjENS0_6memory12LoadWithCastILi2EEENSB_13StoreWithCastILi1EEEfJfN3c108BFloat16EEEEviT0_T1_T2_T3_T4_T5_, .Lfunc_end28-_ZN2at6native39vectorized_templated_elementwise_kernelILi2EN12_GLOBAL__N_110CalcIgammaIfEESt5arrayIPcLm3EE23TrivialOffsetCalculatorILi2EjES8_ILi1EjENS0_6memory12LoadWithCastILi2EEENSB_13StoreWithCastILi1EEEfJfN3c108BFloat16EEEEviT0_T1_T2_T3_T4_T5_
                                        ; -- End function
	.section	.AMDGPU.csdata,"",@progbits
; Kernel info:
; codeLenInByte = 4624
; NumSgprs: 79
; NumVgprs: 147
; ScratchSize: 448
; MemoryBound: 0
; FloatMode: 240
; IeeeMode: 1
; LDSByteSize: 0 bytes/workgroup (compile time only)
; SGPRBlocks: 9
; VGPRBlocks: 18
; NumSGPRsForWavesPerEU: 79
; NumVGPRsForWavesPerEU: 147
; Occupancy: 9
; WaveLimiterHint : 0
; COMPUTE_PGM_RSRC2:SCRATCH_EN: 1
; COMPUTE_PGM_RSRC2:USER_SGPR: 15
; COMPUTE_PGM_RSRC2:TRAP_HANDLER: 0
; COMPUTE_PGM_RSRC2:TGID_X_EN: 1
; COMPUTE_PGM_RSRC2:TGID_Y_EN: 0
; COMPUTE_PGM_RSRC2:TGID_Z_EN: 0
; COMPUTE_PGM_RSRC2:TIDIG_COMP_CNT: 0
	.section	.text._ZN2at6native39vectorized_templated_elementwise_kernelILi8EN12_GLOBAL__N_110CalcIgammaIfEESt5arrayIPcLm3EE23TrivialOffsetCalculatorILi2EjES8_ILi1EjENS0_6memory12LoadWithCastILi2EEENSB_13StoreWithCastILi1EEEfJN3c108BFloat16EfEEEviT0_T1_T2_T3_T4_T5_,"axG",@progbits,_ZN2at6native39vectorized_templated_elementwise_kernelILi8EN12_GLOBAL__N_110CalcIgammaIfEESt5arrayIPcLm3EE23TrivialOffsetCalculatorILi2EjES8_ILi1EjENS0_6memory12LoadWithCastILi2EEENSB_13StoreWithCastILi1EEEfJN3c108BFloat16EfEEEviT0_T1_T2_T3_T4_T5_,comdat
	.globl	_ZN2at6native39vectorized_templated_elementwise_kernelILi8EN12_GLOBAL__N_110CalcIgammaIfEESt5arrayIPcLm3EE23TrivialOffsetCalculatorILi2EjES8_ILi1EjENS0_6memory12LoadWithCastILi2EEENSB_13StoreWithCastILi1EEEfJN3c108BFloat16EfEEEviT0_T1_T2_T3_T4_T5_ ; -- Begin function _ZN2at6native39vectorized_templated_elementwise_kernelILi8EN12_GLOBAL__N_110CalcIgammaIfEESt5arrayIPcLm3EE23TrivialOffsetCalculatorILi2EjES8_ILi1EjENS0_6memory12LoadWithCastILi2EEENSB_13StoreWithCastILi1EEEfJN3c108BFloat16EfEEEviT0_T1_T2_T3_T4_T5_
	.p2align	8
	.type	_ZN2at6native39vectorized_templated_elementwise_kernelILi8EN12_GLOBAL__N_110CalcIgammaIfEESt5arrayIPcLm3EE23TrivialOffsetCalculatorILi2EjES8_ILi1EjENS0_6memory12LoadWithCastILi2EEENSB_13StoreWithCastILi1EEEfJN3c108BFloat16EfEEEviT0_T1_T2_T3_T4_T5_,@function
_ZN2at6native39vectorized_templated_elementwise_kernelILi8EN12_GLOBAL__N_110CalcIgammaIfEESt5arrayIPcLm3EE23TrivialOffsetCalculatorILi2EjES8_ILi1EjENS0_6memory12LoadWithCastILi2EEENSB_13StoreWithCastILi1EEEfJN3c108BFloat16EfEEEviT0_T1_T2_T3_T4_T5_: ; @_ZN2at6native39vectorized_templated_elementwise_kernelILi8EN12_GLOBAL__N_110CalcIgammaIfEESt5arrayIPcLm3EE23TrivialOffsetCalculatorILi2EjES8_ILi1EjENS0_6memory12LoadWithCastILi2EEENSB_13StoreWithCastILi1EEEfJN3c108BFloat16EfEEEviT0_T1_T2_T3_T4_T5_
; %bb.0:
	s_mov_b64 s[36:37], s[0:1]
	s_clause 0x1
	s_load_b64 s[2:3], s[0:1], 0x0
	s_load_b32 s0, s[0:1], 0x38
	s_clause 0x1
	s_load_b64 s[44:45], s[36:37], 0x18
	s_load_b128 s[40:43], s[36:37], 0x8
	v_mov_b32_e32 v46, v0
	s_mov_b32 s38, s15
	s_mov_b32 s32, 0
	s_waitcnt lgkmcnt(0)
	s_bitcmp1_b32 s3, 0
	s_cselect_b32 s49, -1, 0
	s_not_b32 s1, s15
	s_delay_alu instid0(SALU_CYCLE_1) | instskip(SKIP_2) | instid1(SALU_CYCLE_1)
	s_add_i32 s0, s0, s1
	s_mov_b32 s1, -1
	s_lshl_b32 s0, s0, 14
	s_sub_i32 s48, s2, s0
	s_delay_alu instid0(SALU_CYCLE_1)
	s_cmpk_gt_i32 s48, 0x3fff
	s_cbranch_scc1 .LBB29_3
; %bb.1:
	s_and_b32 vcc_lo, exec_lo, s1
	s_cbranch_vccnz .LBB29_132
.LBB29_2:
	s_endpgm
.LBB29_3:
	s_ashr_i32 s1, s0, 31
	v_lshlrev_b32_e32 v4, 4, v46
	s_lshl_b64 s[2:3], s[0:1], 1
	s_xor_b32 s50, s49, -1
	s_add_u32 s2, s42, s2
	s_addc_u32 s3, s43, s3
	v_add_co_u32 v2, s4, s2, v4
	s_delay_alu instid0(VALU_DEP_1) | instskip(SKIP_1) | instid1(VALU_DEP_3)
	v_add_co_ci_u32_e64 v3, null, s3, 0, s4
	v_or_b32_e32 v5, 0x400, v46
	v_add_co_u32 v0, vcc_lo, 0x2000, v2
	s_delay_alu instid0(VALU_DEP_3) | instskip(SKIP_1) | instid1(VALU_DEP_4)
	v_add_co_ci_u32_e32 v1, vcc_lo, 0, v3, vcc_lo
	v_add_co_u32 v2, vcc_lo, 0x6000, v2
	v_lshlrev_b32_e32 v6, 4, v5
	v_lshlrev_b32_e32 v106, 5, v46
	v_add_co_ci_u32_e32 v3, vcc_lo, 0, v3, vcc_lo
	s_lshl_b64 s[46:47], s[0:1], 2
	s_clause 0x1
	global_load_b128 v[102:105], v4, s[2:3]
	global_load_b128 v[98:101], v[0:1], off
	s_add_u32 s0, s44, s46
	s_clause 0x1
	global_load_b128 v[94:97], v6, s[2:3]
	global_load_b128 v[90:93], v[2:3], off
	s_addc_u32 s1, s45, s47
	v_add_co_u32 v2, s2, s0, v106
	s_delay_alu instid0(VALU_DEP_1) | instskip(SKIP_1) | instid1(VALU_DEP_3)
	v_add_co_ci_u32_e64 v3, null, s1, 0, s2
	v_lshlrev_b32_e32 v47, 5, v5
	v_add_co_u32 v0, vcc_lo, 0x4000, v2
	s_delay_alu instid0(VALU_DEP_3)
	v_add_co_ci_u32_e32 v1, vcc_lo, 0, v3, vcc_lo
	v_add_co_u32 v2, vcc_lo, 0xc000, v2
	v_add_co_ci_u32_e32 v3, vcc_lo, 0, v3, vcc_lo
	s_clause 0x7
	global_load_b128 v[70:73], v106, s[0:1] offset:16
	global_load_b128 v[57:60], v106, s[0:1]
	global_load_b128 v[78:81], v[0:1], off
	global_load_b128 v[86:89], v[0:1], off offset:16
	global_load_b128 v[74:77], v47, s[0:1] offset:16
	global_load_b128 v[82:85], v47, s[0:1]
	global_load_b128 v[66:69], v[2:3], off
	global_load_b128 v[42:45], v[2:3], off offset:16
	s_and_b32 vcc_lo, exec_lo, s50
	s_mov_b32 s39, 0
	s_waitcnt vmcnt(11)
	v_lshlrev_b32_e32 v40, 16, v102
	s_cbranch_vccz .LBB29_5
; %bb.4:
	s_waitcnt vmcnt(6)
	s_delay_alu instid0(VALU_DEP_1) | instskip(SKIP_3) | instid1(SALU_CYCLE_1)
	v_dual_mov_b32 v0, v40 :: v_dual_mov_b32 v1, v57
	s_getpc_b64 s[0:1]
	s_add_u32 s0, s0, _ZN12_GLOBAL__N_111calc_igammaIfEET_S1_S1_@rel32@lo+4
	s_addc_u32 s1, s1, _ZN12_GLOBAL__N_111calc_igammaIfEET_S1_S1_@rel32@hi+12
	s_swappc_b64 s[30:31], s[0:1]
	v_mov_b32_e32 v56, v0
	s_and_not1_b32 vcc_lo, exec_lo, s39
	s_cbranch_vccz .LBB29_6
	s_branch .LBB29_7
.LBB29_5:
                                        ; implicit-def: $vgpr56
.LBB29_6:
	s_waitcnt vmcnt(6)
	s_delay_alu instid0(VALU_DEP_1) | instskip(SKIP_3) | instid1(SALU_CYCLE_1)
	v_dual_mov_b32 v0, v40 :: v_dual_mov_b32 v1, v57
	s_getpc_b64 s[0:1]
	s_add_u32 s0, s0, _ZN12_GLOBAL__N_112calc_igammacIfEET_S1_S1_@rel32@lo+4
	s_addc_u32 s1, s1, _ZN12_GLOBAL__N_112calc_igammacIfEET_S1_S1_@rel32@hi+12
	s_swappc_b64 s[30:31], s[0:1]
	v_mov_b32_e32 v56, v0
.LBB29_7:
	v_cndmask_b32_e64 v0, 0, 1, s50
	v_and_b32_e32 v40, 0xffff0000, v102
	s_and_not1_b32 vcc_lo, exec_lo, s50
	s_delay_alu instid0(VALU_DEP_2)
	v_cmp_ne_u32_e64 s39, 1, v0
	s_cbranch_vccnz .LBB29_9
; %bb.8:
	s_waitcnt vmcnt(6)
	v_dual_mov_b32 v0, v40 :: v_dual_mov_b32 v1, v58
	s_getpc_b64 s[0:1]
	s_add_u32 s0, s0, _ZN12_GLOBAL__N_111calc_igammaIfEET_S1_S1_@rel32@lo+4
	s_addc_u32 s1, s1, _ZN12_GLOBAL__N_111calc_igammaIfEET_S1_S1_@rel32@hi+12
	s_delay_alu instid0(SALU_CYCLE_1)
	s_swappc_b64 s[30:31], s[0:1]
	v_mov_b32_e32 v57, v0
	s_cbranch_execz .LBB29_10
	s_branch .LBB29_11
.LBB29_9:
.LBB29_10:
	s_waitcnt vmcnt(6)
	v_dual_mov_b32 v0, v40 :: v_dual_mov_b32 v1, v58
	s_getpc_b64 s[0:1]
	s_add_u32 s0, s0, _ZN12_GLOBAL__N_112calc_igammacIfEET_S1_S1_@rel32@lo+4
	s_addc_u32 s1, s1, _ZN12_GLOBAL__N_112calc_igammacIfEET_S1_S1_@rel32@hi+12
	s_delay_alu instid0(SALU_CYCLE_1)
	s_swappc_b64 s[30:31], s[0:1]
	v_mov_b32_e32 v57, v0
.LBB29_11:
	v_lshlrev_b32_e32 v40, 16, v103
	s_and_b32 vcc_lo, exec_lo, s39
	s_cbranch_vccnz .LBB29_13
; %bb.12:
	s_waitcnt vmcnt(6)
	s_delay_alu instid0(VALU_DEP_1) | instskip(SKIP_3) | instid1(SALU_CYCLE_1)
	v_dual_mov_b32 v0, v40 :: v_dual_mov_b32 v1, v59
	s_getpc_b64 s[0:1]
	s_add_u32 s0, s0, _ZN12_GLOBAL__N_111calc_igammaIfEET_S1_S1_@rel32@lo+4
	s_addc_u32 s1, s1, _ZN12_GLOBAL__N_111calc_igammaIfEET_S1_S1_@rel32@hi+12
	s_swappc_b64 s[30:31], s[0:1]
	v_mov_b32_e32 v58, v0
	s_cbranch_execz .LBB29_14
	s_branch .LBB29_15
.LBB29_13:
.LBB29_14:
	s_waitcnt vmcnt(6)
	s_delay_alu instid0(VALU_DEP_1) | instskip(SKIP_3) | instid1(SALU_CYCLE_1)
	v_dual_mov_b32 v0, v40 :: v_dual_mov_b32 v1, v59
	s_getpc_b64 s[0:1]
	s_add_u32 s0, s0, _ZN12_GLOBAL__N_112calc_igammacIfEET_S1_S1_@rel32@lo+4
	s_addc_u32 s1, s1, _ZN12_GLOBAL__N_112calc_igammacIfEET_S1_S1_@rel32@hi+12
	s_swappc_b64 s[30:31], s[0:1]
	v_mov_b32_e32 v58, v0
.LBB29_15:
	v_and_b32_e32 v40, 0xffff0000, v103
	s_and_b32 vcc_lo, exec_lo, s39
	s_cbranch_vccnz .LBB29_17
; %bb.16:
	s_delay_alu instid0(VALU_DEP_1)
	v_mov_b32_e32 v0, v40
	s_waitcnt vmcnt(6)
	v_mov_b32_e32 v1, v60
	s_getpc_b64 s[0:1]
	s_add_u32 s0, s0, _ZN12_GLOBAL__N_111calc_igammaIfEET_S1_S1_@rel32@lo+4
	s_addc_u32 s1, s1, _ZN12_GLOBAL__N_111calc_igammaIfEET_S1_S1_@rel32@hi+12
	s_delay_alu instid0(SALU_CYCLE_1)
	s_swappc_b64 s[30:31], s[0:1]
	v_mov_b32_e32 v59, v0
	s_cbranch_execz .LBB29_18
	s_branch .LBB29_19
.LBB29_17:
.LBB29_18:
	s_delay_alu instid0(VALU_DEP_1)
	v_mov_b32_e32 v0, v40
	s_waitcnt vmcnt(6)
	v_mov_b32_e32 v1, v60
	s_getpc_b64 s[0:1]
	s_add_u32 s0, s0, _ZN12_GLOBAL__N_112calc_igammacIfEET_S1_S1_@rel32@lo+4
	s_addc_u32 s1, s1, _ZN12_GLOBAL__N_112calc_igammacIfEET_S1_S1_@rel32@hi+12
	s_delay_alu instid0(SALU_CYCLE_1)
	s_swappc_b64 s[30:31], s[0:1]
	v_mov_b32_e32 v59, v0
.LBB29_19:
	v_lshlrev_b32_e32 v40, 16, v104
	s_and_b32 vcc_lo, exec_lo, s39
	s_cbranch_vccnz .LBB29_21
; %bb.20:
	s_waitcnt vmcnt(7)
	s_delay_alu instid0(VALU_DEP_1) | instskip(SKIP_3) | instid1(SALU_CYCLE_1)
	v_dual_mov_b32 v0, v40 :: v_dual_mov_b32 v1, v70
	s_getpc_b64 s[0:1]
	s_add_u32 s0, s0, _ZN12_GLOBAL__N_111calc_igammaIfEET_S1_S1_@rel32@lo+4
	s_addc_u32 s1, s1, _ZN12_GLOBAL__N_111calc_igammaIfEET_S1_S1_@rel32@hi+12
	s_swappc_b64 s[30:31], s[0:1]
	v_mov_b32_e32 v60, v0
	s_cbranch_execz .LBB29_22
	s_branch .LBB29_23
.LBB29_21:
                                        ; implicit-def: $vgpr60
.LBB29_22:
	s_waitcnt vmcnt(7)
	s_delay_alu instid0(VALU_DEP_1) | instskip(SKIP_3) | instid1(SALU_CYCLE_1)
	v_dual_mov_b32 v0, v40 :: v_dual_mov_b32 v1, v70
	s_getpc_b64 s[0:1]
	s_add_u32 s0, s0, _ZN12_GLOBAL__N_112calc_igammacIfEET_S1_S1_@rel32@lo+4
	s_addc_u32 s1, s1, _ZN12_GLOBAL__N_112calc_igammacIfEET_S1_S1_@rel32@hi+12
	s_swappc_b64 s[30:31], s[0:1]
	v_mov_b32_e32 v60, v0
.LBB29_23:
	v_and_b32_e32 v40, 0xffff0000, v104
	s_and_b32 vcc_lo, exec_lo, s39
	s_cbranch_vccnz .LBB29_25
; %bb.24:
	s_waitcnt vmcnt(7)
	s_delay_alu instid0(VALU_DEP_1) | instskip(SKIP_3) | instid1(SALU_CYCLE_1)
	v_dual_mov_b32 v0, v40 :: v_dual_mov_b32 v1, v71
	s_getpc_b64 s[0:1]
	s_add_u32 s0, s0, _ZN12_GLOBAL__N_111calc_igammaIfEET_S1_S1_@rel32@lo+4
	s_addc_u32 s1, s1, _ZN12_GLOBAL__N_111calc_igammaIfEET_S1_S1_@rel32@hi+12
	s_swappc_b64 s[30:31], s[0:1]
	v_mov_b32_e32 v61, v0
	s_cbranch_execz .LBB29_26
	s_branch .LBB29_27
.LBB29_25:
.LBB29_26:
	s_waitcnt vmcnt(7)
	s_delay_alu instid0(VALU_DEP_1) | instskip(SKIP_3) | instid1(SALU_CYCLE_1)
	v_dual_mov_b32 v0, v40 :: v_dual_mov_b32 v1, v71
	s_getpc_b64 s[0:1]
	s_add_u32 s0, s0, _ZN12_GLOBAL__N_112calc_igammacIfEET_S1_S1_@rel32@lo+4
	s_addc_u32 s1, s1, _ZN12_GLOBAL__N_112calc_igammacIfEET_S1_S1_@rel32@hi+12
	s_swappc_b64 s[30:31], s[0:1]
	v_mov_b32_e32 v61, v0
.LBB29_27:
	v_lshlrev_b32_e32 v40, 16, v105
	s_and_b32 vcc_lo, exec_lo, s39
	s_cbranch_vccnz .LBB29_29
; %bb.28:
	s_delay_alu instid0(VALU_DEP_1)
	v_mov_b32_e32 v0, v40
	s_waitcnt vmcnt(7)
	v_mov_b32_e32 v1, v72
	s_getpc_b64 s[0:1]
	s_add_u32 s0, s0, _ZN12_GLOBAL__N_111calc_igammaIfEET_S1_S1_@rel32@lo+4
	s_addc_u32 s1, s1, _ZN12_GLOBAL__N_111calc_igammaIfEET_S1_S1_@rel32@hi+12
	s_delay_alu instid0(SALU_CYCLE_1)
	s_swappc_b64 s[30:31], s[0:1]
	v_mov_b32_e32 v62, v0
	s_cbranch_execz .LBB29_30
	s_branch .LBB29_31
.LBB29_29:
.LBB29_30:
	s_delay_alu instid0(VALU_DEP_1)
	v_mov_b32_e32 v0, v40
	s_waitcnt vmcnt(7)
	v_mov_b32_e32 v1, v72
	s_getpc_b64 s[0:1]
	s_add_u32 s0, s0, _ZN12_GLOBAL__N_112calc_igammacIfEET_S1_S1_@rel32@lo+4
	s_addc_u32 s1, s1, _ZN12_GLOBAL__N_112calc_igammacIfEET_S1_S1_@rel32@hi+12
	s_delay_alu instid0(SALU_CYCLE_1)
	s_swappc_b64 s[30:31], s[0:1]
	v_mov_b32_e32 v62, v0
.LBB29_31:
	v_and_b32_e32 v40, 0xffff0000, v105
	s_and_b32 vcc_lo, exec_lo, s39
	s_cbranch_vccnz .LBB29_33
; %bb.32:
	s_waitcnt vmcnt(7)
	s_delay_alu instid0(VALU_DEP_1) | instskip(SKIP_3) | instid1(SALU_CYCLE_1)
	v_dual_mov_b32 v0, v40 :: v_dual_mov_b32 v1, v73
	s_getpc_b64 s[0:1]
	s_add_u32 s0, s0, _ZN12_GLOBAL__N_111calc_igammaIfEET_S1_S1_@rel32@lo+4
	s_addc_u32 s1, s1, _ZN12_GLOBAL__N_111calc_igammaIfEET_S1_S1_@rel32@hi+12
	s_swappc_b64 s[30:31], s[0:1]
	v_mov_b32_e32 v63, v0
	s_cbranch_execz .LBB29_34
	s_branch .LBB29_35
.LBB29_33:
.LBB29_34:
	s_waitcnt vmcnt(7)
	s_delay_alu instid0(VALU_DEP_1) | instskip(SKIP_3) | instid1(SALU_CYCLE_1)
	v_dual_mov_b32 v0, v40 :: v_dual_mov_b32 v1, v73
	s_getpc_b64 s[0:1]
	s_add_u32 s0, s0, _ZN12_GLOBAL__N_112calc_igammacIfEET_S1_S1_@rel32@lo+4
	s_addc_u32 s1, s1, _ZN12_GLOBAL__N_112calc_igammacIfEET_S1_S1_@rel32@hi+12
	s_swappc_b64 s[30:31], s[0:1]
	v_mov_b32_e32 v63, v0
.LBB29_35:
	s_waitcnt vmcnt(10)
	v_lshlrev_b32_e32 v40, 16, v98
	s_and_b32 vcc_lo, exec_lo, s39
	s_cbranch_vccnz .LBB29_37
; %bb.36:
	s_waitcnt vmcnt(5)
	s_delay_alu instid0(VALU_DEP_1) | instskip(SKIP_3) | instid1(SALU_CYCLE_1)
	v_dual_mov_b32 v0, v40 :: v_dual_mov_b32 v1, v78
	s_getpc_b64 s[0:1]
	s_add_u32 s0, s0, _ZN12_GLOBAL__N_111calc_igammaIfEET_S1_S1_@rel32@lo+4
	s_addc_u32 s1, s1, _ZN12_GLOBAL__N_111calc_igammaIfEET_S1_S1_@rel32@hi+12
	s_swappc_b64 s[30:31], s[0:1]
	v_mov_b32_e32 v70, v0
	s_cbranch_execz .LBB29_38
	s_branch .LBB29_39
.LBB29_37:
                                        ; implicit-def: $vgpr70
.LBB29_38:
	s_waitcnt vmcnt(5)
	s_delay_alu instid0(VALU_DEP_1) | instskip(SKIP_3) | instid1(SALU_CYCLE_1)
	v_dual_mov_b32 v0, v40 :: v_dual_mov_b32 v1, v78
	s_getpc_b64 s[0:1]
	s_add_u32 s0, s0, _ZN12_GLOBAL__N_112calc_igammacIfEET_S1_S1_@rel32@lo+4
	s_addc_u32 s1, s1, _ZN12_GLOBAL__N_112calc_igammacIfEET_S1_S1_@rel32@hi+12
	s_swappc_b64 s[30:31], s[0:1]
	v_mov_b32_e32 v70, v0
.LBB29_39:
	v_and_b32_e32 v40, 0xffff0000, v98
	s_and_b32 vcc_lo, exec_lo, s39
	s_cbranch_vccnz .LBB29_41
; %bb.40:
	s_waitcnt vmcnt(5)
	s_delay_alu instid0(VALU_DEP_1) | instskip(SKIP_3) | instid1(SALU_CYCLE_1)
	v_dual_mov_b32 v0, v40 :: v_dual_mov_b32 v1, v79
	s_getpc_b64 s[0:1]
	s_add_u32 s0, s0, _ZN12_GLOBAL__N_111calc_igammaIfEET_S1_S1_@rel32@lo+4
	s_addc_u32 s1, s1, _ZN12_GLOBAL__N_111calc_igammaIfEET_S1_S1_@rel32@hi+12
	s_swappc_b64 s[30:31], s[0:1]
	v_mov_b32_e32 v71, v0
	s_cbranch_execz .LBB29_42
	s_branch .LBB29_43
.LBB29_41:
.LBB29_42:
	s_waitcnt vmcnt(5)
	s_delay_alu instid0(VALU_DEP_1) | instskip(SKIP_3) | instid1(SALU_CYCLE_1)
	v_dual_mov_b32 v0, v40 :: v_dual_mov_b32 v1, v79
	s_getpc_b64 s[0:1]
	s_add_u32 s0, s0, _ZN12_GLOBAL__N_112calc_igammacIfEET_S1_S1_@rel32@lo+4
	s_addc_u32 s1, s1, _ZN12_GLOBAL__N_112calc_igammacIfEET_S1_S1_@rel32@hi+12
	s_swappc_b64 s[30:31], s[0:1]
	v_mov_b32_e32 v71, v0
.LBB29_43:
	v_lshlrev_b32_e32 v40, 16, v99
	s_and_b32 vcc_lo, exec_lo, s39
	s_cbranch_vccnz .LBB29_45
; %bb.44:
	s_delay_alu instid0(VALU_DEP_1)
	v_mov_b32_e32 v0, v40
	s_waitcnt vmcnt(5)
	v_mov_b32_e32 v1, v80
	s_getpc_b64 s[0:1]
	s_add_u32 s0, s0, _ZN12_GLOBAL__N_111calc_igammaIfEET_S1_S1_@rel32@lo+4
	s_addc_u32 s1, s1, _ZN12_GLOBAL__N_111calc_igammaIfEET_S1_S1_@rel32@hi+12
	s_delay_alu instid0(SALU_CYCLE_1)
	s_swappc_b64 s[30:31], s[0:1]
	v_mov_b32_e32 v72, v0
	s_cbranch_execz .LBB29_46
	s_branch .LBB29_47
.LBB29_45:
.LBB29_46:
	s_delay_alu instid0(VALU_DEP_1)
	v_mov_b32_e32 v0, v40
	s_waitcnt vmcnt(5)
	v_mov_b32_e32 v1, v80
	s_getpc_b64 s[0:1]
	s_add_u32 s0, s0, _ZN12_GLOBAL__N_112calc_igammacIfEET_S1_S1_@rel32@lo+4
	s_addc_u32 s1, s1, _ZN12_GLOBAL__N_112calc_igammacIfEET_S1_S1_@rel32@hi+12
	s_delay_alu instid0(SALU_CYCLE_1)
	s_swappc_b64 s[30:31], s[0:1]
	v_mov_b32_e32 v72, v0
.LBB29_47:
	v_and_b32_e32 v40, 0xffff0000, v99
	s_and_b32 vcc_lo, exec_lo, s39
	s_cbranch_vccnz .LBB29_49
; %bb.48:
	s_waitcnt vmcnt(5)
	s_delay_alu instid0(VALU_DEP_1) | instskip(SKIP_3) | instid1(SALU_CYCLE_1)
	v_dual_mov_b32 v0, v40 :: v_dual_mov_b32 v1, v81
	s_getpc_b64 s[0:1]
	s_add_u32 s0, s0, _ZN12_GLOBAL__N_111calc_igammaIfEET_S1_S1_@rel32@lo+4
	s_addc_u32 s1, s1, _ZN12_GLOBAL__N_111calc_igammaIfEET_S1_S1_@rel32@hi+12
	s_swappc_b64 s[30:31], s[0:1]
	v_mov_b32_e32 v73, v0
	s_cbranch_execz .LBB29_50
	s_branch .LBB29_51
.LBB29_49:
.LBB29_50:
	s_waitcnt vmcnt(5)
	s_delay_alu instid0(VALU_DEP_1) | instskip(SKIP_3) | instid1(SALU_CYCLE_1)
	v_dual_mov_b32 v0, v40 :: v_dual_mov_b32 v1, v81
	s_getpc_b64 s[0:1]
	s_add_u32 s0, s0, _ZN12_GLOBAL__N_112calc_igammacIfEET_S1_S1_@rel32@lo+4
	s_addc_u32 s1, s1, _ZN12_GLOBAL__N_112calc_igammacIfEET_S1_S1_@rel32@hi+12
	s_swappc_b64 s[30:31], s[0:1]
	v_mov_b32_e32 v73, v0
.LBB29_51:
	v_lshlrev_b32_e32 v40, 16, v100
	s_and_b32 vcc_lo, exec_lo, s39
	s_cbranch_vccnz .LBB29_53
; %bb.52:
	s_waitcnt vmcnt(4)
	s_delay_alu instid0(VALU_DEP_1) | instskip(SKIP_3) | instid1(SALU_CYCLE_1)
	v_dual_mov_b32 v0, v40 :: v_dual_mov_b32 v1, v86
	s_getpc_b64 s[0:1]
	s_add_u32 s0, s0, _ZN12_GLOBAL__N_111calc_igammaIfEET_S1_S1_@rel32@lo+4
	s_addc_u32 s1, s1, _ZN12_GLOBAL__N_111calc_igammaIfEET_S1_S1_@rel32@hi+12
	s_swappc_b64 s[30:31], s[0:1]
	v_mov_b32_e32 v78, v0
	s_cbranch_execz .LBB29_54
	s_branch .LBB29_55
.LBB29_53:
                                        ; implicit-def: $vgpr78
.LBB29_54:
	s_waitcnt vmcnt(4)
	s_delay_alu instid0(VALU_DEP_1) | instskip(SKIP_3) | instid1(SALU_CYCLE_1)
	v_dual_mov_b32 v0, v40 :: v_dual_mov_b32 v1, v86
	s_getpc_b64 s[0:1]
	s_add_u32 s0, s0, _ZN12_GLOBAL__N_112calc_igammacIfEET_S1_S1_@rel32@lo+4
	s_addc_u32 s1, s1, _ZN12_GLOBAL__N_112calc_igammacIfEET_S1_S1_@rel32@hi+12
	s_swappc_b64 s[30:31], s[0:1]
	v_mov_b32_e32 v78, v0
.LBB29_55:
	v_and_b32_e32 v40, 0xffff0000, v100
	s_and_b32 vcc_lo, exec_lo, s39
	s_cbranch_vccnz .LBB29_57
; %bb.56:
	s_waitcnt vmcnt(4)
	s_delay_alu instid0(VALU_DEP_1) | instskip(SKIP_3) | instid1(SALU_CYCLE_1)
	v_dual_mov_b32 v0, v40 :: v_dual_mov_b32 v1, v87
	s_getpc_b64 s[0:1]
	s_add_u32 s0, s0, _ZN12_GLOBAL__N_111calc_igammaIfEET_S1_S1_@rel32@lo+4
	s_addc_u32 s1, s1, _ZN12_GLOBAL__N_111calc_igammaIfEET_S1_S1_@rel32@hi+12
	s_swappc_b64 s[30:31], s[0:1]
	v_mov_b32_e32 v79, v0
	s_cbranch_execz .LBB29_58
	s_branch .LBB29_59
.LBB29_57:
.LBB29_58:
	s_waitcnt vmcnt(4)
	s_delay_alu instid0(VALU_DEP_1) | instskip(SKIP_3) | instid1(SALU_CYCLE_1)
	v_dual_mov_b32 v0, v40 :: v_dual_mov_b32 v1, v87
	s_getpc_b64 s[0:1]
	s_add_u32 s0, s0, _ZN12_GLOBAL__N_112calc_igammacIfEET_S1_S1_@rel32@lo+4
	s_addc_u32 s1, s1, _ZN12_GLOBAL__N_112calc_igammacIfEET_S1_S1_@rel32@hi+12
	s_swappc_b64 s[30:31], s[0:1]
	v_mov_b32_e32 v79, v0
.LBB29_59:
	v_lshlrev_b32_e32 v40, 16, v101
	s_and_b32 vcc_lo, exec_lo, s39
	s_cbranch_vccnz .LBB29_61
; %bb.60:
	s_delay_alu instid0(VALU_DEP_1)
	v_mov_b32_e32 v0, v40
	s_waitcnt vmcnt(4)
	v_mov_b32_e32 v1, v88
	s_getpc_b64 s[0:1]
	s_add_u32 s0, s0, _ZN12_GLOBAL__N_111calc_igammaIfEET_S1_S1_@rel32@lo+4
	s_addc_u32 s1, s1, _ZN12_GLOBAL__N_111calc_igammaIfEET_S1_S1_@rel32@hi+12
	s_delay_alu instid0(SALU_CYCLE_1)
	s_swappc_b64 s[30:31], s[0:1]
	v_mov_b32_e32 v80, v0
	s_cbranch_execz .LBB29_62
	s_branch .LBB29_63
.LBB29_61:
.LBB29_62:
	s_delay_alu instid0(VALU_DEP_1)
	v_mov_b32_e32 v0, v40
	s_waitcnt vmcnt(4)
	v_mov_b32_e32 v1, v88
	s_getpc_b64 s[0:1]
	s_add_u32 s0, s0, _ZN12_GLOBAL__N_112calc_igammacIfEET_S1_S1_@rel32@lo+4
	s_addc_u32 s1, s1, _ZN12_GLOBAL__N_112calc_igammacIfEET_S1_S1_@rel32@hi+12
	s_delay_alu instid0(SALU_CYCLE_1)
	s_swappc_b64 s[30:31], s[0:1]
	v_mov_b32_e32 v80, v0
.LBB29_63:
	v_and_b32_e32 v40, 0xffff0000, v101
	s_and_b32 vcc_lo, exec_lo, s39
	s_cbranch_vccnz .LBB29_65
; %bb.64:
	s_waitcnt vmcnt(4)
	s_delay_alu instid0(VALU_DEP_1) | instskip(SKIP_3) | instid1(SALU_CYCLE_1)
	v_dual_mov_b32 v0, v40 :: v_dual_mov_b32 v1, v89
	s_getpc_b64 s[0:1]
	s_add_u32 s0, s0, _ZN12_GLOBAL__N_111calc_igammaIfEET_S1_S1_@rel32@lo+4
	s_addc_u32 s1, s1, _ZN12_GLOBAL__N_111calc_igammaIfEET_S1_S1_@rel32@hi+12
	s_swappc_b64 s[30:31], s[0:1]
	v_mov_b32_e32 v81, v0
	s_cbranch_execz .LBB29_66
	s_branch .LBB29_67
.LBB29_65:
.LBB29_66:
	s_waitcnt vmcnt(4)
	s_delay_alu instid0(VALU_DEP_1) | instskip(SKIP_3) | instid1(SALU_CYCLE_1)
	v_dual_mov_b32 v0, v40 :: v_dual_mov_b32 v1, v89
	s_getpc_b64 s[0:1]
	s_add_u32 s0, s0, _ZN12_GLOBAL__N_112calc_igammacIfEET_S1_S1_@rel32@lo+4
	s_addc_u32 s1, s1, _ZN12_GLOBAL__N_112calc_igammacIfEET_S1_S1_@rel32@hi+12
	s_swappc_b64 s[30:31], s[0:1]
	v_mov_b32_e32 v81, v0
.LBB29_67:
	s_waitcnt vmcnt(9)
	v_lshlrev_b32_e32 v40, 16, v94
	s_and_b32 vcc_lo, exec_lo, s39
	s_cbranch_vccnz .LBB29_69
; %bb.68:
	s_waitcnt vmcnt(2)
	s_delay_alu instid0(VALU_DEP_1) | instskip(SKIP_3) | instid1(SALU_CYCLE_1)
	v_dual_mov_b32 v0, v40 :: v_dual_mov_b32 v1, v82
	s_getpc_b64 s[0:1]
	s_add_u32 s0, s0, _ZN12_GLOBAL__N_111calc_igammaIfEET_S1_S1_@rel32@lo+4
	s_addc_u32 s1, s1, _ZN12_GLOBAL__N_111calc_igammaIfEET_S1_S1_@rel32@hi+12
	s_swappc_b64 s[30:31], s[0:1]
	v_mov_b32_e32 v86, v0
	s_cbranch_execz .LBB29_70
	s_branch .LBB29_71
.LBB29_69:
                                        ; implicit-def: $vgpr86
.LBB29_70:
	s_waitcnt vmcnt(2)
	s_delay_alu instid0(VALU_DEP_1) | instskip(SKIP_3) | instid1(SALU_CYCLE_1)
	v_dual_mov_b32 v0, v40 :: v_dual_mov_b32 v1, v82
	s_getpc_b64 s[0:1]
	s_add_u32 s0, s0, _ZN12_GLOBAL__N_112calc_igammacIfEET_S1_S1_@rel32@lo+4
	s_addc_u32 s1, s1, _ZN12_GLOBAL__N_112calc_igammacIfEET_S1_S1_@rel32@hi+12
	s_swappc_b64 s[30:31], s[0:1]
	v_mov_b32_e32 v86, v0
.LBB29_71:
	v_and_b32_e32 v40, 0xffff0000, v94
	s_and_b32 vcc_lo, exec_lo, s39
	s_cbranch_vccnz .LBB29_73
; %bb.72:
	s_waitcnt vmcnt(2)
	s_delay_alu instid0(VALU_DEP_1) | instskip(SKIP_3) | instid1(SALU_CYCLE_1)
	v_dual_mov_b32 v0, v40 :: v_dual_mov_b32 v1, v83
	s_getpc_b64 s[0:1]
	s_add_u32 s0, s0, _ZN12_GLOBAL__N_111calc_igammaIfEET_S1_S1_@rel32@lo+4
	s_addc_u32 s1, s1, _ZN12_GLOBAL__N_111calc_igammaIfEET_S1_S1_@rel32@hi+12
	s_swappc_b64 s[30:31], s[0:1]
	v_mov_b32_e32 v87, v0
	s_cbranch_execz .LBB29_74
	s_branch .LBB29_75
.LBB29_73:
.LBB29_74:
	s_waitcnt vmcnt(2)
	s_delay_alu instid0(VALU_DEP_1) | instskip(SKIP_3) | instid1(SALU_CYCLE_1)
	v_dual_mov_b32 v0, v40 :: v_dual_mov_b32 v1, v83
	s_getpc_b64 s[0:1]
	s_add_u32 s0, s0, _ZN12_GLOBAL__N_112calc_igammacIfEET_S1_S1_@rel32@lo+4
	s_addc_u32 s1, s1, _ZN12_GLOBAL__N_112calc_igammacIfEET_S1_S1_@rel32@hi+12
	s_swappc_b64 s[30:31], s[0:1]
	v_mov_b32_e32 v87, v0
.LBB29_75:
	v_lshlrev_b32_e32 v40, 16, v95
	s_and_b32 vcc_lo, exec_lo, s39
	s_cbranch_vccnz .LBB29_77
; %bb.76:
	s_delay_alu instid0(VALU_DEP_1)
	v_mov_b32_e32 v0, v40
	s_waitcnt vmcnt(2)
	v_mov_b32_e32 v1, v84
	s_getpc_b64 s[0:1]
	s_add_u32 s0, s0, _ZN12_GLOBAL__N_111calc_igammaIfEET_S1_S1_@rel32@lo+4
	s_addc_u32 s1, s1, _ZN12_GLOBAL__N_111calc_igammaIfEET_S1_S1_@rel32@hi+12
	s_delay_alu instid0(SALU_CYCLE_1)
	s_swappc_b64 s[30:31], s[0:1]
	v_mov_b32_e32 v88, v0
	s_cbranch_execz .LBB29_78
	s_branch .LBB29_79
.LBB29_77:
.LBB29_78:
	s_delay_alu instid0(VALU_DEP_1)
	v_mov_b32_e32 v0, v40
	s_waitcnt vmcnt(2)
	v_mov_b32_e32 v1, v84
	s_getpc_b64 s[0:1]
	s_add_u32 s0, s0, _ZN12_GLOBAL__N_112calc_igammacIfEET_S1_S1_@rel32@lo+4
	s_addc_u32 s1, s1, _ZN12_GLOBAL__N_112calc_igammacIfEET_S1_S1_@rel32@hi+12
	s_delay_alu instid0(SALU_CYCLE_1)
	s_swappc_b64 s[30:31], s[0:1]
	v_mov_b32_e32 v88, v0
.LBB29_79:
	v_and_b32_e32 v40, 0xffff0000, v95
	s_and_b32 vcc_lo, exec_lo, s39
	s_cbranch_vccnz .LBB29_81
; %bb.80:
	s_waitcnt vmcnt(2)
	s_delay_alu instid0(VALU_DEP_1) | instskip(SKIP_3) | instid1(SALU_CYCLE_1)
	v_dual_mov_b32 v0, v40 :: v_dual_mov_b32 v1, v85
	s_getpc_b64 s[0:1]
	s_add_u32 s0, s0, _ZN12_GLOBAL__N_111calc_igammaIfEET_S1_S1_@rel32@lo+4
	s_addc_u32 s1, s1, _ZN12_GLOBAL__N_111calc_igammaIfEET_S1_S1_@rel32@hi+12
	s_swappc_b64 s[30:31], s[0:1]
	v_mov_b32_e32 v89, v0
	s_cbranch_execz .LBB29_82
	s_branch .LBB29_83
.LBB29_81:
.LBB29_82:
	s_waitcnt vmcnt(2)
	s_delay_alu instid0(VALU_DEP_1) | instskip(SKIP_3) | instid1(SALU_CYCLE_1)
	v_dual_mov_b32 v0, v40 :: v_dual_mov_b32 v1, v85
	s_getpc_b64 s[0:1]
	s_add_u32 s0, s0, _ZN12_GLOBAL__N_112calc_igammacIfEET_S1_S1_@rel32@lo+4
	s_addc_u32 s1, s1, _ZN12_GLOBAL__N_112calc_igammacIfEET_S1_S1_@rel32@hi+12
	s_swappc_b64 s[30:31], s[0:1]
	v_mov_b32_e32 v89, v0
.LBB29_83:
	v_lshlrev_b32_e32 v40, 16, v96
	s_and_b32 vcc_lo, exec_lo, s39
	s_cbranch_vccnz .LBB29_85
; %bb.84:
	s_waitcnt vmcnt(3)
	s_delay_alu instid0(VALU_DEP_1) | instskip(SKIP_3) | instid1(SALU_CYCLE_1)
	v_dual_mov_b32 v0, v40 :: v_dual_mov_b32 v1, v74
	s_getpc_b64 s[0:1]
	s_add_u32 s0, s0, _ZN12_GLOBAL__N_111calc_igammaIfEET_S1_S1_@rel32@lo+4
	s_addc_u32 s1, s1, _ZN12_GLOBAL__N_111calc_igammaIfEET_S1_S1_@rel32@hi+12
	s_swappc_b64 s[30:31], s[0:1]
	v_mov_b32_e32 v82, v0
	s_cbranch_execz .LBB29_86
	s_branch .LBB29_87
.LBB29_85:
                                        ; implicit-def: $vgpr82
.LBB29_86:
	s_waitcnt vmcnt(3)
	s_delay_alu instid0(VALU_DEP_1) | instskip(SKIP_3) | instid1(SALU_CYCLE_1)
	v_dual_mov_b32 v0, v40 :: v_dual_mov_b32 v1, v74
	s_getpc_b64 s[0:1]
	s_add_u32 s0, s0, _ZN12_GLOBAL__N_112calc_igammacIfEET_S1_S1_@rel32@lo+4
	s_addc_u32 s1, s1, _ZN12_GLOBAL__N_112calc_igammacIfEET_S1_S1_@rel32@hi+12
	s_swappc_b64 s[30:31], s[0:1]
	v_mov_b32_e32 v82, v0
.LBB29_87:
	v_and_b32_e32 v40, 0xffff0000, v96
	s_and_b32 vcc_lo, exec_lo, s39
	s_cbranch_vccnz .LBB29_89
; %bb.88:
	s_waitcnt vmcnt(3)
	s_delay_alu instid0(VALU_DEP_1) | instskip(SKIP_3) | instid1(SALU_CYCLE_1)
	v_dual_mov_b32 v0, v40 :: v_dual_mov_b32 v1, v75
	s_getpc_b64 s[0:1]
	s_add_u32 s0, s0, _ZN12_GLOBAL__N_111calc_igammaIfEET_S1_S1_@rel32@lo+4
	s_addc_u32 s1, s1, _ZN12_GLOBAL__N_111calc_igammaIfEET_S1_S1_@rel32@hi+12
	s_swappc_b64 s[30:31], s[0:1]
	v_mov_b32_e32 v83, v0
	s_cbranch_execz .LBB29_90
	s_branch .LBB29_91
.LBB29_89:
.LBB29_90:
	s_waitcnt vmcnt(3)
	s_delay_alu instid0(VALU_DEP_1) | instskip(SKIP_3) | instid1(SALU_CYCLE_1)
	v_dual_mov_b32 v0, v40 :: v_dual_mov_b32 v1, v75
	s_getpc_b64 s[0:1]
	s_add_u32 s0, s0, _ZN12_GLOBAL__N_112calc_igammacIfEET_S1_S1_@rel32@lo+4
	s_addc_u32 s1, s1, _ZN12_GLOBAL__N_112calc_igammacIfEET_S1_S1_@rel32@hi+12
	s_swappc_b64 s[30:31], s[0:1]
	v_mov_b32_e32 v83, v0
.LBB29_91:
	v_lshlrev_b32_e32 v40, 16, v97
	s_and_b32 vcc_lo, exec_lo, s39
	s_cbranch_vccnz .LBB29_93
; %bb.92:
	s_delay_alu instid0(VALU_DEP_1)
	v_mov_b32_e32 v0, v40
	s_waitcnt vmcnt(3)
	v_mov_b32_e32 v1, v76
	s_getpc_b64 s[0:1]
	s_add_u32 s0, s0, _ZN12_GLOBAL__N_111calc_igammaIfEET_S1_S1_@rel32@lo+4
	s_addc_u32 s1, s1, _ZN12_GLOBAL__N_111calc_igammaIfEET_S1_S1_@rel32@hi+12
	s_delay_alu instid0(SALU_CYCLE_1)
	s_swappc_b64 s[30:31], s[0:1]
	v_mov_b32_e32 v84, v0
	s_cbranch_execz .LBB29_94
	s_branch .LBB29_95
.LBB29_93:
.LBB29_94:
	s_delay_alu instid0(VALU_DEP_1)
	v_mov_b32_e32 v0, v40
	s_waitcnt vmcnt(3)
	v_mov_b32_e32 v1, v76
	s_getpc_b64 s[0:1]
	s_add_u32 s0, s0, _ZN12_GLOBAL__N_112calc_igammacIfEET_S1_S1_@rel32@lo+4
	s_addc_u32 s1, s1, _ZN12_GLOBAL__N_112calc_igammacIfEET_S1_S1_@rel32@hi+12
	s_delay_alu instid0(SALU_CYCLE_1)
	s_swappc_b64 s[30:31], s[0:1]
	v_mov_b32_e32 v84, v0
.LBB29_95:
	v_and_b32_e32 v40, 0xffff0000, v97
	s_and_b32 vcc_lo, exec_lo, s39
	s_cbranch_vccnz .LBB29_97
; %bb.96:
	s_waitcnt vmcnt(3)
	s_delay_alu instid0(VALU_DEP_1) | instskip(SKIP_3) | instid1(SALU_CYCLE_1)
	v_dual_mov_b32 v0, v40 :: v_dual_mov_b32 v1, v77
	s_getpc_b64 s[0:1]
	s_add_u32 s0, s0, _ZN12_GLOBAL__N_111calc_igammaIfEET_S1_S1_@rel32@lo+4
	s_addc_u32 s1, s1, _ZN12_GLOBAL__N_111calc_igammaIfEET_S1_S1_@rel32@hi+12
	s_swappc_b64 s[30:31], s[0:1]
	v_mov_b32_e32 v85, v0
	s_cbranch_execz .LBB29_98
	s_branch .LBB29_99
.LBB29_97:
.LBB29_98:
	s_waitcnt vmcnt(3)
	s_delay_alu instid0(VALU_DEP_1) | instskip(SKIP_3) | instid1(SALU_CYCLE_1)
	v_dual_mov_b32 v0, v40 :: v_dual_mov_b32 v1, v77
	s_getpc_b64 s[0:1]
	s_add_u32 s0, s0, _ZN12_GLOBAL__N_112calc_igammacIfEET_S1_S1_@rel32@lo+4
	s_addc_u32 s1, s1, _ZN12_GLOBAL__N_112calc_igammacIfEET_S1_S1_@rel32@hi+12
	s_swappc_b64 s[30:31], s[0:1]
	v_mov_b32_e32 v85, v0
.LBB29_99:
	s_waitcnt vmcnt(8)
	v_lshlrev_b32_e32 v40, 16, v90
	s_and_b32 vcc_lo, exec_lo, s39
	s_cbranch_vccnz .LBB29_101
; %bb.100:
	s_waitcnt vmcnt(1)
	s_delay_alu instid0(VALU_DEP_1) | instskip(SKIP_3) | instid1(SALU_CYCLE_1)
	v_dual_mov_b32 v0, v40 :: v_dual_mov_b32 v1, v66
	s_getpc_b64 s[0:1]
	s_add_u32 s0, s0, _ZN12_GLOBAL__N_111calc_igammaIfEET_S1_S1_@rel32@lo+4
	s_addc_u32 s1, s1, _ZN12_GLOBAL__N_111calc_igammaIfEET_S1_S1_@rel32@hi+12
	s_swappc_b64 s[30:31], s[0:1]
	v_mov_b32_e32 v74, v0
	s_cbranch_execz .LBB29_102
	s_branch .LBB29_103
.LBB29_101:
                                        ; implicit-def: $vgpr74
.LBB29_102:
	s_waitcnt vmcnt(1)
	s_delay_alu instid0(VALU_DEP_1) | instskip(SKIP_3) | instid1(SALU_CYCLE_1)
	v_dual_mov_b32 v0, v40 :: v_dual_mov_b32 v1, v66
	s_getpc_b64 s[0:1]
	s_add_u32 s0, s0, _ZN12_GLOBAL__N_112calc_igammacIfEET_S1_S1_@rel32@lo+4
	s_addc_u32 s1, s1, _ZN12_GLOBAL__N_112calc_igammacIfEET_S1_S1_@rel32@hi+12
	s_swappc_b64 s[30:31], s[0:1]
	v_mov_b32_e32 v74, v0
.LBB29_103:
	v_and_b32_e32 v40, 0xffff0000, v90
	s_and_b32 vcc_lo, exec_lo, s39
	s_cbranch_vccnz .LBB29_105
; %bb.104:
	s_waitcnt vmcnt(1)
	s_delay_alu instid0(VALU_DEP_1) | instskip(SKIP_3) | instid1(SALU_CYCLE_1)
	v_dual_mov_b32 v0, v40 :: v_dual_mov_b32 v1, v67
	s_getpc_b64 s[0:1]
	s_add_u32 s0, s0, _ZN12_GLOBAL__N_111calc_igammaIfEET_S1_S1_@rel32@lo+4
	s_addc_u32 s1, s1, _ZN12_GLOBAL__N_111calc_igammaIfEET_S1_S1_@rel32@hi+12
	s_swappc_b64 s[30:31], s[0:1]
	v_mov_b32_e32 v75, v0
	s_cbranch_execz .LBB29_106
	s_branch .LBB29_107
.LBB29_105:
.LBB29_106:
	s_waitcnt vmcnt(1)
	s_delay_alu instid0(VALU_DEP_1) | instskip(SKIP_3) | instid1(SALU_CYCLE_1)
	v_dual_mov_b32 v0, v40 :: v_dual_mov_b32 v1, v67
	s_getpc_b64 s[0:1]
	s_add_u32 s0, s0, _ZN12_GLOBAL__N_112calc_igammacIfEET_S1_S1_@rel32@lo+4
	s_addc_u32 s1, s1, _ZN12_GLOBAL__N_112calc_igammacIfEET_S1_S1_@rel32@hi+12
	s_swappc_b64 s[30:31], s[0:1]
	v_mov_b32_e32 v75, v0
.LBB29_107:
	v_lshlrev_b32_e32 v40, 16, v91
	s_and_b32 vcc_lo, exec_lo, s39
	s_cbranch_vccnz .LBB29_109
; %bb.108:
	s_delay_alu instid0(VALU_DEP_1)
	v_mov_b32_e32 v0, v40
	s_waitcnt vmcnt(1)
	v_mov_b32_e32 v1, v68
	s_getpc_b64 s[0:1]
	s_add_u32 s0, s0, _ZN12_GLOBAL__N_111calc_igammaIfEET_S1_S1_@rel32@lo+4
	s_addc_u32 s1, s1, _ZN12_GLOBAL__N_111calc_igammaIfEET_S1_S1_@rel32@hi+12
	s_delay_alu instid0(SALU_CYCLE_1)
	s_swappc_b64 s[30:31], s[0:1]
	v_mov_b32_e32 v76, v0
	s_cbranch_execz .LBB29_110
	s_branch .LBB29_111
.LBB29_109:
.LBB29_110:
	s_delay_alu instid0(VALU_DEP_1)
	v_mov_b32_e32 v0, v40
	s_waitcnt vmcnt(1)
	v_mov_b32_e32 v1, v68
	s_getpc_b64 s[0:1]
	s_add_u32 s0, s0, _ZN12_GLOBAL__N_112calc_igammacIfEET_S1_S1_@rel32@lo+4
	s_addc_u32 s1, s1, _ZN12_GLOBAL__N_112calc_igammacIfEET_S1_S1_@rel32@hi+12
	s_delay_alu instid0(SALU_CYCLE_1)
	s_swappc_b64 s[30:31], s[0:1]
	v_mov_b32_e32 v76, v0
.LBB29_111:
	v_and_b32_e32 v40, 0xffff0000, v91
	s_and_b32 vcc_lo, exec_lo, s39
	s_cbranch_vccnz .LBB29_113
; %bb.112:
	s_waitcnt vmcnt(1)
	s_delay_alu instid0(VALU_DEP_1) | instskip(SKIP_3) | instid1(SALU_CYCLE_1)
	v_dual_mov_b32 v0, v40 :: v_dual_mov_b32 v1, v69
	s_getpc_b64 s[0:1]
	s_add_u32 s0, s0, _ZN12_GLOBAL__N_111calc_igammaIfEET_S1_S1_@rel32@lo+4
	s_addc_u32 s1, s1, _ZN12_GLOBAL__N_111calc_igammaIfEET_S1_S1_@rel32@hi+12
	s_swappc_b64 s[30:31], s[0:1]
	v_mov_b32_e32 v77, v0
	s_cbranch_execz .LBB29_114
	s_branch .LBB29_115
.LBB29_113:
.LBB29_114:
	s_waitcnt vmcnt(1)
	s_delay_alu instid0(VALU_DEP_1) | instskip(SKIP_3) | instid1(SALU_CYCLE_1)
	v_dual_mov_b32 v0, v40 :: v_dual_mov_b32 v1, v69
	s_getpc_b64 s[0:1]
	s_add_u32 s0, s0, _ZN12_GLOBAL__N_112calc_igammacIfEET_S1_S1_@rel32@lo+4
	s_addc_u32 s1, s1, _ZN12_GLOBAL__N_112calc_igammacIfEET_S1_S1_@rel32@hi+12
	s_swappc_b64 s[30:31], s[0:1]
	v_mov_b32_e32 v77, v0
.LBB29_115:
	v_lshlrev_b32_e32 v40, 16, v92
	s_and_b32 vcc_lo, exec_lo, s39
	s_cbranch_vccnz .LBB29_117
; %bb.116:
	s_waitcnt vmcnt(0)
	s_delay_alu instid0(VALU_DEP_1) | instskip(SKIP_3) | instid1(SALU_CYCLE_1)
	v_dual_mov_b32 v0, v40 :: v_dual_mov_b32 v1, v42
	s_getpc_b64 s[0:1]
	s_add_u32 s0, s0, _ZN12_GLOBAL__N_111calc_igammaIfEET_S1_S1_@rel32@lo+4
	s_addc_u32 s1, s1, _ZN12_GLOBAL__N_111calc_igammaIfEET_S1_S1_@rel32@hi+12
	s_swappc_b64 s[30:31], s[0:1]
	v_mov_b32_e32 v66, v0
	s_cbranch_execz .LBB29_118
	s_branch .LBB29_119
.LBB29_117:
                                        ; implicit-def: $vgpr66
.LBB29_118:
	s_waitcnt vmcnt(0)
	s_delay_alu instid0(VALU_DEP_1) | instskip(SKIP_3) | instid1(SALU_CYCLE_1)
	v_dual_mov_b32 v0, v40 :: v_dual_mov_b32 v1, v42
	s_getpc_b64 s[0:1]
	s_add_u32 s0, s0, _ZN12_GLOBAL__N_112calc_igammacIfEET_S1_S1_@rel32@lo+4
	s_addc_u32 s1, s1, _ZN12_GLOBAL__N_112calc_igammacIfEET_S1_S1_@rel32@hi+12
	s_swappc_b64 s[30:31], s[0:1]
	v_mov_b32_e32 v66, v0
.LBB29_119:
	v_and_b32_e32 v40, 0xffff0000, v92
	s_and_b32 vcc_lo, exec_lo, s39
	s_cbranch_vccnz .LBB29_121
; %bb.120:
	s_waitcnt vmcnt(0)
	s_delay_alu instid0(VALU_DEP_1) | instskip(SKIP_3) | instid1(SALU_CYCLE_1)
	v_dual_mov_b32 v0, v40 :: v_dual_mov_b32 v1, v43
	s_getpc_b64 s[0:1]
	s_add_u32 s0, s0, _ZN12_GLOBAL__N_111calc_igammaIfEET_S1_S1_@rel32@lo+4
	s_addc_u32 s1, s1, _ZN12_GLOBAL__N_111calc_igammaIfEET_S1_S1_@rel32@hi+12
	s_swappc_b64 s[30:31], s[0:1]
	v_mov_b32_e32 v67, v0
	s_cbranch_execz .LBB29_122
	s_branch .LBB29_123
.LBB29_121:
.LBB29_122:
	s_waitcnt vmcnt(0)
	s_delay_alu instid0(VALU_DEP_1) | instskip(SKIP_3) | instid1(SALU_CYCLE_1)
	v_dual_mov_b32 v0, v40 :: v_dual_mov_b32 v1, v43
	s_getpc_b64 s[0:1]
	s_add_u32 s0, s0, _ZN12_GLOBAL__N_112calc_igammacIfEET_S1_S1_@rel32@lo+4
	s_addc_u32 s1, s1, _ZN12_GLOBAL__N_112calc_igammacIfEET_S1_S1_@rel32@hi+12
	s_swappc_b64 s[30:31], s[0:1]
	v_mov_b32_e32 v67, v0
.LBB29_123:
	v_lshlrev_b32_e32 v40, 16, v93
	s_and_b32 vcc_lo, exec_lo, s39
	s_cbranch_vccnz .LBB29_125
; %bb.124:
	s_delay_alu instid0(VALU_DEP_1)
	v_mov_b32_e32 v0, v40
	s_waitcnt vmcnt(0)
	v_mov_b32_e32 v1, v44
	s_getpc_b64 s[0:1]
	s_add_u32 s0, s0, _ZN12_GLOBAL__N_111calc_igammaIfEET_S1_S1_@rel32@lo+4
	s_addc_u32 s1, s1, _ZN12_GLOBAL__N_111calc_igammaIfEET_S1_S1_@rel32@hi+12
	s_delay_alu instid0(SALU_CYCLE_1)
	s_swappc_b64 s[30:31], s[0:1]
	v_mov_b32_e32 v68, v0
	s_cbranch_execz .LBB29_126
	s_branch .LBB29_127
.LBB29_125:
.LBB29_126:
	s_delay_alu instid0(VALU_DEP_1)
	v_mov_b32_e32 v0, v40
	s_waitcnt vmcnt(0)
	v_mov_b32_e32 v1, v44
	s_getpc_b64 s[0:1]
	s_add_u32 s0, s0, _ZN12_GLOBAL__N_112calc_igammacIfEET_S1_S1_@rel32@lo+4
	s_addc_u32 s1, s1, _ZN12_GLOBAL__N_112calc_igammacIfEET_S1_S1_@rel32@hi+12
	s_delay_alu instid0(SALU_CYCLE_1)
	s_swappc_b64 s[30:31], s[0:1]
	v_mov_b32_e32 v68, v0
.LBB29_127:
	v_and_b32_e32 v40, 0xffff0000, v93
	s_and_b32 vcc_lo, exec_lo, s39
	s_cbranch_vccnz .LBB29_129
; %bb.128:
	s_waitcnt vmcnt(0)
	s_delay_alu instid0(VALU_DEP_1) | instskip(SKIP_3) | instid1(SALU_CYCLE_1)
	v_dual_mov_b32 v0, v40 :: v_dual_mov_b32 v1, v45
	s_getpc_b64 s[0:1]
	s_add_u32 s0, s0, _ZN12_GLOBAL__N_111calc_igammaIfEET_S1_S1_@rel32@lo+4
	s_addc_u32 s1, s1, _ZN12_GLOBAL__N_111calc_igammaIfEET_S1_S1_@rel32@hi+12
	s_swappc_b64 s[30:31], s[0:1]
	v_mov_b32_e32 v69, v0
	s_cbranch_execz .LBB29_130
	s_branch .LBB29_131
.LBB29_129:
.LBB29_130:
	s_waitcnt vmcnt(0)
	s_delay_alu instid0(VALU_DEP_1) | instskip(SKIP_3) | instid1(SALU_CYCLE_1)
	v_dual_mov_b32 v0, v40 :: v_dual_mov_b32 v1, v45
	s_getpc_b64 s[0:1]
	s_add_u32 s0, s0, _ZN12_GLOBAL__N_112calc_igammacIfEET_S1_S1_@rel32@lo+4
	s_addc_u32 s1, s1, _ZN12_GLOBAL__N_112calc_igammacIfEET_S1_S1_@rel32@hi+12
	s_swappc_b64 s[30:31], s[0:1]
	v_mov_b32_e32 v69, v0
.LBB29_131:
	s_add_u32 s2, s40, s46
	s_addc_u32 s3, s41, s47
	v_add_co_u32 v2, s0, s2, v106
	s_delay_alu instid0(VALU_DEP_1) | instskip(NEXT) | instid1(VALU_DEP_2)
	v_add_co_ci_u32_e64 v3, null, s3, 0, s0
	v_add_co_u32 v0, vcc_lo, 0x4000, v2
	s_delay_alu instid0(VALU_DEP_2)
	v_add_co_ci_u32_e32 v1, vcc_lo, 0, v3, vcc_lo
	v_add_co_u32 v2, vcc_lo, 0xc000, v2
	v_add_co_ci_u32_e32 v3, vcc_lo, 0, v3, vcc_lo
	s_waitcnt vmcnt(6)
	s_clause 0x2
	global_store_b128 v106, v[56:59], s[2:3]
	global_store_b128 v106, v[60:63], s[2:3] offset:16
	global_store_b128 v[0:1], v[70:73], off
	s_waitcnt vmcnt(5)
	global_store_b128 v[0:1], v[78:81], off offset:16
	s_waitcnt vmcnt(4)
	global_store_b128 v47, v[86:89], s[2:3]
	s_waitcnt vmcnt(2)
	s_clause 0x1
	global_store_b128 v47, v[82:85], s[2:3] offset:16
	global_store_b128 v[2:3], v[74:77], off
	s_waitcnt vmcnt(1)
	global_store_b128 v[2:3], v[66:69], off offset:16
	s_branch .LBB29_2
.LBB29_132:
	s_clause 0x1
	s_load_b32 s6, s[36:37], 0x24
	s_load_b128 s[0:3], s[36:37], 0x28
	v_cndmask_b32_e64 v0, 0, 1, s49
	v_dual_mov_b32 v31, v46 :: v_dual_mov_b32 v2, s41
	v_dual_mov_b32 v1, s40 :: v_dual_mov_b32 v4, s43
	;; [unrolled: 1-line block ×3, first 2 shown]
	v_mov_b32_e32 v5, s44
	v_mov_b32_e32 v7, s48
	s_add_u32 s8, s36, 56
	s_addc_u32 s9, s37, 0
	s_mov_b32 s12, s38
	s_getpc_b64 s[4:5]
	s_add_u32 s4, s4, _ZN2at6native25elementwise_kernel_helperILb1EN12_GLOBAL__N_110CalcIgammaIfEENS0_6memory8policies11unroll_baseILi512ESt5arrayIPcLm3EE23TrivialOffsetCalculatorILi2EjESB_ILi1EjENS5_12LoadWithCastILi2EEENS5_13StoreWithCastILi1EEELi32ELi1EEEEEvT0_T1_@rel32@lo+4
	s_addc_u32 s5, s5, _ZN2at6native25elementwise_kernel_helperILb1EN12_GLOBAL__N_110CalcIgammaIfEENS0_6memory8policies11unroll_baseILi512ESt5arrayIPcLm3EE23TrivialOffsetCalculatorILi2EjESB_ILi1EjENS5_12LoadWithCastILi2EEENS5_13StoreWithCastILi1EEELi32ELi1EEEEEvT0_T1_@rel32@hi+12
	s_waitcnt lgkmcnt(0)
	v_lshrrev_b16 v9, 8, s6
	v_mov_b32_e32 v10, s0
	v_dual_mov_b32 v8, s6 :: v_dual_mov_b32 v11, s1
	v_dual_mov_b32 v12, s2 :: v_dual_mov_b32 v13, s3
	s_swappc_b64 s[30:31], s[4:5]
	s_endpgm
	.section	.rodata,"a",@progbits
	.p2align	6, 0x0
	.amdhsa_kernel _ZN2at6native39vectorized_templated_elementwise_kernelILi8EN12_GLOBAL__N_110CalcIgammaIfEESt5arrayIPcLm3EE23TrivialOffsetCalculatorILi2EjES8_ILi1EjENS0_6memory12LoadWithCastILi2EEENSB_13StoreWithCastILi1EEEfJN3c108BFloat16EfEEEviT0_T1_T2_T3_T4_T5_
		.amdhsa_group_segment_fixed_size 0
		.amdhsa_private_segment_fixed_size 448
		.amdhsa_kernarg_size 312
		.amdhsa_user_sgpr_count 15
		.amdhsa_user_sgpr_dispatch_ptr 0
		.amdhsa_user_sgpr_queue_ptr 0
		.amdhsa_user_sgpr_kernarg_segment_ptr 1
		.amdhsa_user_sgpr_dispatch_id 0
		.amdhsa_user_sgpr_private_segment_size 0
		.amdhsa_wavefront_size32 1
		.amdhsa_uses_dynamic_stack 0
		.amdhsa_enable_private_segment 1
		.amdhsa_system_sgpr_workgroup_id_x 1
		.amdhsa_system_sgpr_workgroup_id_y 0
		.amdhsa_system_sgpr_workgroup_id_z 0
		.amdhsa_system_sgpr_workgroup_info 0
		.amdhsa_system_vgpr_workitem_id 0
		.amdhsa_next_free_vgpr 147
		.amdhsa_next_free_sgpr 77
		.amdhsa_reserve_vcc 1
		.amdhsa_float_round_mode_32 0
		.amdhsa_float_round_mode_16_64 0
		.amdhsa_float_denorm_mode_32 3
		.amdhsa_float_denorm_mode_16_64 3
		.amdhsa_dx10_clamp 1
		.amdhsa_ieee_mode 1
		.amdhsa_fp16_overflow 0
		.amdhsa_workgroup_processor_mode 1
		.amdhsa_memory_ordered 1
		.amdhsa_forward_progress 0
		.amdhsa_shared_vgpr_count 0
		.amdhsa_exception_fp_ieee_invalid_op 0
		.amdhsa_exception_fp_denorm_src 0
		.amdhsa_exception_fp_ieee_div_zero 0
		.amdhsa_exception_fp_ieee_overflow 0
		.amdhsa_exception_fp_ieee_underflow 0
		.amdhsa_exception_fp_ieee_inexact 0
		.amdhsa_exception_int_div_zero 0
	.end_amdhsa_kernel
	.section	.text._ZN2at6native39vectorized_templated_elementwise_kernelILi8EN12_GLOBAL__N_110CalcIgammaIfEESt5arrayIPcLm3EE23TrivialOffsetCalculatorILi2EjES8_ILi1EjENS0_6memory12LoadWithCastILi2EEENSB_13StoreWithCastILi1EEEfJN3c108BFloat16EfEEEviT0_T1_T2_T3_T4_T5_,"axG",@progbits,_ZN2at6native39vectorized_templated_elementwise_kernelILi8EN12_GLOBAL__N_110CalcIgammaIfEESt5arrayIPcLm3EE23TrivialOffsetCalculatorILi2EjES8_ILi1EjENS0_6memory12LoadWithCastILi2EEENSB_13StoreWithCastILi1EEEfJN3c108BFloat16EfEEEviT0_T1_T2_T3_T4_T5_,comdat
.Lfunc_end29:
	.size	_ZN2at6native39vectorized_templated_elementwise_kernelILi8EN12_GLOBAL__N_110CalcIgammaIfEESt5arrayIPcLm3EE23TrivialOffsetCalculatorILi2EjES8_ILi1EjENS0_6memory12LoadWithCastILi2EEENSB_13StoreWithCastILi1EEEfJN3c108BFloat16EfEEEviT0_T1_T2_T3_T4_T5_, .Lfunc_end29-_ZN2at6native39vectorized_templated_elementwise_kernelILi8EN12_GLOBAL__N_110CalcIgammaIfEESt5arrayIPcLm3EE23TrivialOffsetCalculatorILi2EjES8_ILi1EjENS0_6memory12LoadWithCastILi2EEENSB_13StoreWithCastILi1EEEfJN3c108BFloat16EfEEEviT0_T1_T2_T3_T4_T5_
                                        ; -- End function
	.section	.AMDGPU.csdata,"",@progbits
; Kernel info:
; codeLenInByte = 4312
; NumSgprs: 79
; NumVgprs: 147
; ScratchSize: 448
; MemoryBound: 0
; FloatMode: 240
; IeeeMode: 1
; LDSByteSize: 0 bytes/workgroup (compile time only)
; SGPRBlocks: 9
; VGPRBlocks: 18
; NumSGPRsForWavesPerEU: 79
; NumVGPRsForWavesPerEU: 147
; Occupancy: 9
; WaveLimiterHint : 0
; COMPUTE_PGM_RSRC2:SCRATCH_EN: 1
; COMPUTE_PGM_RSRC2:USER_SGPR: 15
; COMPUTE_PGM_RSRC2:TRAP_HANDLER: 0
; COMPUTE_PGM_RSRC2:TGID_X_EN: 1
; COMPUTE_PGM_RSRC2:TGID_Y_EN: 0
; COMPUTE_PGM_RSRC2:TGID_Z_EN: 0
; COMPUTE_PGM_RSRC2:TIDIG_COMP_CNT: 0
	.section	.text._ZN2at6native39vectorized_templated_elementwise_kernelILi4EN12_GLOBAL__N_110CalcIgammaIfEESt5arrayIPcLm3EE23TrivialOffsetCalculatorILi2EjES8_ILi1EjENS0_6memory12LoadWithCastILi2EEENSB_13StoreWithCastILi1EEEfJN3c108BFloat16EfEEEviT0_T1_T2_T3_T4_T5_,"axG",@progbits,_ZN2at6native39vectorized_templated_elementwise_kernelILi4EN12_GLOBAL__N_110CalcIgammaIfEESt5arrayIPcLm3EE23TrivialOffsetCalculatorILi2EjES8_ILi1EjENS0_6memory12LoadWithCastILi2EEENSB_13StoreWithCastILi1EEEfJN3c108BFloat16EfEEEviT0_T1_T2_T3_T4_T5_,comdat
	.globl	_ZN2at6native39vectorized_templated_elementwise_kernelILi4EN12_GLOBAL__N_110CalcIgammaIfEESt5arrayIPcLm3EE23TrivialOffsetCalculatorILi2EjES8_ILi1EjENS0_6memory12LoadWithCastILi2EEENSB_13StoreWithCastILi1EEEfJN3c108BFloat16EfEEEviT0_T1_T2_T3_T4_T5_ ; -- Begin function _ZN2at6native39vectorized_templated_elementwise_kernelILi4EN12_GLOBAL__N_110CalcIgammaIfEESt5arrayIPcLm3EE23TrivialOffsetCalculatorILi2EjES8_ILi1EjENS0_6memory12LoadWithCastILi2EEENSB_13StoreWithCastILi1EEEfJN3c108BFloat16EfEEEviT0_T1_T2_T3_T4_T5_
	.p2align	8
	.type	_ZN2at6native39vectorized_templated_elementwise_kernelILi4EN12_GLOBAL__N_110CalcIgammaIfEESt5arrayIPcLm3EE23TrivialOffsetCalculatorILi2EjES8_ILi1EjENS0_6memory12LoadWithCastILi2EEENSB_13StoreWithCastILi1EEEfJN3c108BFloat16EfEEEviT0_T1_T2_T3_T4_T5_,@function
_ZN2at6native39vectorized_templated_elementwise_kernelILi4EN12_GLOBAL__N_110CalcIgammaIfEESt5arrayIPcLm3EE23TrivialOffsetCalculatorILi2EjES8_ILi1EjENS0_6memory12LoadWithCastILi2EEENSB_13StoreWithCastILi1EEEfJN3c108BFloat16EfEEEviT0_T1_T2_T3_T4_T5_: ; @_ZN2at6native39vectorized_templated_elementwise_kernelILi4EN12_GLOBAL__N_110CalcIgammaIfEESt5arrayIPcLm3EE23TrivialOffsetCalculatorILi2EjES8_ILi1EjENS0_6memory12LoadWithCastILi2EEENSB_13StoreWithCastILi1EEEfJN3c108BFloat16EfEEEviT0_T1_T2_T3_T4_T5_
; %bb.0:
	s_mov_b64 s[36:37], s[0:1]
	s_clause 0x1
	s_load_b64 s[2:3], s[0:1], 0x0
	s_load_b32 s0, s[0:1], 0x38
	s_clause 0x1
	s_load_b64 s[44:45], s[36:37], 0x18
	s_load_b128 s[40:43], s[36:37], 0x8
	v_mov_b32_e32 v47, v0
	s_mov_b32 s38, s15
	s_mov_b32 s32, 0
	s_waitcnt lgkmcnt(0)
	s_bitcmp1_b32 s3, 0
	s_cselect_b32 s49, -1, 0
	s_not_b32 s1, s15
	s_delay_alu instid0(SALU_CYCLE_1) | instskip(SKIP_2) | instid1(SALU_CYCLE_1)
	s_add_i32 s0, s0, s1
	s_mov_b32 s1, -1
	s_lshl_b32 s0, s0, 14
	s_sub_i32 s48, s2, s0
	s_delay_alu instid0(SALU_CYCLE_1)
	s_cmpk_gt_i32 s48, 0x3fff
	s_cbranch_scc1 .LBB30_3
; %bb.1:
	s_and_b32 vcc_lo, exec_lo, s1
	s_cbranch_vccnz .LBB30_132
.LBB30_2:
	s_endpgm
.LBB30_3:
	s_ashr_i32 s1, s0, 31
	v_lshlrev_b32_e32 v4, 3, v47
	s_lshl_b64 s[2:3], s[0:1], 1
	s_xor_b32 s50, s49, -1
	s_add_u32 s2, s42, s2
	s_addc_u32 s3, s43, s3
	v_add_co_u32 v5, s4, s2, v4
	s_delay_alu instid0(VALU_DEP_1) | instskip(SKIP_1) | instid1(VALU_DEP_3)
	v_add_co_ci_u32_e64 v6, null, s3, 0, s4
	v_or_b32_e32 v7, 0x400, v47
	v_add_co_u32 v0, vcc_lo, 0x1000, v5
	s_delay_alu instid0(VALU_DEP_3)
	v_add_co_ci_u32_e32 v1, vcc_lo, 0, v6, vcc_lo
	v_add_co_u32 v2, vcc_lo, 0x3000, v5
	v_lshlrev_b32_e32 v104, 4, v47
	v_lshlrev_b32_e32 v8, 3, v7
	s_lshl_b64 s[46:47], s[0:1], 2
	v_add_co_ci_u32_e32 v3, vcc_lo, 0, v6, vcc_lo
	v_or_b32_e32 v9, 0x800, v47
	s_add_u32 s0, s44, s46
	s_clause 0x3
	global_load_b64 v[60:61], v4, s[2:3]
	global_load_b64 v[62:63], v[0:1], off
	global_load_b64 v[100:101], v8, s[2:3]
	global_load_b64 v[98:99], v[2:3], off
	v_add_co_u32 v0, vcc_lo, 0x5000, v5
	v_or_b32_e32 v10, 0xc00, v47
	s_addc_u32 s1, s45, s47
	v_add_co_u32 v12, s4, s0, v104
	v_add_co_ci_u32_e32 v1, vcc_lo, 0, v6, vcc_lo
	v_add_co_ci_u32_e64 v13, null, s1, 0, s4
	v_add_co_u32 v2, vcc_lo, 0x7000, v5
	v_lshlrev_b32_e32 v8, 3, v9
	v_add_co_ci_u32_e32 v3, vcc_lo, 0, v6, vcc_lo
	v_lshlrev_b32_e32 v11, 3, v10
	v_add_co_u32 v4, vcc_lo, 0x2000, v12
	v_add_co_ci_u32_e32 v5, vcc_lo, 0, v13, vcc_lo
	s_clause 0x3
	global_load_b64 v[96:97], v8, s[2:3]
	global_load_b64 v[94:95], v[0:1], off
	global_load_b64 v[92:93], v11, s[2:3]
	global_load_b64 v[90:91], v[2:3], off
	s_clause 0x1
	global_load_b128 v[43:46], v104, s[0:1]
	global_load_b128 v[70:73], v[4:5], off
	v_add_co_u32 v0, vcc_lo, 0x6000, v12
	v_add_co_ci_u32_e32 v1, vcc_lo, 0, v13, vcc_lo
	v_lshlrev_b32_e32 v105, 4, v7
	v_add_co_u32 v2, vcc_lo, 0xa000, v12
	v_lshlrev_b32_e32 v102, 4, v9
	v_add_co_ci_u32_e32 v3, vcc_lo, 0, v13, vcc_lo
	v_add_co_u32 v4, vcc_lo, 0xe000, v12
	v_lshlrev_b32_e32 v103, 4, v10
	v_add_co_ci_u32_e32 v5, vcc_lo, 0, v13, vcc_lo
	s_clause 0x5
	global_load_b128 v[78:81], v105, s[0:1]
	global_load_b128 v[86:89], v[0:1], off
	global_load_b128 v[82:85], v102, s[0:1]
	global_load_b128 v[74:77], v[2:3], off
	;; [unrolled: 2-line block ×3, first 2 shown]
	s_and_b32 vcc_lo, exec_lo, s50
	s_mov_b32 s39, 0
	s_waitcnt vmcnt(15)
	v_lshlrev_b32_e32 v40, 16, v60
	s_cbranch_vccz .LBB30_5
; %bb.4:
	s_waitcnt vmcnt(7)
	s_delay_alu instid0(VALU_DEP_1) | instskip(SKIP_3) | instid1(SALU_CYCLE_1)
	v_dual_mov_b32 v0, v40 :: v_dual_mov_b32 v1, v43
	s_getpc_b64 s[0:1]
	s_add_u32 s0, s0, _ZN12_GLOBAL__N_111calc_igammaIfEET_S1_S1_@rel32@lo+4
	s_addc_u32 s1, s1, _ZN12_GLOBAL__N_111calc_igammaIfEET_S1_S1_@rel32@hi+12
	s_swappc_b64 s[30:31], s[0:1]
	v_mov_b32_e32 v42, v0
	s_and_not1_b32 vcc_lo, exec_lo, s39
	s_cbranch_vccz .LBB30_6
	s_branch .LBB30_7
.LBB30_5:
                                        ; implicit-def: $vgpr42
.LBB30_6:
	s_waitcnt vmcnt(7)
	s_delay_alu instid0(VALU_DEP_1) | instskip(SKIP_3) | instid1(SALU_CYCLE_1)
	v_dual_mov_b32 v0, v40 :: v_dual_mov_b32 v1, v43
	s_getpc_b64 s[0:1]
	s_add_u32 s0, s0, _ZN12_GLOBAL__N_112calc_igammacIfEET_S1_S1_@rel32@lo+4
	s_addc_u32 s1, s1, _ZN12_GLOBAL__N_112calc_igammacIfEET_S1_S1_@rel32@hi+12
	s_swappc_b64 s[30:31], s[0:1]
	v_mov_b32_e32 v42, v0
.LBB30_7:
	v_cndmask_b32_e64 v0, 0, 1, s50
	v_and_b32_e32 v40, 0xffff0000, v60
	s_and_not1_b32 vcc_lo, exec_lo, s50
	s_delay_alu instid0(VALU_DEP_2)
	v_cmp_ne_u32_e64 s39, 1, v0
	s_cbranch_vccnz .LBB30_9
; %bb.8:
	s_delay_alu instid0(VALU_DEP_2)
	v_mov_b32_e32 v0, v40
	s_waitcnt vmcnt(7)
	v_mov_b32_e32 v1, v44
	s_getpc_b64 s[0:1]
	s_add_u32 s0, s0, _ZN12_GLOBAL__N_111calc_igammaIfEET_S1_S1_@rel32@lo+4
	s_addc_u32 s1, s1, _ZN12_GLOBAL__N_111calc_igammaIfEET_S1_S1_@rel32@hi+12
	s_delay_alu instid0(SALU_CYCLE_1)
	s_swappc_b64 s[30:31], s[0:1]
	v_mov_b32_e32 v43, v0
	s_cbranch_execz .LBB30_10
	s_branch .LBB30_11
.LBB30_9:
.LBB30_10:
	s_delay_alu instid0(VALU_DEP_2)
	v_mov_b32_e32 v0, v40
	s_waitcnt vmcnt(7)
	v_mov_b32_e32 v1, v44
	s_getpc_b64 s[0:1]
	s_add_u32 s0, s0, _ZN12_GLOBAL__N_112calc_igammacIfEET_S1_S1_@rel32@lo+4
	s_addc_u32 s1, s1, _ZN12_GLOBAL__N_112calc_igammacIfEET_S1_S1_@rel32@hi+12
	s_delay_alu instid0(SALU_CYCLE_1)
	s_swappc_b64 s[30:31], s[0:1]
	v_mov_b32_e32 v43, v0
.LBB30_11:
	v_lshlrev_b32_e32 v40, 16, v61
	s_and_b32 vcc_lo, exec_lo, s39
	s_cbranch_vccnz .LBB30_13
; %bb.12:
	s_waitcnt vmcnt(7)
	s_delay_alu instid0(VALU_DEP_1) | instskip(SKIP_3) | instid1(SALU_CYCLE_1)
	v_dual_mov_b32 v0, v40 :: v_dual_mov_b32 v1, v45
	s_getpc_b64 s[0:1]
	s_add_u32 s0, s0, _ZN12_GLOBAL__N_111calc_igammaIfEET_S1_S1_@rel32@lo+4
	s_addc_u32 s1, s1, _ZN12_GLOBAL__N_111calc_igammaIfEET_S1_S1_@rel32@hi+12
	s_swappc_b64 s[30:31], s[0:1]
	v_mov_b32_e32 v44, v0
	s_cbranch_execz .LBB30_14
	s_branch .LBB30_15
.LBB30_13:
.LBB30_14:
	s_waitcnt vmcnt(7)
	s_delay_alu instid0(VALU_DEP_1) | instskip(SKIP_3) | instid1(SALU_CYCLE_1)
	v_dual_mov_b32 v0, v40 :: v_dual_mov_b32 v1, v45
	s_getpc_b64 s[0:1]
	s_add_u32 s0, s0, _ZN12_GLOBAL__N_112calc_igammacIfEET_S1_S1_@rel32@lo+4
	s_addc_u32 s1, s1, _ZN12_GLOBAL__N_112calc_igammacIfEET_S1_S1_@rel32@hi+12
	s_swappc_b64 s[30:31], s[0:1]
	v_mov_b32_e32 v44, v0
.LBB30_15:
	v_and_b32_e32 v40, 0xffff0000, v61
	s_and_b32 vcc_lo, exec_lo, s39
	s_cbranch_vccnz .LBB30_17
; %bb.16:
	s_waitcnt vmcnt(7)
	s_delay_alu instid0(VALU_DEP_1) | instskip(SKIP_3) | instid1(SALU_CYCLE_1)
	v_dual_mov_b32 v0, v40 :: v_dual_mov_b32 v1, v46
	s_getpc_b64 s[0:1]
	s_add_u32 s0, s0, _ZN12_GLOBAL__N_111calc_igammaIfEET_S1_S1_@rel32@lo+4
	s_addc_u32 s1, s1, _ZN12_GLOBAL__N_111calc_igammaIfEET_S1_S1_@rel32@hi+12
	s_swappc_b64 s[30:31], s[0:1]
	v_mov_b32_e32 v45, v0
	s_cbranch_execz .LBB30_18
	s_branch .LBB30_19
.LBB30_17:
.LBB30_18:
	s_waitcnt vmcnt(7)
	s_delay_alu instid0(VALU_DEP_1) | instskip(SKIP_3) | instid1(SALU_CYCLE_1)
	v_dual_mov_b32 v0, v40 :: v_dual_mov_b32 v1, v46
	s_getpc_b64 s[0:1]
	s_add_u32 s0, s0, _ZN12_GLOBAL__N_112calc_igammacIfEET_S1_S1_@rel32@lo+4
	s_addc_u32 s1, s1, _ZN12_GLOBAL__N_112calc_igammacIfEET_S1_S1_@rel32@hi+12
	s_swappc_b64 s[30:31], s[0:1]
	v_mov_b32_e32 v45, v0
.LBB30_19:
	s_waitcnt vmcnt(14)
	v_lshlrev_b32_e32 v40, 16, v62
	s_and_b32 vcc_lo, exec_lo, s39
	s_cbranch_vccnz .LBB30_21
; %bb.20:
	s_waitcnt vmcnt(6)
	s_delay_alu instid0(VALU_DEP_1) | instskip(SKIP_3) | instid1(SALU_CYCLE_1)
	v_dual_mov_b32 v0, v40 :: v_dual_mov_b32 v1, v70
	s_getpc_b64 s[0:1]
	s_add_u32 s0, s0, _ZN12_GLOBAL__N_111calc_igammaIfEET_S1_S1_@rel32@lo+4
	s_addc_u32 s1, s1, _ZN12_GLOBAL__N_111calc_igammaIfEET_S1_S1_@rel32@hi+12
	s_swappc_b64 s[30:31], s[0:1]
	v_mov_b32_e32 v60, v0
	s_cbranch_execz .LBB30_22
	s_branch .LBB30_23
.LBB30_21:
                                        ; implicit-def: $vgpr60
.LBB30_22:
	s_waitcnt vmcnt(6)
	s_delay_alu instid0(VALU_DEP_1) | instskip(SKIP_3) | instid1(SALU_CYCLE_1)
	v_dual_mov_b32 v0, v40 :: v_dual_mov_b32 v1, v70
	s_getpc_b64 s[0:1]
	s_add_u32 s0, s0, _ZN12_GLOBAL__N_112calc_igammacIfEET_S1_S1_@rel32@lo+4
	s_addc_u32 s1, s1, _ZN12_GLOBAL__N_112calc_igammacIfEET_S1_S1_@rel32@hi+12
	s_swappc_b64 s[30:31], s[0:1]
	v_mov_b32_e32 v60, v0
.LBB30_23:
	v_and_b32_e32 v40, 0xffff0000, v62
	s_and_b32 vcc_lo, exec_lo, s39
	s_cbranch_vccnz .LBB30_25
; %bb.24:
	s_waitcnt vmcnt(6)
	s_delay_alu instid0(VALU_DEP_1) | instskip(SKIP_3) | instid1(SALU_CYCLE_1)
	v_dual_mov_b32 v0, v40 :: v_dual_mov_b32 v1, v71
	s_getpc_b64 s[0:1]
	s_add_u32 s0, s0, _ZN12_GLOBAL__N_111calc_igammaIfEET_S1_S1_@rel32@lo+4
	s_addc_u32 s1, s1, _ZN12_GLOBAL__N_111calc_igammaIfEET_S1_S1_@rel32@hi+12
	s_swappc_b64 s[30:31], s[0:1]
	v_mov_b32_e32 v61, v0
	s_cbranch_execz .LBB30_26
	s_branch .LBB30_27
.LBB30_25:
.LBB30_26:
	s_waitcnt vmcnt(6)
	s_delay_alu instid0(VALU_DEP_1) | instskip(SKIP_3) | instid1(SALU_CYCLE_1)
	v_dual_mov_b32 v0, v40 :: v_dual_mov_b32 v1, v71
	s_getpc_b64 s[0:1]
	s_add_u32 s0, s0, _ZN12_GLOBAL__N_112calc_igammacIfEET_S1_S1_@rel32@lo+4
	s_addc_u32 s1, s1, _ZN12_GLOBAL__N_112calc_igammacIfEET_S1_S1_@rel32@hi+12
	s_swappc_b64 s[30:31], s[0:1]
	v_mov_b32_e32 v61, v0
.LBB30_27:
	v_lshlrev_b32_e32 v40, 16, v63
	s_and_b32 vcc_lo, exec_lo, s39
	s_cbranch_vccnz .LBB30_29
; %bb.28:
	s_delay_alu instid0(VALU_DEP_1)
	v_mov_b32_e32 v0, v40
	s_waitcnt vmcnt(6)
	v_mov_b32_e32 v1, v72
	s_getpc_b64 s[0:1]
	s_add_u32 s0, s0, _ZN12_GLOBAL__N_111calc_igammaIfEET_S1_S1_@rel32@lo+4
	s_addc_u32 s1, s1, _ZN12_GLOBAL__N_111calc_igammaIfEET_S1_S1_@rel32@hi+12
	s_delay_alu instid0(SALU_CYCLE_1)
	s_swappc_b64 s[30:31], s[0:1]
	v_mov_b32_e32 v62, v0
	s_cbranch_execz .LBB30_30
	s_branch .LBB30_31
.LBB30_29:
.LBB30_30:
	s_delay_alu instid0(VALU_DEP_1)
	v_mov_b32_e32 v0, v40
	s_waitcnt vmcnt(6)
	v_mov_b32_e32 v1, v72
	s_getpc_b64 s[0:1]
	s_add_u32 s0, s0, _ZN12_GLOBAL__N_112calc_igammacIfEET_S1_S1_@rel32@lo+4
	s_addc_u32 s1, s1, _ZN12_GLOBAL__N_112calc_igammacIfEET_S1_S1_@rel32@hi+12
	s_delay_alu instid0(SALU_CYCLE_1)
	s_swappc_b64 s[30:31], s[0:1]
	v_mov_b32_e32 v62, v0
.LBB30_31:
	v_and_b32_e32 v40, 0xffff0000, v63
	s_and_b32 vcc_lo, exec_lo, s39
	s_cbranch_vccnz .LBB30_33
; %bb.32:
	s_waitcnt vmcnt(6)
	s_delay_alu instid0(VALU_DEP_1) | instskip(SKIP_3) | instid1(SALU_CYCLE_1)
	v_dual_mov_b32 v0, v40 :: v_dual_mov_b32 v1, v73
	s_getpc_b64 s[0:1]
	s_add_u32 s0, s0, _ZN12_GLOBAL__N_111calc_igammaIfEET_S1_S1_@rel32@lo+4
	s_addc_u32 s1, s1, _ZN12_GLOBAL__N_111calc_igammaIfEET_S1_S1_@rel32@hi+12
	s_swappc_b64 s[30:31], s[0:1]
	v_mov_b32_e32 v63, v0
	s_cbranch_execz .LBB30_34
	s_branch .LBB30_35
.LBB30_33:
.LBB30_34:
	s_waitcnt vmcnt(6)
	s_delay_alu instid0(VALU_DEP_1) | instskip(SKIP_3) | instid1(SALU_CYCLE_1)
	v_dual_mov_b32 v0, v40 :: v_dual_mov_b32 v1, v73
	s_getpc_b64 s[0:1]
	s_add_u32 s0, s0, _ZN12_GLOBAL__N_112calc_igammacIfEET_S1_S1_@rel32@lo+4
	s_addc_u32 s1, s1, _ZN12_GLOBAL__N_112calc_igammacIfEET_S1_S1_@rel32@hi+12
	s_swappc_b64 s[30:31], s[0:1]
	v_mov_b32_e32 v63, v0
.LBB30_35:
	s_waitcnt vmcnt(13)
	v_lshlrev_b32_e32 v40, 16, v100
	s_and_b32 vcc_lo, exec_lo, s39
	s_cbranch_vccnz .LBB30_37
; %bb.36:
	s_waitcnt vmcnt(5)
	s_delay_alu instid0(VALU_DEP_1) | instskip(SKIP_3) | instid1(SALU_CYCLE_1)
	v_dual_mov_b32 v0, v40 :: v_dual_mov_b32 v1, v78
	s_getpc_b64 s[0:1]
	s_add_u32 s0, s0, _ZN12_GLOBAL__N_111calc_igammaIfEET_S1_S1_@rel32@lo+4
	s_addc_u32 s1, s1, _ZN12_GLOBAL__N_111calc_igammaIfEET_S1_S1_@rel32@hi+12
	s_swappc_b64 s[30:31], s[0:1]
	v_mov_b32_e32 v70, v0
	s_cbranch_execz .LBB30_38
	s_branch .LBB30_39
.LBB30_37:
                                        ; implicit-def: $vgpr70
.LBB30_38:
	s_waitcnt vmcnt(5)
	s_delay_alu instid0(VALU_DEP_1) | instskip(SKIP_3) | instid1(SALU_CYCLE_1)
	v_dual_mov_b32 v0, v40 :: v_dual_mov_b32 v1, v78
	s_getpc_b64 s[0:1]
	s_add_u32 s0, s0, _ZN12_GLOBAL__N_112calc_igammacIfEET_S1_S1_@rel32@lo+4
	s_addc_u32 s1, s1, _ZN12_GLOBAL__N_112calc_igammacIfEET_S1_S1_@rel32@hi+12
	s_swappc_b64 s[30:31], s[0:1]
	v_mov_b32_e32 v70, v0
.LBB30_39:
	v_and_b32_e32 v40, 0xffff0000, v100
	s_and_b32 vcc_lo, exec_lo, s39
	s_cbranch_vccnz .LBB30_41
; %bb.40:
	s_waitcnt vmcnt(5)
	s_delay_alu instid0(VALU_DEP_1) | instskip(SKIP_3) | instid1(SALU_CYCLE_1)
	v_dual_mov_b32 v0, v40 :: v_dual_mov_b32 v1, v79
	s_getpc_b64 s[0:1]
	s_add_u32 s0, s0, _ZN12_GLOBAL__N_111calc_igammaIfEET_S1_S1_@rel32@lo+4
	s_addc_u32 s1, s1, _ZN12_GLOBAL__N_111calc_igammaIfEET_S1_S1_@rel32@hi+12
	s_swappc_b64 s[30:31], s[0:1]
	v_mov_b32_e32 v71, v0
	s_cbranch_execz .LBB30_42
	s_branch .LBB30_43
.LBB30_41:
.LBB30_42:
	s_waitcnt vmcnt(5)
	s_delay_alu instid0(VALU_DEP_1) | instskip(SKIP_3) | instid1(SALU_CYCLE_1)
	v_dual_mov_b32 v0, v40 :: v_dual_mov_b32 v1, v79
	s_getpc_b64 s[0:1]
	s_add_u32 s0, s0, _ZN12_GLOBAL__N_112calc_igammacIfEET_S1_S1_@rel32@lo+4
	s_addc_u32 s1, s1, _ZN12_GLOBAL__N_112calc_igammacIfEET_S1_S1_@rel32@hi+12
	s_swappc_b64 s[30:31], s[0:1]
	v_mov_b32_e32 v71, v0
.LBB30_43:
	v_lshlrev_b32_e32 v40, 16, v101
	s_and_b32 vcc_lo, exec_lo, s39
	s_cbranch_vccnz .LBB30_45
; %bb.44:
	s_delay_alu instid0(VALU_DEP_1)
	v_mov_b32_e32 v0, v40
	s_waitcnt vmcnt(5)
	v_mov_b32_e32 v1, v80
	s_getpc_b64 s[0:1]
	s_add_u32 s0, s0, _ZN12_GLOBAL__N_111calc_igammaIfEET_S1_S1_@rel32@lo+4
	s_addc_u32 s1, s1, _ZN12_GLOBAL__N_111calc_igammaIfEET_S1_S1_@rel32@hi+12
	s_delay_alu instid0(SALU_CYCLE_1)
	s_swappc_b64 s[30:31], s[0:1]
	v_mov_b32_e32 v72, v0
	s_cbranch_execz .LBB30_46
	s_branch .LBB30_47
.LBB30_45:
.LBB30_46:
	s_delay_alu instid0(VALU_DEP_1)
	v_mov_b32_e32 v0, v40
	s_waitcnt vmcnt(5)
	v_mov_b32_e32 v1, v80
	s_getpc_b64 s[0:1]
	s_add_u32 s0, s0, _ZN12_GLOBAL__N_112calc_igammacIfEET_S1_S1_@rel32@lo+4
	s_addc_u32 s1, s1, _ZN12_GLOBAL__N_112calc_igammacIfEET_S1_S1_@rel32@hi+12
	s_delay_alu instid0(SALU_CYCLE_1)
	s_swappc_b64 s[30:31], s[0:1]
	v_mov_b32_e32 v72, v0
.LBB30_47:
	v_and_b32_e32 v40, 0xffff0000, v101
	s_and_b32 vcc_lo, exec_lo, s39
	s_cbranch_vccnz .LBB30_49
; %bb.48:
	s_waitcnt vmcnt(5)
	s_delay_alu instid0(VALU_DEP_1) | instskip(SKIP_3) | instid1(SALU_CYCLE_1)
	v_dual_mov_b32 v0, v40 :: v_dual_mov_b32 v1, v81
	s_getpc_b64 s[0:1]
	s_add_u32 s0, s0, _ZN12_GLOBAL__N_111calc_igammaIfEET_S1_S1_@rel32@lo+4
	s_addc_u32 s1, s1, _ZN12_GLOBAL__N_111calc_igammaIfEET_S1_S1_@rel32@hi+12
	s_swappc_b64 s[30:31], s[0:1]
	v_mov_b32_e32 v73, v0
	s_cbranch_execz .LBB30_50
	s_branch .LBB30_51
.LBB30_49:
.LBB30_50:
	s_waitcnt vmcnt(5)
	s_delay_alu instid0(VALU_DEP_1) | instskip(SKIP_3) | instid1(SALU_CYCLE_1)
	v_dual_mov_b32 v0, v40 :: v_dual_mov_b32 v1, v81
	s_getpc_b64 s[0:1]
	s_add_u32 s0, s0, _ZN12_GLOBAL__N_112calc_igammacIfEET_S1_S1_@rel32@lo+4
	s_addc_u32 s1, s1, _ZN12_GLOBAL__N_112calc_igammacIfEET_S1_S1_@rel32@hi+12
	s_swappc_b64 s[30:31], s[0:1]
	v_mov_b32_e32 v73, v0
.LBB30_51:
	s_waitcnt vmcnt(12)
	v_lshlrev_b32_e32 v40, 16, v98
	s_and_b32 vcc_lo, exec_lo, s39
	s_cbranch_vccnz .LBB30_53
; %bb.52:
	s_waitcnt vmcnt(4)
	s_delay_alu instid0(VALU_DEP_1) | instskip(SKIP_3) | instid1(SALU_CYCLE_1)
	v_dual_mov_b32 v0, v40 :: v_dual_mov_b32 v1, v86
	s_getpc_b64 s[0:1]
	s_add_u32 s0, s0, _ZN12_GLOBAL__N_111calc_igammaIfEET_S1_S1_@rel32@lo+4
	s_addc_u32 s1, s1, _ZN12_GLOBAL__N_111calc_igammaIfEET_S1_S1_@rel32@hi+12
	s_swappc_b64 s[30:31], s[0:1]
	v_mov_b32_e32 v78, v0
	s_cbranch_execz .LBB30_54
	s_branch .LBB30_55
.LBB30_53:
                                        ; implicit-def: $vgpr78
.LBB30_54:
	s_waitcnt vmcnt(4)
	s_delay_alu instid0(VALU_DEP_1) | instskip(SKIP_3) | instid1(SALU_CYCLE_1)
	v_dual_mov_b32 v0, v40 :: v_dual_mov_b32 v1, v86
	s_getpc_b64 s[0:1]
	s_add_u32 s0, s0, _ZN12_GLOBAL__N_112calc_igammacIfEET_S1_S1_@rel32@lo+4
	s_addc_u32 s1, s1, _ZN12_GLOBAL__N_112calc_igammacIfEET_S1_S1_@rel32@hi+12
	s_swappc_b64 s[30:31], s[0:1]
	v_mov_b32_e32 v78, v0
.LBB30_55:
	v_and_b32_e32 v40, 0xffff0000, v98
	s_and_b32 vcc_lo, exec_lo, s39
	s_cbranch_vccnz .LBB30_57
; %bb.56:
	s_waitcnt vmcnt(4)
	s_delay_alu instid0(VALU_DEP_1) | instskip(SKIP_3) | instid1(SALU_CYCLE_1)
	v_dual_mov_b32 v0, v40 :: v_dual_mov_b32 v1, v87
	s_getpc_b64 s[0:1]
	s_add_u32 s0, s0, _ZN12_GLOBAL__N_111calc_igammaIfEET_S1_S1_@rel32@lo+4
	s_addc_u32 s1, s1, _ZN12_GLOBAL__N_111calc_igammaIfEET_S1_S1_@rel32@hi+12
	s_swappc_b64 s[30:31], s[0:1]
	v_mov_b32_e32 v79, v0
	s_cbranch_execz .LBB30_58
	s_branch .LBB30_59
.LBB30_57:
.LBB30_58:
	s_waitcnt vmcnt(4)
	s_delay_alu instid0(VALU_DEP_1) | instskip(SKIP_3) | instid1(SALU_CYCLE_1)
	v_dual_mov_b32 v0, v40 :: v_dual_mov_b32 v1, v87
	s_getpc_b64 s[0:1]
	s_add_u32 s0, s0, _ZN12_GLOBAL__N_112calc_igammacIfEET_S1_S1_@rel32@lo+4
	s_addc_u32 s1, s1, _ZN12_GLOBAL__N_112calc_igammacIfEET_S1_S1_@rel32@hi+12
	s_swappc_b64 s[30:31], s[0:1]
	v_mov_b32_e32 v79, v0
.LBB30_59:
	v_lshlrev_b32_e32 v40, 16, v99
	s_and_b32 vcc_lo, exec_lo, s39
	s_cbranch_vccnz .LBB30_61
; %bb.60:
	s_delay_alu instid0(VALU_DEP_1)
	v_mov_b32_e32 v0, v40
	s_waitcnt vmcnt(4)
	v_mov_b32_e32 v1, v88
	s_getpc_b64 s[0:1]
	s_add_u32 s0, s0, _ZN12_GLOBAL__N_111calc_igammaIfEET_S1_S1_@rel32@lo+4
	s_addc_u32 s1, s1, _ZN12_GLOBAL__N_111calc_igammaIfEET_S1_S1_@rel32@hi+12
	s_delay_alu instid0(SALU_CYCLE_1)
	s_swappc_b64 s[30:31], s[0:1]
	v_mov_b32_e32 v80, v0
	s_cbranch_execz .LBB30_62
	s_branch .LBB30_63
.LBB30_61:
.LBB30_62:
	s_delay_alu instid0(VALU_DEP_1)
	v_mov_b32_e32 v0, v40
	s_waitcnt vmcnt(4)
	v_mov_b32_e32 v1, v88
	s_getpc_b64 s[0:1]
	s_add_u32 s0, s0, _ZN12_GLOBAL__N_112calc_igammacIfEET_S1_S1_@rel32@lo+4
	s_addc_u32 s1, s1, _ZN12_GLOBAL__N_112calc_igammacIfEET_S1_S1_@rel32@hi+12
	s_delay_alu instid0(SALU_CYCLE_1)
	s_swappc_b64 s[30:31], s[0:1]
	v_mov_b32_e32 v80, v0
.LBB30_63:
	v_and_b32_e32 v40, 0xffff0000, v99
	s_and_b32 vcc_lo, exec_lo, s39
	s_cbranch_vccnz .LBB30_65
; %bb.64:
	s_waitcnt vmcnt(4)
	s_delay_alu instid0(VALU_DEP_1) | instskip(SKIP_3) | instid1(SALU_CYCLE_1)
	v_dual_mov_b32 v0, v40 :: v_dual_mov_b32 v1, v89
	s_getpc_b64 s[0:1]
	s_add_u32 s0, s0, _ZN12_GLOBAL__N_111calc_igammaIfEET_S1_S1_@rel32@lo+4
	s_addc_u32 s1, s1, _ZN12_GLOBAL__N_111calc_igammaIfEET_S1_S1_@rel32@hi+12
	s_swappc_b64 s[30:31], s[0:1]
	v_mov_b32_e32 v81, v0
	s_cbranch_execz .LBB30_66
	s_branch .LBB30_67
.LBB30_65:
.LBB30_66:
	s_waitcnt vmcnt(4)
	s_delay_alu instid0(VALU_DEP_1) | instskip(SKIP_3) | instid1(SALU_CYCLE_1)
	v_dual_mov_b32 v0, v40 :: v_dual_mov_b32 v1, v89
	s_getpc_b64 s[0:1]
	s_add_u32 s0, s0, _ZN12_GLOBAL__N_112calc_igammacIfEET_S1_S1_@rel32@lo+4
	s_addc_u32 s1, s1, _ZN12_GLOBAL__N_112calc_igammacIfEET_S1_S1_@rel32@hi+12
	s_swappc_b64 s[30:31], s[0:1]
	v_mov_b32_e32 v81, v0
.LBB30_67:
	s_waitcnt vmcnt(11)
	v_lshlrev_b32_e32 v40, 16, v96
	s_and_b32 vcc_lo, exec_lo, s39
	s_cbranch_vccnz .LBB30_69
; %bb.68:
	s_waitcnt vmcnt(3)
	s_delay_alu instid0(VALU_DEP_1) | instskip(SKIP_3) | instid1(SALU_CYCLE_1)
	v_dual_mov_b32 v0, v40 :: v_dual_mov_b32 v1, v82
	s_getpc_b64 s[0:1]
	s_add_u32 s0, s0, _ZN12_GLOBAL__N_111calc_igammaIfEET_S1_S1_@rel32@lo+4
	s_addc_u32 s1, s1, _ZN12_GLOBAL__N_111calc_igammaIfEET_S1_S1_@rel32@hi+12
	s_swappc_b64 s[30:31], s[0:1]
	v_mov_b32_e32 v86, v0
	s_cbranch_execz .LBB30_70
	s_branch .LBB30_71
.LBB30_69:
                                        ; implicit-def: $vgpr86
.LBB30_70:
	s_waitcnt vmcnt(3)
	s_delay_alu instid0(VALU_DEP_1) | instskip(SKIP_3) | instid1(SALU_CYCLE_1)
	v_dual_mov_b32 v0, v40 :: v_dual_mov_b32 v1, v82
	s_getpc_b64 s[0:1]
	s_add_u32 s0, s0, _ZN12_GLOBAL__N_112calc_igammacIfEET_S1_S1_@rel32@lo+4
	s_addc_u32 s1, s1, _ZN12_GLOBAL__N_112calc_igammacIfEET_S1_S1_@rel32@hi+12
	s_swappc_b64 s[30:31], s[0:1]
	v_mov_b32_e32 v86, v0
.LBB30_71:
	v_and_b32_e32 v40, 0xffff0000, v96
	s_and_b32 vcc_lo, exec_lo, s39
	s_cbranch_vccnz .LBB30_73
; %bb.72:
	s_waitcnt vmcnt(3)
	s_delay_alu instid0(VALU_DEP_1) | instskip(SKIP_3) | instid1(SALU_CYCLE_1)
	v_dual_mov_b32 v0, v40 :: v_dual_mov_b32 v1, v83
	s_getpc_b64 s[0:1]
	s_add_u32 s0, s0, _ZN12_GLOBAL__N_111calc_igammaIfEET_S1_S1_@rel32@lo+4
	s_addc_u32 s1, s1, _ZN12_GLOBAL__N_111calc_igammaIfEET_S1_S1_@rel32@hi+12
	s_swappc_b64 s[30:31], s[0:1]
	v_mov_b32_e32 v87, v0
	s_cbranch_execz .LBB30_74
	s_branch .LBB30_75
.LBB30_73:
.LBB30_74:
	s_waitcnt vmcnt(3)
	s_delay_alu instid0(VALU_DEP_1) | instskip(SKIP_3) | instid1(SALU_CYCLE_1)
	v_dual_mov_b32 v0, v40 :: v_dual_mov_b32 v1, v83
	s_getpc_b64 s[0:1]
	s_add_u32 s0, s0, _ZN12_GLOBAL__N_112calc_igammacIfEET_S1_S1_@rel32@lo+4
	s_addc_u32 s1, s1, _ZN12_GLOBAL__N_112calc_igammacIfEET_S1_S1_@rel32@hi+12
	s_swappc_b64 s[30:31], s[0:1]
	v_mov_b32_e32 v87, v0
.LBB30_75:
	v_lshlrev_b32_e32 v40, 16, v97
	s_and_b32 vcc_lo, exec_lo, s39
	s_cbranch_vccnz .LBB30_77
; %bb.76:
	s_delay_alu instid0(VALU_DEP_1)
	v_mov_b32_e32 v0, v40
	s_waitcnt vmcnt(3)
	v_mov_b32_e32 v1, v84
	s_getpc_b64 s[0:1]
	s_add_u32 s0, s0, _ZN12_GLOBAL__N_111calc_igammaIfEET_S1_S1_@rel32@lo+4
	s_addc_u32 s1, s1, _ZN12_GLOBAL__N_111calc_igammaIfEET_S1_S1_@rel32@hi+12
	s_delay_alu instid0(SALU_CYCLE_1)
	s_swappc_b64 s[30:31], s[0:1]
	v_mov_b32_e32 v88, v0
	s_cbranch_execz .LBB30_78
	s_branch .LBB30_79
.LBB30_77:
.LBB30_78:
	s_delay_alu instid0(VALU_DEP_1)
	v_mov_b32_e32 v0, v40
	s_waitcnt vmcnt(3)
	v_mov_b32_e32 v1, v84
	s_getpc_b64 s[0:1]
	s_add_u32 s0, s0, _ZN12_GLOBAL__N_112calc_igammacIfEET_S1_S1_@rel32@lo+4
	s_addc_u32 s1, s1, _ZN12_GLOBAL__N_112calc_igammacIfEET_S1_S1_@rel32@hi+12
	s_delay_alu instid0(SALU_CYCLE_1)
	s_swappc_b64 s[30:31], s[0:1]
	v_mov_b32_e32 v88, v0
.LBB30_79:
	v_and_b32_e32 v40, 0xffff0000, v97
	s_and_b32 vcc_lo, exec_lo, s39
	s_cbranch_vccnz .LBB30_81
; %bb.80:
	s_waitcnt vmcnt(3)
	s_delay_alu instid0(VALU_DEP_1) | instskip(SKIP_3) | instid1(SALU_CYCLE_1)
	v_dual_mov_b32 v0, v40 :: v_dual_mov_b32 v1, v85
	s_getpc_b64 s[0:1]
	s_add_u32 s0, s0, _ZN12_GLOBAL__N_111calc_igammaIfEET_S1_S1_@rel32@lo+4
	s_addc_u32 s1, s1, _ZN12_GLOBAL__N_111calc_igammaIfEET_S1_S1_@rel32@hi+12
	s_swappc_b64 s[30:31], s[0:1]
	v_mov_b32_e32 v89, v0
	s_cbranch_execz .LBB30_82
	s_branch .LBB30_83
.LBB30_81:
.LBB30_82:
	s_waitcnt vmcnt(3)
	s_delay_alu instid0(VALU_DEP_1) | instskip(SKIP_3) | instid1(SALU_CYCLE_1)
	v_dual_mov_b32 v0, v40 :: v_dual_mov_b32 v1, v85
	s_getpc_b64 s[0:1]
	s_add_u32 s0, s0, _ZN12_GLOBAL__N_112calc_igammacIfEET_S1_S1_@rel32@lo+4
	s_addc_u32 s1, s1, _ZN12_GLOBAL__N_112calc_igammacIfEET_S1_S1_@rel32@hi+12
	s_swappc_b64 s[30:31], s[0:1]
	v_mov_b32_e32 v89, v0
.LBB30_83:
	s_waitcnt vmcnt(10)
	v_lshlrev_b32_e32 v40, 16, v94
	s_and_b32 vcc_lo, exec_lo, s39
	s_cbranch_vccnz .LBB30_85
; %bb.84:
	s_waitcnt vmcnt(2)
	s_delay_alu instid0(VALU_DEP_1) | instskip(SKIP_3) | instid1(SALU_CYCLE_1)
	v_dual_mov_b32 v0, v40 :: v_dual_mov_b32 v1, v74
	s_getpc_b64 s[0:1]
	s_add_u32 s0, s0, _ZN12_GLOBAL__N_111calc_igammaIfEET_S1_S1_@rel32@lo+4
	s_addc_u32 s1, s1, _ZN12_GLOBAL__N_111calc_igammaIfEET_S1_S1_@rel32@hi+12
	s_swappc_b64 s[30:31], s[0:1]
	v_mov_b32_e32 v82, v0
	s_cbranch_execz .LBB30_86
	s_branch .LBB30_87
.LBB30_85:
                                        ; implicit-def: $vgpr82
.LBB30_86:
	s_waitcnt vmcnt(2)
	s_delay_alu instid0(VALU_DEP_1) | instskip(SKIP_3) | instid1(SALU_CYCLE_1)
	v_dual_mov_b32 v0, v40 :: v_dual_mov_b32 v1, v74
	s_getpc_b64 s[0:1]
	s_add_u32 s0, s0, _ZN12_GLOBAL__N_112calc_igammacIfEET_S1_S1_@rel32@lo+4
	s_addc_u32 s1, s1, _ZN12_GLOBAL__N_112calc_igammacIfEET_S1_S1_@rel32@hi+12
	s_swappc_b64 s[30:31], s[0:1]
	v_mov_b32_e32 v82, v0
.LBB30_87:
	v_and_b32_e32 v40, 0xffff0000, v94
	s_and_b32 vcc_lo, exec_lo, s39
	s_cbranch_vccnz .LBB30_89
; %bb.88:
	s_waitcnt vmcnt(2)
	s_delay_alu instid0(VALU_DEP_1) | instskip(SKIP_3) | instid1(SALU_CYCLE_1)
	v_dual_mov_b32 v0, v40 :: v_dual_mov_b32 v1, v75
	s_getpc_b64 s[0:1]
	s_add_u32 s0, s0, _ZN12_GLOBAL__N_111calc_igammaIfEET_S1_S1_@rel32@lo+4
	s_addc_u32 s1, s1, _ZN12_GLOBAL__N_111calc_igammaIfEET_S1_S1_@rel32@hi+12
	s_swappc_b64 s[30:31], s[0:1]
	v_mov_b32_e32 v83, v0
	s_cbranch_execz .LBB30_90
	s_branch .LBB30_91
.LBB30_89:
.LBB30_90:
	s_waitcnt vmcnt(2)
	s_delay_alu instid0(VALU_DEP_1) | instskip(SKIP_3) | instid1(SALU_CYCLE_1)
	v_dual_mov_b32 v0, v40 :: v_dual_mov_b32 v1, v75
	s_getpc_b64 s[0:1]
	s_add_u32 s0, s0, _ZN12_GLOBAL__N_112calc_igammacIfEET_S1_S1_@rel32@lo+4
	s_addc_u32 s1, s1, _ZN12_GLOBAL__N_112calc_igammacIfEET_S1_S1_@rel32@hi+12
	s_swappc_b64 s[30:31], s[0:1]
	v_mov_b32_e32 v83, v0
.LBB30_91:
	v_lshlrev_b32_e32 v40, 16, v95
	s_and_b32 vcc_lo, exec_lo, s39
	s_cbranch_vccnz .LBB30_93
; %bb.92:
	s_delay_alu instid0(VALU_DEP_1)
	v_mov_b32_e32 v0, v40
	s_waitcnt vmcnt(2)
	v_mov_b32_e32 v1, v76
	s_getpc_b64 s[0:1]
	s_add_u32 s0, s0, _ZN12_GLOBAL__N_111calc_igammaIfEET_S1_S1_@rel32@lo+4
	s_addc_u32 s1, s1, _ZN12_GLOBAL__N_111calc_igammaIfEET_S1_S1_@rel32@hi+12
	s_delay_alu instid0(SALU_CYCLE_1)
	s_swappc_b64 s[30:31], s[0:1]
	v_mov_b32_e32 v84, v0
	s_cbranch_execz .LBB30_94
	s_branch .LBB30_95
.LBB30_93:
.LBB30_94:
	s_delay_alu instid0(VALU_DEP_1)
	v_mov_b32_e32 v0, v40
	s_waitcnt vmcnt(2)
	v_mov_b32_e32 v1, v76
	s_getpc_b64 s[0:1]
	s_add_u32 s0, s0, _ZN12_GLOBAL__N_112calc_igammacIfEET_S1_S1_@rel32@lo+4
	s_addc_u32 s1, s1, _ZN12_GLOBAL__N_112calc_igammacIfEET_S1_S1_@rel32@hi+12
	s_delay_alu instid0(SALU_CYCLE_1)
	s_swappc_b64 s[30:31], s[0:1]
	v_mov_b32_e32 v84, v0
.LBB30_95:
	v_and_b32_e32 v40, 0xffff0000, v95
	s_and_b32 vcc_lo, exec_lo, s39
	s_cbranch_vccnz .LBB30_97
; %bb.96:
	s_waitcnt vmcnt(2)
	s_delay_alu instid0(VALU_DEP_1) | instskip(SKIP_3) | instid1(SALU_CYCLE_1)
	v_dual_mov_b32 v0, v40 :: v_dual_mov_b32 v1, v77
	s_getpc_b64 s[0:1]
	s_add_u32 s0, s0, _ZN12_GLOBAL__N_111calc_igammaIfEET_S1_S1_@rel32@lo+4
	s_addc_u32 s1, s1, _ZN12_GLOBAL__N_111calc_igammaIfEET_S1_S1_@rel32@hi+12
	s_swappc_b64 s[30:31], s[0:1]
	v_mov_b32_e32 v85, v0
	s_cbranch_execz .LBB30_98
	s_branch .LBB30_99
.LBB30_97:
.LBB30_98:
	s_waitcnt vmcnt(2)
	s_delay_alu instid0(VALU_DEP_1) | instskip(SKIP_3) | instid1(SALU_CYCLE_1)
	v_dual_mov_b32 v0, v40 :: v_dual_mov_b32 v1, v77
	s_getpc_b64 s[0:1]
	s_add_u32 s0, s0, _ZN12_GLOBAL__N_112calc_igammacIfEET_S1_S1_@rel32@lo+4
	s_addc_u32 s1, s1, _ZN12_GLOBAL__N_112calc_igammacIfEET_S1_S1_@rel32@hi+12
	s_swappc_b64 s[30:31], s[0:1]
	v_mov_b32_e32 v85, v0
.LBB30_99:
	s_waitcnt vmcnt(9)
	v_lshlrev_b32_e32 v40, 16, v92
	s_and_b32 vcc_lo, exec_lo, s39
	s_cbranch_vccnz .LBB30_101
; %bb.100:
	s_waitcnt vmcnt(1)
	s_delay_alu instid0(VALU_DEP_1) | instskip(SKIP_3) | instid1(SALU_CYCLE_1)
	v_dual_mov_b32 v0, v40 :: v_dual_mov_b32 v1, v66
	s_getpc_b64 s[0:1]
	s_add_u32 s0, s0, _ZN12_GLOBAL__N_111calc_igammaIfEET_S1_S1_@rel32@lo+4
	s_addc_u32 s1, s1, _ZN12_GLOBAL__N_111calc_igammaIfEET_S1_S1_@rel32@hi+12
	s_swappc_b64 s[30:31], s[0:1]
	v_mov_b32_e32 v74, v0
	s_cbranch_execz .LBB30_102
	s_branch .LBB30_103
.LBB30_101:
                                        ; implicit-def: $vgpr74
.LBB30_102:
	s_waitcnt vmcnt(1)
	s_delay_alu instid0(VALU_DEP_1) | instskip(SKIP_3) | instid1(SALU_CYCLE_1)
	v_dual_mov_b32 v0, v40 :: v_dual_mov_b32 v1, v66
	s_getpc_b64 s[0:1]
	s_add_u32 s0, s0, _ZN12_GLOBAL__N_112calc_igammacIfEET_S1_S1_@rel32@lo+4
	s_addc_u32 s1, s1, _ZN12_GLOBAL__N_112calc_igammacIfEET_S1_S1_@rel32@hi+12
	s_swappc_b64 s[30:31], s[0:1]
	v_mov_b32_e32 v74, v0
.LBB30_103:
	v_and_b32_e32 v40, 0xffff0000, v92
	s_and_b32 vcc_lo, exec_lo, s39
	s_cbranch_vccnz .LBB30_105
; %bb.104:
	s_waitcnt vmcnt(1)
	s_delay_alu instid0(VALU_DEP_1) | instskip(SKIP_3) | instid1(SALU_CYCLE_1)
	v_dual_mov_b32 v0, v40 :: v_dual_mov_b32 v1, v67
	s_getpc_b64 s[0:1]
	s_add_u32 s0, s0, _ZN12_GLOBAL__N_111calc_igammaIfEET_S1_S1_@rel32@lo+4
	s_addc_u32 s1, s1, _ZN12_GLOBAL__N_111calc_igammaIfEET_S1_S1_@rel32@hi+12
	s_swappc_b64 s[30:31], s[0:1]
	v_mov_b32_e32 v75, v0
	s_cbranch_execz .LBB30_106
	s_branch .LBB30_107
.LBB30_105:
.LBB30_106:
	s_waitcnt vmcnt(1)
	s_delay_alu instid0(VALU_DEP_1) | instskip(SKIP_3) | instid1(SALU_CYCLE_1)
	v_dual_mov_b32 v0, v40 :: v_dual_mov_b32 v1, v67
	s_getpc_b64 s[0:1]
	s_add_u32 s0, s0, _ZN12_GLOBAL__N_112calc_igammacIfEET_S1_S1_@rel32@lo+4
	s_addc_u32 s1, s1, _ZN12_GLOBAL__N_112calc_igammacIfEET_S1_S1_@rel32@hi+12
	s_swappc_b64 s[30:31], s[0:1]
	v_mov_b32_e32 v75, v0
.LBB30_107:
	v_lshlrev_b32_e32 v40, 16, v93
	s_and_b32 vcc_lo, exec_lo, s39
	s_cbranch_vccnz .LBB30_109
; %bb.108:
	s_delay_alu instid0(VALU_DEP_1)
	v_mov_b32_e32 v0, v40
	s_waitcnt vmcnt(1)
	v_mov_b32_e32 v1, v68
	s_getpc_b64 s[0:1]
	s_add_u32 s0, s0, _ZN12_GLOBAL__N_111calc_igammaIfEET_S1_S1_@rel32@lo+4
	s_addc_u32 s1, s1, _ZN12_GLOBAL__N_111calc_igammaIfEET_S1_S1_@rel32@hi+12
	s_delay_alu instid0(SALU_CYCLE_1)
	s_swappc_b64 s[30:31], s[0:1]
	v_mov_b32_e32 v76, v0
	s_cbranch_execz .LBB30_110
	s_branch .LBB30_111
.LBB30_109:
.LBB30_110:
	s_delay_alu instid0(VALU_DEP_1)
	v_mov_b32_e32 v0, v40
	s_waitcnt vmcnt(1)
	v_mov_b32_e32 v1, v68
	s_getpc_b64 s[0:1]
	s_add_u32 s0, s0, _ZN12_GLOBAL__N_112calc_igammacIfEET_S1_S1_@rel32@lo+4
	s_addc_u32 s1, s1, _ZN12_GLOBAL__N_112calc_igammacIfEET_S1_S1_@rel32@hi+12
	s_delay_alu instid0(SALU_CYCLE_1)
	s_swappc_b64 s[30:31], s[0:1]
	v_mov_b32_e32 v76, v0
.LBB30_111:
	v_and_b32_e32 v40, 0xffff0000, v93
	s_and_b32 vcc_lo, exec_lo, s39
	s_cbranch_vccnz .LBB30_113
; %bb.112:
	s_waitcnt vmcnt(1)
	s_delay_alu instid0(VALU_DEP_1) | instskip(SKIP_3) | instid1(SALU_CYCLE_1)
	v_dual_mov_b32 v0, v40 :: v_dual_mov_b32 v1, v69
	s_getpc_b64 s[0:1]
	s_add_u32 s0, s0, _ZN12_GLOBAL__N_111calc_igammaIfEET_S1_S1_@rel32@lo+4
	s_addc_u32 s1, s1, _ZN12_GLOBAL__N_111calc_igammaIfEET_S1_S1_@rel32@hi+12
	s_swappc_b64 s[30:31], s[0:1]
	v_mov_b32_e32 v77, v0
	s_cbranch_execz .LBB30_114
	s_branch .LBB30_115
.LBB30_113:
.LBB30_114:
	s_waitcnt vmcnt(1)
	s_delay_alu instid0(VALU_DEP_1) | instskip(SKIP_3) | instid1(SALU_CYCLE_1)
	v_dual_mov_b32 v0, v40 :: v_dual_mov_b32 v1, v69
	s_getpc_b64 s[0:1]
	s_add_u32 s0, s0, _ZN12_GLOBAL__N_112calc_igammacIfEET_S1_S1_@rel32@lo+4
	s_addc_u32 s1, s1, _ZN12_GLOBAL__N_112calc_igammacIfEET_S1_S1_@rel32@hi+12
	s_swappc_b64 s[30:31], s[0:1]
	v_mov_b32_e32 v77, v0
.LBB30_115:
	s_waitcnt vmcnt(8)
	v_lshlrev_b32_e32 v40, 16, v90
	s_and_b32 vcc_lo, exec_lo, s39
	s_cbranch_vccnz .LBB30_117
; %bb.116:
	s_delay_alu instid0(VALU_DEP_1)
	v_mov_b32_e32 v0, v40
	s_waitcnt vmcnt(0)
	v_mov_b32_e32 v1, v56
	s_getpc_b64 s[0:1]
	s_add_u32 s0, s0, _ZN12_GLOBAL__N_111calc_igammaIfEET_S1_S1_@rel32@lo+4
	s_addc_u32 s1, s1, _ZN12_GLOBAL__N_111calc_igammaIfEET_S1_S1_@rel32@hi+12
	s_delay_alu instid0(SALU_CYCLE_1)
	s_swappc_b64 s[30:31], s[0:1]
	v_mov_b32_e32 v66, v0
	s_cbranch_execz .LBB30_118
	s_branch .LBB30_119
.LBB30_117:
                                        ; implicit-def: $vgpr66
.LBB30_118:
	s_delay_alu instid0(VALU_DEP_1)
	v_mov_b32_e32 v0, v40
	s_waitcnt vmcnt(0)
	v_mov_b32_e32 v1, v56
	s_getpc_b64 s[0:1]
	s_add_u32 s0, s0, _ZN12_GLOBAL__N_112calc_igammacIfEET_S1_S1_@rel32@lo+4
	s_addc_u32 s1, s1, _ZN12_GLOBAL__N_112calc_igammacIfEET_S1_S1_@rel32@hi+12
	s_delay_alu instid0(SALU_CYCLE_1)
	s_swappc_b64 s[30:31], s[0:1]
	v_mov_b32_e32 v66, v0
.LBB30_119:
	v_and_b32_e32 v40, 0xffff0000, v90
	s_and_b32 vcc_lo, exec_lo, s39
	s_cbranch_vccnz .LBB30_121
; %bb.120:
	s_waitcnt vmcnt(0)
	s_delay_alu instid0(VALU_DEP_1) | instskip(SKIP_3) | instid1(SALU_CYCLE_1)
	v_dual_mov_b32 v0, v40 :: v_dual_mov_b32 v1, v57
	s_getpc_b64 s[0:1]
	s_add_u32 s0, s0, _ZN12_GLOBAL__N_111calc_igammaIfEET_S1_S1_@rel32@lo+4
	s_addc_u32 s1, s1, _ZN12_GLOBAL__N_111calc_igammaIfEET_S1_S1_@rel32@hi+12
	s_swappc_b64 s[30:31], s[0:1]
	v_mov_b32_e32 v67, v0
	s_cbranch_execz .LBB30_122
	s_branch .LBB30_123
.LBB30_121:
.LBB30_122:
	s_waitcnt vmcnt(0)
	s_delay_alu instid0(VALU_DEP_1) | instskip(SKIP_3) | instid1(SALU_CYCLE_1)
	v_dual_mov_b32 v0, v40 :: v_dual_mov_b32 v1, v57
	s_getpc_b64 s[0:1]
	s_add_u32 s0, s0, _ZN12_GLOBAL__N_112calc_igammacIfEET_S1_S1_@rel32@lo+4
	s_addc_u32 s1, s1, _ZN12_GLOBAL__N_112calc_igammacIfEET_S1_S1_@rel32@hi+12
	s_swappc_b64 s[30:31], s[0:1]
	v_mov_b32_e32 v67, v0
.LBB30_123:
	v_lshlrev_b32_e32 v40, 16, v91
	s_and_b32 vcc_lo, exec_lo, s39
	s_cbranch_vccnz .LBB30_125
; %bb.124:
	s_waitcnt vmcnt(0)
	s_delay_alu instid0(VALU_DEP_1) | instskip(SKIP_3) | instid1(SALU_CYCLE_1)
	v_dual_mov_b32 v0, v40 :: v_dual_mov_b32 v1, v58
	s_getpc_b64 s[0:1]
	s_add_u32 s0, s0, _ZN12_GLOBAL__N_111calc_igammaIfEET_S1_S1_@rel32@lo+4
	s_addc_u32 s1, s1, _ZN12_GLOBAL__N_111calc_igammaIfEET_S1_S1_@rel32@hi+12
	s_swappc_b64 s[30:31], s[0:1]
	v_mov_b32_e32 v68, v0
	s_cbranch_execz .LBB30_126
	s_branch .LBB30_127
.LBB30_125:
.LBB30_126:
	s_waitcnt vmcnt(0)
	s_delay_alu instid0(VALU_DEP_1) | instskip(SKIP_3) | instid1(SALU_CYCLE_1)
	v_dual_mov_b32 v0, v40 :: v_dual_mov_b32 v1, v58
	s_getpc_b64 s[0:1]
	s_add_u32 s0, s0, _ZN12_GLOBAL__N_112calc_igammacIfEET_S1_S1_@rel32@lo+4
	s_addc_u32 s1, s1, _ZN12_GLOBAL__N_112calc_igammacIfEET_S1_S1_@rel32@hi+12
	s_swappc_b64 s[30:31], s[0:1]
	v_mov_b32_e32 v68, v0
.LBB30_127:
	v_and_b32_e32 v40, 0xffff0000, v91
	s_and_b32 vcc_lo, exec_lo, s39
	s_cbranch_vccnz .LBB30_129
; %bb.128:
	s_waitcnt vmcnt(0)
	s_delay_alu instid0(VALU_DEP_1) | instskip(SKIP_3) | instid1(SALU_CYCLE_1)
	v_dual_mov_b32 v0, v40 :: v_dual_mov_b32 v1, v59
	s_getpc_b64 s[0:1]
	s_add_u32 s0, s0, _ZN12_GLOBAL__N_111calc_igammaIfEET_S1_S1_@rel32@lo+4
	s_addc_u32 s1, s1, _ZN12_GLOBAL__N_111calc_igammaIfEET_S1_S1_@rel32@hi+12
	s_swappc_b64 s[30:31], s[0:1]
	v_mov_b32_e32 v69, v0
	s_cbranch_execz .LBB30_130
	s_branch .LBB30_131
.LBB30_129:
.LBB30_130:
	s_waitcnt vmcnt(0)
	s_delay_alu instid0(VALU_DEP_1) | instskip(SKIP_3) | instid1(SALU_CYCLE_1)
	v_dual_mov_b32 v0, v40 :: v_dual_mov_b32 v1, v59
	s_getpc_b64 s[0:1]
	s_add_u32 s0, s0, _ZN12_GLOBAL__N_112calc_igammacIfEET_S1_S1_@rel32@lo+4
	s_addc_u32 s1, s1, _ZN12_GLOBAL__N_112calc_igammacIfEET_S1_S1_@rel32@hi+12
	s_swappc_b64 s[30:31], s[0:1]
	v_mov_b32_e32 v69, v0
.LBB30_131:
	s_add_u32 s2, s40, s46
	s_addc_u32 s3, s41, s47
	v_add_co_u32 v6, s0, s2, v104
	s_delay_alu instid0(VALU_DEP_1) | instskip(NEXT) | instid1(VALU_DEP_2)
	v_add_co_ci_u32_e64 v7, null, s3, 0, s0
	v_add_co_u32 v0, vcc_lo, 0x2000, v6
	s_delay_alu instid0(VALU_DEP_2)
	v_add_co_ci_u32_e32 v1, vcc_lo, 0, v7, vcc_lo
	v_add_co_u32 v2, vcc_lo, 0x6000, v6
	v_add_co_ci_u32_e32 v3, vcc_lo, 0, v7, vcc_lo
	v_add_co_u32 v4, vcc_lo, 0xa000, v6
	v_add_co_ci_u32_e32 v5, vcc_lo, 0, v7, vcc_lo
	v_add_co_u32 v6, vcc_lo, 0xe000, v6
	s_waitcnt vmcnt(7)
	global_store_b128 v104, v[42:45], s[2:3]
	s_waitcnt vmcnt(6)
	global_store_b128 v105, v[70:73], s[2:3]
	v_add_co_ci_u32_e32 v7, vcc_lo, 0, v7, vcc_lo
	global_store_b128 v[0:1], v[60:63], off
	s_waitcnt vmcnt(5)
	global_store_b128 v[2:3], v[78:81], off
	s_waitcnt vmcnt(4)
	global_store_b128 v102, v[86:89], s[2:3]
	s_waitcnt vmcnt(2)
	s_clause 0x1
	global_store_b128 v103, v[74:77], s[2:3]
	global_store_b128 v[4:5], v[82:85], off
	s_waitcnt vmcnt(1)
	global_store_b128 v[6:7], v[66:69], off
	s_branch .LBB30_2
.LBB30_132:
	s_clause 0x1
	s_load_b32 s6, s[36:37], 0x24
	s_load_b128 s[0:3], s[36:37], 0x28
	v_cndmask_b32_e64 v0, 0, 1, s49
	v_dual_mov_b32 v31, v47 :: v_dual_mov_b32 v2, s41
	v_dual_mov_b32 v1, s40 :: v_dual_mov_b32 v4, s43
	;; [unrolled: 1-line block ×3, first 2 shown]
	v_mov_b32_e32 v5, s44
	v_mov_b32_e32 v7, s48
	s_add_u32 s8, s36, 56
	s_addc_u32 s9, s37, 0
	s_mov_b32 s12, s38
	s_getpc_b64 s[4:5]
	s_add_u32 s4, s4, _ZN2at6native25elementwise_kernel_helperILb1EN12_GLOBAL__N_110CalcIgammaIfEENS0_6memory8policies11unroll_baseILi512ESt5arrayIPcLm3EE23TrivialOffsetCalculatorILi2EjESB_ILi1EjENS5_12LoadWithCastILi2EEENS5_13StoreWithCastILi1EEELi32ELi1EEEEEvT0_T1_@rel32@lo+4
	s_addc_u32 s5, s5, _ZN2at6native25elementwise_kernel_helperILb1EN12_GLOBAL__N_110CalcIgammaIfEENS0_6memory8policies11unroll_baseILi512ESt5arrayIPcLm3EE23TrivialOffsetCalculatorILi2EjESB_ILi1EjENS5_12LoadWithCastILi2EEENS5_13StoreWithCastILi1EEELi32ELi1EEEEEvT0_T1_@rel32@hi+12
	s_waitcnt lgkmcnt(0)
	v_lshrrev_b16 v9, 8, s6
	v_mov_b32_e32 v10, s0
	v_dual_mov_b32 v8, s6 :: v_dual_mov_b32 v11, s1
	v_dual_mov_b32 v12, s2 :: v_dual_mov_b32 v13, s3
	s_swappc_b64 s[30:31], s[4:5]
	s_endpgm
	.section	.rodata,"a",@progbits
	.p2align	6, 0x0
	.amdhsa_kernel _ZN2at6native39vectorized_templated_elementwise_kernelILi4EN12_GLOBAL__N_110CalcIgammaIfEESt5arrayIPcLm3EE23TrivialOffsetCalculatorILi2EjES8_ILi1EjENS0_6memory12LoadWithCastILi2EEENSB_13StoreWithCastILi1EEEfJN3c108BFloat16EfEEEviT0_T1_T2_T3_T4_T5_
		.amdhsa_group_segment_fixed_size 0
		.amdhsa_private_segment_fixed_size 448
		.amdhsa_kernarg_size 312
		.amdhsa_user_sgpr_count 15
		.amdhsa_user_sgpr_dispatch_ptr 0
		.amdhsa_user_sgpr_queue_ptr 0
		.amdhsa_user_sgpr_kernarg_segment_ptr 1
		.amdhsa_user_sgpr_dispatch_id 0
		.amdhsa_user_sgpr_private_segment_size 0
		.amdhsa_wavefront_size32 1
		.amdhsa_uses_dynamic_stack 0
		.amdhsa_enable_private_segment 1
		.amdhsa_system_sgpr_workgroup_id_x 1
		.amdhsa_system_sgpr_workgroup_id_y 0
		.amdhsa_system_sgpr_workgroup_id_z 0
		.amdhsa_system_sgpr_workgroup_info 0
		.amdhsa_system_vgpr_workitem_id 0
		.amdhsa_next_free_vgpr 147
		.amdhsa_next_free_sgpr 77
		.amdhsa_reserve_vcc 1
		.amdhsa_float_round_mode_32 0
		.amdhsa_float_round_mode_16_64 0
		.amdhsa_float_denorm_mode_32 3
		.amdhsa_float_denorm_mode_16_64 3
		.amdhsa_dx10_clamp 1
		.amdhsa_ieee_mode 1
		.amdhsa_fp16_overflow 0
		.amdhsa_workgroup_processor_mode 1
		.amdhsa_memory_ordered 1
		.amdhsa_forward_progress 0
		.amdhsa_shared_vgpr_count 0
		.amdhsa_exception_fp_ieee_invalid_op 0
		.amdhsa_exception_fp_denorm_src 0
		.amdhsa_exception_fp_ieee_div_zero 0
		.amdhsa_exception_fp_ieee_overflow 0
		.amdhsa_exception_fp_ieee_underflow 0
		.amdhsa_exception_fp_ieee_inexact 0
		.amdhsa_exception_int_div_zero 0
	.end_amdhsa_kernel
	.section	.text._ZN2at6native39vectorized_templated_elementwise_kernelILi4EN12_GLOBAL__N_110CalcIgammaIfEESt5arrayIPcLm3EE23TrivialOffsetCalculatorILi2EjES8_ILi1EjENS0_6memory12LoadWithCastILi2EEENSB_13StoreWithCastILi1EEEfJN3c108BFloat16EfEEEviT0_T1_T2_T3_T4_T5_,"axG",@progbits,_ZN2at6native39vectorized_templated_elementwise_kernelILi4EN12_GLOBAL__N_110CalcIgammaIfEESt5arrayIPcLm3EE23TrivialOffsetCalculatorILi2EjES8_ILi1EjENS0_6memory12LoadWithCastILi2EEENSB_13StoreWithCastILi1EEEfJN3c108BFloat16EfEEEviT0_T1_T2_T3_T4_T5_,comdat
.Lfunc_end30:
	.size	_ZN2at6native39vectorized_templated_elementwise_kernelILi4EN12_GLOBAL__N_110CalcIgammaIfEESt5arrayIPcLm3EE23TrivialOffsetCalculatorILi2EjES8_ILi1EjENS0_6memory12LoadWithCastILi2EEENSB_13StoreWithCastILi1EEEfJN3c108BFloat16EfEEEviT0_T1_T2_T3_T4_T5_, .Lfunc_end30-_ZN2at6native39vectorized_templated_elementwise_kernelILi4EN12_GLOBAL__N_110CalcIgammaIfEESt5arrayIPcLm3EE23TrivialOffsetCalculatorILi2EjES8_ILi1EjENS0_6memory12LoadWithCastILi2EEENSB_13StoreWithCastILi1EEEfJN3c108BFloat16EfEEEviT0_T1_T2_T3_T4_T5_
                                        ; -- End function
	.section	.AMDGPU.csdata,"",@progbits
; Kernel info:
; codeLenInByte = 4484
; NumSgprs: 79
; NumVgprs: 147
; ScratchSize: 448
; MemoryBound: 0
; FloatMode: 240
; IeeeMode: 1
; LDSByteSize: 0 bytes/workgroup (compile time only)
; SGPRBlocks: 9
; VGPRBlocks: 18
; NumSGPRsForWavesPerEU: 79
; NumVGPRsForWavesPerEU: 147
; Occupancy: 9
; WaveLimiterHint : 0
; COMPUTE_PGM_RSRC2:SCRATCH_EN: 1
; COMPUTE_PGM_RSRC2:USER_SGPR: 15
; COMPUTE_PGM_RSRC2:TRAP_HANDLER: 0
; COMPUTE_PGM_RSRC2:TGID_X_EN: 1
; COMPUTE_PGM_RSRC2:TGID_Y_EN: 0
; COMPUTE_PGM_RSRC2:TGID_Z_EN: 0
; COMPUTE_PGM_RSRC2:TIDIG_COMP_CNT: 0
	.section	.text._ZN2at6native39vectorized_templated_elementwise_kernelILi2EN12_GLOBAL__N_110CalcIgammaIfEESt5arrayIPcLm3EE23TrivialOffsetCalculatorILi2EjES8_ILi1EjENS0_6memory12LoadWithCastILi2EEENSB_13StoreWithCastILi1EEEfJN3c108BFloat16EfEEEviT0_T1_T2_T3_T4_T5_,"axG",@progbits,_ZN2at6native39vectorized_templated_elementwise_kernelILi2EN12_GLOBAL__N_110CalcIgammaIfEESt5arrayIPcLm3EE23TrivialOffsetCalculatorILi2EjES8_ILi1EjENS0_6memory12LoadWithCastILi2EEENSB_13StoreWithCastILi1EEEfJN3c108BFloat16EfEEEviT0_T1_T2_T3_T4_T5_,comdat
	.globl	_ZN2at6native39vectorized_templated_elementwise_kernelILi2EN12_GLOBAL__N_110CalcIgammaIfEESt5arrayIPcLm3EE23TrivialOffsetCalculatorILi2EjES8_ILi1EjENS0_6memory12LoadWithCastILi2EEENSB_13StoreWithCastILi1EEEfJN3c108BFloat16EfEEEviT0_T1_T2_T3_T4_T5_ ; -- Begin function _ZN2at6native39vectorized_templated_elementwise_kernelILi2EN12_GLOBAL__N_110CalcIgammaIfEESt5arrayIPcLm3EE23TrivialOffsetCalculatorILi2EjES8_ILi1EjENS0_6memory12LoadWithCastILi2EEENSB_13StoreWithCastILi1EEEfJN3c108BFloat16EfEEEviT0_T1_T2_T3_T4_T5_
	.p2align	8
	.type	_ZN2at6native39vectorized_templated_elementwise_kernelILi2EN12_GLOBAL__N_110CalcIgammaIfEESt5arrayIPcLm3EE23TrivialOffsetCalculatorILi2EjES8_ILi1EjENS0_6memory12LoadWithCastILi2EEENSB_13StoreWithCastILi1EEEfJN3c108BFloat16EfEEEviT0_T1_T2_T3_T4_T5_,@function
_ZN2at6native39vectorized_templated_elementwise_kernelILi2EN12_GLOBAL__N_110CalcIgammaIfEESt5arrayIPcLm3EE23TrivialOffsetCalculatorILi2EjES8_ILi1EjENS0_6memory12LoadWithCastILi2EEENSB_13StoreWithCastILi1EEEfJN3c108BFloat16EfEEEviT0_T1_T2_T3_T4_T5_: ; @_ZN2at6native39vectorized_templated_elementwise_kernelILi2EN12_GLOBAL__N_110CalcIgammaIfEESt5arrayIPcLm3EE23TrivialOffsetCalculatorILi2EjES8_ILi1EjENS0_6memory12LoadWithCastILi2EEENSB_13StoreWithCastILi1EEEfJN3c108BFloat16EfEEEviT0_T1_T2_T3_T4_T5_
; %bb.0:
	s_mov_b64 s[36:37], s[0:1]
	s_clause 0x1
	s_load_b64 s[2:3], s[0:1], 0x0
	s_load_b32 s0, s[0:1], 0x38
	s_clause 0x1
	s_load_b64 s[44:45], s[36:37], 0x18
	s_load_b128 s[40:43], s[36:37], 0x8
	v_mov_b32_e32 v86, v0
	s_mov_b32 s38, s15
	s_mov_b32 s32, 0
	s_waitcnt lgkmcnt(0)
	s_bitcmp1_b32 s3, 0
	s_cselect_b32 s49, -1, 0
	s_not_b32 s1, s15
	s_delay_alu instid0(SALU_CYCLE_1) | instskip(SKIP_2) | instid1(SALU_CYCLE_1)
	s_add_i32 s0, s0, s1
	s_mov_b32 s1, -1
	s_lshl_b32 s0, s0, 14
	s_sub_i32 s48, s2, s0
	s_delay_alu instid0(SALU_CYCLE_1)
	s_cmpk_gt_i32 s48, 0x3fff
	s_cbranch_scc1 .LBB31_3
; %bb.1:
	s_and_b32 vcc_lo, exec_lo, s1
	s_cbranch_vccnz .LBB31_132
.LBB31_2:
	s_endpgm
.LBB31_3:
	s_ashr_i32 s1, s0, 31
	v_lshlrev_b32_e32 v6, 2, v86
	s_lshl_b64 s[2:3], s[0:1], 1
	s_xor_b32 s50, s49, -1
	s_add_u32 s2, s42, s2
	s_addc_u32 s3, s43, s3
	v_add_co_u32 v7, s4, s2, v6
	s_delay_alu instid0(VALU_DEP_1) | instskip(SKIP_1) | instid1(VALU_DEP_3)
	v_add_co_ci_u32_e64 v9, null, s3, 0, s4
	v_or_b32_e32 v8, 0x400, v86
	v_add_co_u32 v0, vcc_lo, 0x1000, v7
	s_delay_alu instid0(VALU_DEP_3)
	v_add_co_ci_u32_e32 v1, vcc_lo, 0, v9, vcc_lo
	v_or_b32_e32 v11, 0x800, v86
	v_add_co_u32 v2, vcc_lo, 0x2000, v7
	v_or_b32_e32 v13, 0xc00, v86
	v_add_co_ci_u32_e32 v3, vcc_lo, 0, v9, vcc_lo
	v_lshlrev_b32_e32 v10, 2, v8
	v_add_co_u32 v4, vcc_lo, 0x3000, v7
	v_lshlrev_b32_e32 v12, 2, v11
	v_add_co_ci_u32_e32 v5, vcc_lo, 0, v9, vcc_lo
	v_lshlrev_b32_e32 v14, 2, v13
	s_clause 0x7
	global_load_b32 v43, v6, s[2:3]
	global_load_b32 v109, v6, s[2:3] offset:2048
	global_load_b32 v108, v10, s[2:3]
	global_load_b32 v107, v[0:1], off offset:2048
	global_load_b32 v106, v12, s[2:3]
	global_load_b32 v105, v[2:3], off offset:2048
	;; [unrolled: 2-line block ×3, first 2 shown]
	v_add_co_u32 v0, vcc_lo, 0x4000, v7
	v_add_co_ci_u32_e32 v1, vcc_lo, 0, v9, vcc_lo
	v_add_co_u32 v2, vcc_lo, 0x5000, v7
	v_add_co_ci_u32_e32 v3, vcc_lo, 0, v9, vcc_lo
	v_or_b32_e32 v15, 0x1000, v86
	v_add_co_u32 v4, vcc_lo, 0x6000, v7
	v_lshlrev_b32_e32 v87, 3, v86
	s_lshl_b64 s[46:47], s[0:1], 2
	v_or_b32_e32 v12, 0x1400, v86
	v_add_co_ci_u32_e32 v5, vcc_lo, 0, v9, vcc_lo
	v_add_co_u32 v6, vcc_lo, 0x7000, v7
	s_add_u32 s0, s44, s46
	v_or_b32_e32 v16, 0x1800, v86
	v_lshlrev_b32_e32 v10, 2, v15
	v_or_b32_e32 v18, 0x1c00, v86
	v_add_co_ci_u32_e32 v7, vcc_lo, 0, v9, vcc_lo
	s_addc_u32 s1, s45, s47
	v_add_co_u32 v9, s4, s0, v87
	v_lshlrev_b32_e32 v14, 2, v12
	v_add_co_ci_u32_e64 v20, null, s1, 0, s4
	v_lshlrev_b32_e32 v17, 2, v16
	v_lshlrev_b32_e32 v19, 2, v18
	s_clause 0x7
	global_load_b32 v102, v10, s[2:3]
	global_load_b32 v101, v[0:1], off offset:2048
	global_load_b32 v100, v14, s[2:3]
	global_load_b32 v99, v[2:3], off offset:2048
	global_load_b32 v98, v17, s[2:3]
	global_load_b32 v97, v[4:5], off offset:2048
	global_load_b32 v96, v19, s[2:3]
	global_load_b32 v95, v[6:7], off offset:2048
	v_add_co_u32 v0, vcc_lo, 0x1000, v9
	v_add_co_ci_u32_e32 v1, vcc_lo, 0, v20, vcc_lo
	v_add_co_u32 v2, vcc_lo, 0x3000, v9
	v_add_co_ci_u32_e32 v3, vcc_lo, 0, v20, vcc_lo
	;; [unrolled: 2-line block ×3, first 2 shown]
	v_lshlrev_b32_e32 v91, 3, v8
	v_add_co_u32 v6, vcc_lo, 0x7000, v9
	v_lshlrev_b32_e32 v93, 3, v11
	v_add_co_ci_u32_e32 v7, vcc_lo, 0, v20, vcc_lo
	v_lshlrev_b32_e32 v94, 3, v13
	s_clause 0x7
	global_load_b64 v[46:47], v87, s[0:1]
	global_load_b64 v[58:59], v[0:1], off
	global_load_b64 v[62:63], v91, s[0:1]
	global_load_b64 v[68:69], v[2:3], off
	;; [unrolled: 2-line block ×4, first 2 shown]
	v_add_co_u32 v0, vcc_lo, 0x9000, v9
	v_add_co_ci_u32_e32 v1, vcc_lo, 0, v20, vcc_lo
	v_add_co_u32 v2, vcc_lo, 0xb000, v9
	v_add_co_ci_u32_e32 v3, vcc_lo, 0, v20, vcc_lo
	v_lshlrev_b32_e32 v88, 3, v15
	v_add_co_u32 v4, vcc_lo, 0xd000, v9
	v_lshlrev_b32_e32 v89, 3, v12
	v_add_co_ci_u32_e32 v5, vcc_lo, 0, v20, vcc_lo
	v_add_co_u32 v6, vcc_lo, 0xf000, v9
	v_lshlrev_b32_e32 v90, 3, v16
	v_lshlrev_b32_e32 v92, 3, v18
	v_add_co_ci_u32_e32 v7, vcc_lo, 0, v20, vcc_lo
	s_clause 0x7
	global_load_b64 v[82:83], v88, s[0:1]
	global_load_b64 v[78:79], v[0:1], off
	global_load_b64 v[74:75], v89, s[0:1]
	global_load_b64 v[70:71], v[2:3], off
	;; [unrolled: 2-line block ×4, first 2 shown]
	s_and_b32 vcc_lo, exec_lo, s50
	s_mov_b32 s39, 0
	s_waitcnt vmcnt(31)
	v_lshlrev_b32_e32 v40, 16, v43
	s_cbranch_vccz .LBB31_5
; %bb.4:
	s_waitcnt vmcnt(15)
	s_delay_alu instid0(VALU_DEP_1) | instskip(SKIP_3) | instid1(SALU_CYCLE_1)
	v_dual_mov_b32 v0, v40 :: v_dual_mov_b32 v1, v46
	s_getpc_b64 s[0:1]
	s_add_u32 s0, s0, _ZN12_GLOBAL__N_111calc_igammaIfEET_S1_S1_@rel32@lo+4
	s_addc_u32 s1, s1, _ZN12_GLOBAL__N_111calc_igammaIfEET_S1_S1_@rel32@hi+12
	s_swappc_b64 s[30:31], s[0:1]
	v_mov_b32_e32 v42, v0
	s_and_not1_b32 vcc_lo, exec_lo, s39
	s_cbranch_vccz .LBB31_6
	s_branch .LBB31_7
.LBB31_5:
                                        ; implicit-def: $vgpr42
.LBB31_6:
	s_waitcnt vmcnt(15)
	s_delay_alu instid0(VALU_DEP_1) | instskip(SKIP_3) | instid1(SALU_CYCLE_1)
	v_dual_mov_b32 v0, v40 :: v_dual_mov_b32 v1, v46
	s_getpc_b64 s[0:1]
	s_add_u32 s0, s0, _ZN12_GLOBAL__N_112calc_igammacIfEET_S1_S1_@rel32@lo+4
	s_addc_u32 s1, s1, _ZN12_GLOBAL__N_112calc_igammacIfEET_S1_S1_@rel32@hi+12
	s_swappc_b64 s[30:31], s[0:1]
	v_mov_b32_e32 v42, v0
.LBB31_7:
	v_cndmask_b32_e64 v0, 0, 1, s50
	v_and_b32_e32 v40, 0xffff0000, v43
	s_and_not1_b32 vcc_lo, exec_lo, s50
	s_delay_alu instid0(VALU_DEP_2)
	v_cmp_ne_u32_e64 s39, 1, v0
	s_cbranch_vccnz .LBB31_9
; %bb.8:
	s_waitcnt vmcnt(15)
	v_dual_mov_b32 v0, v40 :: v_dual_mov_b32 v1, v47
	s_getpc_b64 s[0:1]
	s_add_u32 s0, s0, _ZN12_GLOBAL__N_111calc_igammaIfEET_S1_S1_@rel32@lo+4
	s_addc_u32 s1, s1, _ZN12_GLOBAL__N_111calc_igammaIfEET_S1_S1_@rel32@hi+12
	s_delay_alu instid0(SALU_CYCLE_1)
	s_swappc_b64 s[30:31], s[0:1]
	v_mov_b32_e32 v43, v0
	s_cbranch_execz .LBB31_10
	s_branch .LBB31_11
.LBB31_9:
.LBB31_10:
	s_waitcnt vmcnt(15)
	v_dual_mov_b32 v0, v40 :: v_dual_mov_b32 v1, v47
	s_getpc_b64 s[0:1]
	s_add_u32 s0, s0, _ZN12_GLOBAL__N_112calc_igammacIfEET_S1_S1_@rel32@lo+4
	s_addc_u32 s1, s1, _ZN12_GLOBAL__N_112calc_igammacIfEET_S1_S1_@rel32@hi+12
	s_delay_alu instid0(SALU_CYCLE_1)
	s_swappc_b64 s[30:31], s[0:1]
	v_mov_b32_e32 v43, v0
.LBB31_11:
	s_waitcnt vmcnt(30)
	v_lshlrev_b32_e32 v40, 16, v109
	s_and_b32 vcc_lo, exec_lo, s39
	s_cbranch_vccnz .LBB31_13
; %bb.12:
	s_waitcnt vmcnt(14)
	s_delay_alu instid0(VALU_DEP_1) | instskip(SKIP_3) | instid1(SALU_CYCLE_1)
	v_dual_mov_b32 v0, v40 :: v_dual_mov_b32 v1, v58
	s_getpc_b64 s[0:1]
	s_add_u32 s0, s0, _ZN12_GLOBAL__N_111calc_igammaIfEET_S1_S1_@rel32@lo+4
	s_addc_u32 s1, s1, _ZN12_GLOBAL__N_111calc_igammaIfEET_S1_S1_@rel32@hi+12
	s_swappc_b64 s[30:31], s[0:1]
	v_mov_b32_e32 v46, v0
	s_cbranch_execz .LBB31_14
	s_branch .LBB31_15
.LBB31_13:
                                        ; implicit-def: $vgpr46
.LBB31_14:
	s_waitcnt vmcnt(14)
	s_delay_alu instid0(VALU_DEP_1) | instskip(SKIP_3) | instid1(SALU_CYCLE_1)
	v_dual_mov_b32 v0, v40 :: v_dual_mov_b32 v1, v58
	s_getpc_b64 s[0:1]
	s_add_u32 s0, s0, _ZN12_GLOBAL__N_112calc_igammacIfEET_S1_S1_@rel32@lo+4
	s_addc_u32 s1, s1, _ZN12_GLOBAL__N_112calc_igammacIfEET_S1_S1_@rel32@hi+12
	s_swappc_b64 s[30:31], s[0:1]
	v_mov_b32_e32 v46, v0
.LBB31_15:
	v_and_b32_e32 v40, 0xffff0000, v109
	s_and_b32 vcc_lo, exec_lo, s39
	s_cbranch_vccnz .LBB31_17
; %bb.16:
	s_waitcnt vmcnt(14)
	s_delay_alu instid0(VALU_DEP_1) | instskip(SKIP_3) | instid1(SALU_CYCLE_1)
	v_dual_mov_b32 v0, v40 :: v_dual_mov_b32 v1, v59
	s_getpc_b64 s[0:1]
	s_add_u32 s0, s0, _ZN12_GLOBAL__N_111calc_igammaIfEET_S1_S1_@rel32@lo+4
	s_addc_u32 s1, s1, _ZN12_GLOBAL__N_111calc_igammaIfEET_S1_S1_@rel32@hi+12
	s_swappc_b64 s[30:31], s[0:1]
	v_mov_b32_e32 v47, v0
	s_cbranch_execz .LBB31_18
	s_branch .LBB31_19
.LBB31_17:
.LBB31_18:
	s_waitcnt vmcnt(14)
	s_delay_alu instid0(VALU_DEP_1) | instskip(SKIP_3) | instid1(SALU_CYCLE_1)
	v_dual_mov_b32 v0, v40 :: v_dual_mov_b32 v1, v59
	s_getpc_b64 s[0:1]
	s_add_u32 s0, s0, _ZN12_GLOBAL__N_112calc_igammacIfEET_S1_S1_@rel32@lo+4
	s_addc_u32 s1, s1, _ZN12_GLOBAL__N_112calc_igammacIfEET_S1_S1_@rel32@hi+12
	s_swappc_b64 s[30:31], s[0:1]
	v_mov_b32_e32 v47, v0
.LBB31_19:
	s_waitcnt vmcnt(29)
	v_lshlrev_b32_e32 v40, 16, v108
	s_and_b32 vcc_lo, exec_lo, s39
	s_cbranch_vccnz .LBB31_21
; %bb.20:
	s_waitcnt vmcnt(13)
	s_delay_alu instid0(VALU_DEP_1) | instskip(SKIP_3) | instid1(SALU_CYCLE_1)
	v_dual_mov_b32 v0, v40 :: v_dual_mov_b32 v1, v62
	s_getpc_b64 s[0:1]
	s_add_u32 s0, s0, _ZN12_GLOBAL__N_111calc_igammaIfEET_S1_S1_@rel32@lo+4
	s_addc_u32 s1, s1, _ZN12_GLOBAL__N_111calc_igammaIfEET_S1_S1_@rel32@hi+12
	s_swappc_b64 s[30:31], s[0:1]
	v_mov_b32_e32 v58, v0
	s_cbranch_execz .LBB31_22
	s_branch .LBB31_23
.LBB31_21:
                                        ; implicit-def: $vgpr58
.LBB31_22:
	s_waitcnt vmcnt(13)
	s_delay_alu instid0(VALU_DEP_1) | instskip(SKIP_3) | instid1(SALU_CYCLE_1)
	v_dual_mov_b32 v0, v40 :: v_dual_mov_b32 v1, v62
	s_getpc_b64 s[0:1]
	s_add_u32 s0, s0, _ZN12_GLOBAL__N_112calc_igammacIfEET_S1_S1_@rel32@lo+4
	s_addc_u32 s1, s1, _ZN12_GLOBAL__N_112calc_igammacIfEET_S1_S1_@rel32@hi+12
	s_swappc_b64 s[30:31], s[0:1]
	v_mov_b32_e32 v58, v0
.LBB31_23:
	v_and_b32_e32 v40, 0xffff0000, v108
	s_and_b32 vcc_lo, exec_lo, s39
	s_cbranch_vccnz .LBB31_25
; %bb.24:
	s_waitcnt vmcnt(13)
	s_delay_alu instid0(VALU_DEP_1) | instskip(SKIP_3) | instid1(SALU_CYCLE_1)
	v_dual_mov_b32 v0, v40 :: v_dual_mov_b32 v1, v63
	s_getpc_b64 s[0:1]
	s_add_u32 s0, s0, _ZN12_GLOBAL__N_111calc_igammaIfEET_S1_S1_@rel32@lo+4
	s_addc_u32 s1, s1, _ZN12_GLOBAL__N_111calc_igammaIfEET_S1_S1_@rel32@hi+12
	s_swappc_b64 s[30:31], s[0:1]
	v_mov_b32_e32 v59, v0
	s_cbranch_execz .LBB31_26
	s_branch .LBB31_27
.LBB31_25:
.LBB31_26:
	s_waitcnt vmcnt(13)
	s_delay_alu instid0(VALU_DEP_1) | instskip(SKIP_3) | instid1(SALU_CYCLE_1)
	v_dual_mov_b32 v0, v40 :: v_dual_mov_b32 v1, v63
	s_getpc_b64 s[0:1]
	s_add_u32 s0, s0, _ZN12_GLOBAL__N_112calc_igammacIfEET_S1_S1_@rel32@lo+4
	s_addc_u32 s1, s1, _ZN12_GLOBAL__N_112calc_igammacIfEET_S1_S1_@rel32@hi+12
	s_swappc_b64 s[30:31], s[0:1]
	v_mov_b32_e32 v59, v0
.LBB31_27:
	s_waitcnt vmcnt(28)
	v_lshlrev_b32_e32 v40, 16, v107
	s_and_b32 vcc_lo, exec_lo, s39
	s_cbranch_vccnz .LBB31_29
; %bb.28:
	s_delay_alu instid0(VALU_DEP_1)
	v_mov_b32_e32 v0, v40
	s_waitcnt vmcnt(12)
	v_mov_b32_e32 v1, v68
	s_getpc_b64 s[0:1]
	s_add_u32 s0, s0, _ZN12_GLOBAL__N_111calc_igammaIfEET_S1_S1_@rel32@lo+4
	s_addc_u32 s1, s1, _ZN12_GLOBAL__N_111calc_igammaIfEET_S1_S1_@rel32@hi+12
	s_delay_alu instid0(SALU_CYCLE_1)
	s_swappc_b64 s[30:31], s[0:1]
	v_mov_b32_e32 v62, v0
	s_cbranch_execz .LBB31_30
	s_branch .LBB31_31
.LBB31_29:
                                        ; implicit-def: $vgpr62
.LBB31_30:
	s_delay_alu instid0(VALU_DEP_1)
	v_mov_b32_e32 v0, v40
	s_waitcnt vmcnt(12)
	v_mov_b32_e32 v1, v68
	s_getpc_b64 s[0:1]
	s_add_u32 s0, s0, _ZN12_GLOBAL__N_112calc_igammacIfEET_S1_S1_@rel32@lo+4
	s_addc_u32 s1, s1, _ZN12_GLOBAL__N_112calc_igammacIfEET_S1_S1_@rel32@hi+12
	s_delay_alu instid0(SALU_CYCLE_1)
	s_swappc_b64 s[30:31], s[0:1]
	v_mov_b32_e32 v62, v0
.LBB31_31:
	v_and_b32_e32 v40, 0xffff0000, v107
	s_and_b32 vcc_lo, exec_lo, s39
	s_cbranch_vccnz .LBB31_33
; %bb.32:
	s_waitcnt vmcnt(12)
	s_delay_alu instid0(VALU_DEP_1) | instskip(SKIP_3) | instid1(SALU_CYCLE_1)
	v_dual_mov_b32 v0, v40 :: v_dual_mov_b32 v1, v69
	s_getpc_b64 s[0:1]
	s_add_u32 s0, s0, _ZN12_GLOBAL__N_111calc_igammaIfEET_S1_S1_@rel32@lo+4
	s_addc_u32 s1, s1, _ZN12_GLOBAL__N_111calc_igammaIfEET_S1_S1_@rel32@hi+12
	s_swappc_b64 s[30:31], s[0:1]
	v_mov_b32_e32 v63, v0
	s_cbranch_execz .LBB31_34
	s_branch .LBB31_35
.LBB31_33:
.LBB31_34:
	s_waitcnt vmcnt(12)
	s_delay_alu instid0(VALU_DEP_1) | instskip(SKIP_3) | instid1(SALU_CYCLE_1)
	v_dual_mov_b32 v0, v40 :: v_dual_mov_b32 v1, v69
	s_getpc_b64 s[0:1]
	s_add_u32 s0, s0, _ZN12_GLOBAL__N_112calc_igammacIfEET_S1_S1_@rel32@lo+4
	s_addc_u32 s1, s1, _ZN12_GLOBAL__N_112calc_igammacIfEET_S1_S1_@rel32@hi+12
	s_swappc_b64 s[30:31], s[0:1]
	v_mov_b32_e32 v63, v0
.LBB31_35:
	s_waitcnt vmcnt(27)
	v_lshlrev_b32_e32 v40, 16, v106
	s_and_b32 vcc_lo, exec_lo, s39
	s_cbranch_vccnz .LBB31_37
; %bb.36:
	s_delay_alu instid0(VALU_DEP_1)
	v_mov_b32_e32 v0, v40
	s_waitcnt vmcnt(11)
	v_mov_b32_e32 v1, v72
	s_getpc_b64 s[0:1]
	s_add_u32 s0, s0, _ZN12_GLOBAL__N_111calc_igammaIfEET_S1_S1_@rel32@lo+4
	s_addc_u32 s1, s1, _ZN12_GLOBAL__N_111calc_igammaIfEET_S1_S1_@rel32@hi+12
	s_delay_alu instid0(SALU_CYCLE_1)
	s_swappc_b64 s[30:31], s[0:1]
	v_mov_b32_e32 v68, v0
	s_cbranch_execz .LBB31_38
	s_branch .LBB31_39
.LBB31_37:
                                        ; implicit-def: $vgpr68
.LBB31_38:
	s_delay_alu instid0(VALU_DEP_1)
	v_mov_b32_e32 v0, v40
	s_waitcnt vmcnt(11)
	v_mov_b32_e32 v1, v72
	s_getpc_b64 s[0:1]
	s_add_u32 s0, s0, _ZN12_GLOBAL__N_112calc_igammacIfEET_S1_S1_@rel32@lo+4
	s_addc_u32 s1, s1, _ZN12_GLOBAL__N_112calc_igammacIfEET_S1_S1_@rel32@hi+12
	s_delay_alu instid0(SALU_CYCLE_1)
	s_swappc_b64 s[30:31], s[0:1]
	v_mov_b32_e32 v68, v0
.LBB31_39:
	v_and_b32_e32 v40, 0xffff0000, v106
	s_and_b32 vcc_lo, exec_lo, s39
	s_cbranch_vccnz .LBB31_41
; %bb.40:
	s_waitcnt vmcnt(11)
	s_delay_alu instid0(VALU_DEP_1) | instskip(SKIP_3) | instid1(SALU_CYCLE_1)
	v_dual_mov_b32 v0, v40 :: v_dual_mov_b32 v1, v73
	s_getpc_b64 s[0:1]
	s_add_u32 s0, s0, _ZN12_GLOBAL__N_111calc_igammaIfEET_S1_S1_@rel32@lo+4
	s_addc_u32 s1, s1, _ZN12_GLOBAL__N_111calc_igammaIfEET_S1_S1_@rel32@hi+12
	s_swappc_b64 s[30:31], s[0:1]
	v_mov_b32_e32 v69, v0
	s_cbranch_execz .LBB31_42
	s_branch .LBB31_43
.LBB31_41:
.LBB31_42:
	s_waitcnt vmcnt(11)
	s_delay_alu instid0(VALU_DEP_1) | instskip(SKIP_3) | instid1(SALU_CYCLE_1)
	v_dual_mov_b32 v0, v40 :: v_dual_mov_b32 v1, v73
	s_getpc_b64 s[0:1]
	s_add_u32 s0, s0, _ZN12_GLOBAL__N_112calc_igammacIfEET_S1_S1_@rel32@lo+4
	s_addc_u32 s1, s1, _ZN12_GLOBAL__N_112calc_igammacIfEET_S1_S1_@rel32@hi+12
	s_swappc_b64 s[30:31], s[0:1]
	v_mov_b32_e32 v69, v0
.LBB31_43:
	s_waitcnt vmcnt(26)
	v_lshlrev_b32_e32 v40, 16, v105
	s_and_b32 vcc_lo, exec_lo, s39
	s_cbranch_vccnz .LBB31_45
; %bb.44:
	s_delay_alu instid0(VALU_DEP_1)
	v_mov_b32_e32 v0, v40
	s_waitcnt vmcnt(10)
	v_mov_b32_e32 v1, v76
	s_getpc_b64 s[0:1]
	s_add_u32 s0, s0, _ZN12_GLOBAL__N_111calc_igammaIfEET_S1_S1_@rel32@lo+4
	s_addc_u32 s1, s1, _ZN12_GLOBAL__N_111calc_igammaIfEET_S1_S1_@rel32@hi+12
	s_delay_alu instid0(SALU_CYCLE_1)
	s_swappc_b64 s[30:31], s[0:1]
	v_mov_b32_e32 v72, v0
	s_cbranch_execz .LBB31_46
	s_branch .LBB31_47
.LBB31_45:
                                        ; implicit-def: $vgpr72
.LBB31_46:
	s_delay_alu instid0(VALU_DEP_1)
	v_mov_b32_e32 v0, v40
	s_waitcnt vmcnt(10)
	v_mov_b32_e32 v1, v76
	s_getpc_b64 s[0:1]
	s_add_u32 s0, s0, _ZN12_GLOBAL__N_112calc_igammacIfEET_S1_S1_@rel32@lo+4
	s_addc_u32 s1, s1, _ZN12_GLOBAL__N_112calc_igammacIfEET_S1_S1_@rel32@hi+12
	s_delay_alu instid0(SALU_CYCLE_1)
	s_swappc_b64 s[30:31], s[0:1]
	v_mov_b32_e32 v72, v0
.LBB31_47:
	v_and_b32_e32 v40, 0xffff0000, v105
	s_and_b32 vcc_lo, exec_lo, s39
	s_cbranch_vccnz .LBB31_49
; %bb.48:
	s_waitcnt vmcnt(10)
	s_delay_alu instid0(VALU_DEP_1) | instskip(SKIP_3) | instid1(SALU_CYCLE_1)
	v_dual_mov_b32 v0, v40 :: v_dual_mov_b32 v1, v77
	s_getpc_b64 s[0:1]
	s_add_u32 s0, s0, _ZN12_GLOBAL__N_111calc_igammaIfEET_S1_S1_@rel32@lo+4
	s_addc_u32 s1, s1, _ZN12_GLOBAL__N_111calc_igammaIfEET_S1_S1_@rel32@hi+12
	s_swappc_b64 s[30:31], s[0:1]
	v_mov_b32_e32 v73, v0
	s_cbranch_execz .LBB31_50
	s_branch .LBB31_51
.LBB31_49:
.LBB31_50:
	s_waitcnt vmcnt(10)
	s_delay_alu instid0(VALU_DEP_1) | instskip(SKIP_3) | instid1(SALU_CYCLE_1)
	v_dual_mov_b32 v0, v40 :: v_dual_mov_b32 v1, v77
	s_getpc_b64 s[0:1]
	s_add_u32 s0, s0, _ZN12_GLOBAL__N_112calc_igammacIfEET_S1_S1_@rel32@lo+4
	s_addc_u32 s1, s1, _ZN12_GLOBAL__N_112calc_igammacIfEET_S1_S1_@rel32@hi+12
	s_swappc_b64 s[30:31], s[0:1]
	v_mov_b32_e32 v73, v0
.LBB31_51:
	s_waitcnt vmcnt(25)
	v_lshlrev_b32_e32 v40, 16, v104
	s_and_b32 vcc_lo, exec_lo, s39
	s_cbranch_vccnz .LBB31_53
; %bb.52:
	s_delay_alu instid0(VALU_DEP_1)
	v_mov_b32_e32 v0, v40
	s_waitcnt vmcnt(9)
	v_mov_b32_e32 v1, v80
	s_getpc_b64 s[0:1]
	s_add_u32 s0, s0, _ZN12_GLOBAL__N_111calc_igammaIfEET_S1_S1_@rel32@lo+4
	s_addc_u32 s1, s1, _ZN12_GLOBAL__N_111calc_igammaIfEET_S1_S1_@rel32@hi+12
	s_delay_alu instid0(SALU_CYCLE_1)
	s_swappc_b64 s[30:31], s[0:1]
	v_mov_b32_e32 v76, v0
	s_cbranch_execz .LBB31_54
	s_branch .LBB31_55
.LBB31_53:
                                        ; implicit-def: $vgpr76
.LBB31_54:
	s_delay_alu instid0(VALU_DEP_1)
	v_mov_b32_e32 v0, v40
	s_waitcnt vmcnt(9)
	v_mov_b32_e32 v1, v80
	s_getpc_b64 s[0:1]
	s_add_u32 s0, s0, _ZN12_GLOBAL__N_112calc_igammacIfEET_S1_S1_@rel32@lo+4
	s_addc_u32 s1, s1, _ZN12_GLOBAL__N_112calc_igammacIfEET_S1_S1_@rel32@hi+12
	s_delay_alu instid0(SALU_CYCLE_1)
	s_swappc_b64 s[30:31], s[0:1]
	v_mov_b32_e32 v76, v0
.LBB31_55:
	v_and_b32_e32 v40, 0xffff0000, v104
	s_and_b32 vcc_lo, exec_lo, s39
	s_cbranch_vccnz .LBB31_57
; %bb.56:
	s_waitcnt vmcnt(9)
	s_delay_alu instid0(VALU_DEP_1) | instskip(SKIP_3) | instid1(SALU_CYCLE_1)
	v_dual_mov_b32 v0, v40 :: v_dual_mov_b32 v1, v81
	s_getpc_b64 s[0:1]
	s_add_u32 s0, s0, _ZN12_GLOBAL__N_111calc_igammaIfEET_S1_S1_@rel32@lo+4
	s_addc_u32 s1, s1, _ZN12_GLOBAL__N_111calc_igammaIfEET_S1_S1_@rel32@hi+12
	s_swappc_b64 s[30:31], s[0:1]
	v_mov_b32_e32 v77, v0
	s_cbranch_execz .LBB31_58
	s_branch .LBB31_59
.LBB31_57:
.LBB31_58:
	s_waitcnt vmcnt(9)
	s_delay_alu instid0(VALU_DEP_1) | instskip(SKIP_3) | instid1(SALU_CYCLE_1)
	v_dual_mov_b32 v0, v40 :: v_dual_mov_b32 v1, v81
	s_getpc_b64 s[0:1]
	s_add_u32 s0, s0, _ZN12_GLOBAL__N_112calc_igammacIfEET_S1_S1_@rel32@lo+4
	s_addc_u32 s1, s1, _ZN12_GLOBAL__N_112calc_igammacIfEET_S1_S1_@rel32@hi+12
	s_swappc_b64 s[30:31], s[0:1]
	v_mov_b32_e32 v77, v0
.LBB31_59:
	s_waitcnt vmcnt(24)
	v_lshlrev_b32_e32 v40, 16, v103
	s_and_b32 vcc_lo, exec_lo, s39
	s_cbranch_vccnz .LBB31_61
; %bb.60:
	s_delay_alu instid0(VALU_DEP_1)
	v_mov_b32_e32 v0, v40
	s_waitcnt vmcnt(8)
	v_mov_b32_e32 v1, v84
	s_getpc_b64 s[0:1]
	s_add_u32 s0, s0, _ZN12_GLOBAL__N_111calc_igammaIfEET_S1_S1_@rel32@lo+4
	s_addc_u32 s1, s1, _ZN12_GLOBAL__N_111calc_igammaIfEET_S1_S1_@rel32@hi+12
	s_delay_alu instid0(SALU_CYCLE_1)
	s_swappc_b64 s[30:31], s[0:1]
	v_mov_b32_e32 v80, v0
	s_cbranch_execz .LBB31_62
	s_branch .LBB31_63
.LBB31_61:
                                        ; implicit-def: $vgpr80
.LBB31_62:
	s_delay_alu instid0(VALU_DEP_1)
	v_mov_b32_e32 v0, v40
	s_waitcnt vmcnt(8)
	v_mov_b32_e32 v1, v84
	s_getpc_b64 s[0:1]
	s_add_u32 s0, s0, _ZN12_GLOBAL__N_112calc_igammacIfEET_S1_S1_@rel32@lo+4
	s_addc_u32 s1, s1, _ZN12_GLOBAL__N_112calc_igammacIfEET_S1_S1_@rel32@hi+12
	s_delay_alu instid0(SALU_CYCLE_1)
	s_swappc_b64 s[30:31], s[0:1]
	v_mov_b32_e32 v80, v0
.LBB31_63:
	v_and_b32_e32 v40, 0xffff0000, v103
	s_and_b32 vcc_lo, exec_lo, s39
	s_cbranch_vccnz .LBB31_65
; %bb.64:
	s_waitcnt vmcnt(8)
	s_delay_alu instid0(VALU_DEP_1) | instskip(SKIP_3) | instid1(SALU_CYCLE_1)
	v_dual_mov_b32 v0, v40 :: v_dual_mov_b32 v1, v85
	s_getpc_b64 s[0:1]
	s_add_u32 s0, s0, _ZN12_GLOBAL__N_111calc_igammaIfEET_S1_S1_@rel32@lo+4
	s_addc_u32 s1, s1, _ZN12_GLOBAL__N_111calc_igammaIfEET_S1_S1_@rel32@hi+12
	s_swappc_b64 s[30:31], s[0:1]
	v_mov_b32_e32 v81, v0
	s_cbranch_execz .LBB31_66
	s_branch .LBB31_67
.LBB31_65:
.LBB31_66:
	s_waitcnt vmcnt(8)
	s_delay_alu instid0(VALU_DEP_1) | instskip(SKIP_3) | instid1(SALU_CYCLE_1)
	v_dual_mov_b32 v0, v40 :: v_dual_mov_b32 v1, v85
	s_getpc_b64 s[0:1]
	s_add_u32 s0, s0, _ZN12_GLOBAL__N_112calc_igammacIfEET_S1_S1_@rel32@lo+4
	s_addc_u32 s1, s1, _ZN12_GLOBAL__N_112calc_igammacIfEET_S1_S1_@rel32@hi+12
	s_swappc_b64 s[30:31], s[0:1]
	v_mov_b32_e32 v81, v0
.LBB31_67:
	s_waitcnt vmcnt(23)
	v_lshlrev_b32_e32 v40, 16, v102
	s_and_b32 vcc_lo, exec_lo, s39
	s_cbranch_vccnz .LBB31_69
; %bb.68:
	s_waitcnt vmcnt(7)
	s_delay_alu instid0(VALU_DEP_1) | instskip(SKIP_3) | instid1(SALU_CYCLE_1)
	v_dual_mov_b32 v0, v40 :: v_dual_mov_b32 v1, v82
	s_getpc_b64 s[0:1]
	s_add_u32 s0, s0, _ZN12_GLOBAL__N_111calc_igammaIfEET_S1_S1_@rel32@lo+4
	s_addc_u32 s1, s1, _ZN12_GLOBAL__N_111calc_igammaIfEET_S1_S1_@rel32@hi+12
	s_swappc_b64 s[30:31], s[0:1]
	v_mov_b32_e32 v84, v0
	s_cbranch_execz .LBB31_70
	s_branch .LBB31_71
.LBB31_69:
                                        ; implicit-def: $vgpr84
.LBB31_70:
	s_waitcnt vmcnt(7)
	s_delay_alu instid0(VALU_DEP_1) | instskip(SKIP_3) | instid1(SALU_CYCLE_1)
	v_dual_mov_b32 v0, v40 :: v_dual_mov_b32 v1, v82
	s_getpc_b64 s[0:1]
	s_add_u32 s0, s0, _ZN12_GLOBAL__N_112calc_igammacIfEET_S1_S1_@rel32@lo+4
	s_addc_u32 s1, s1, _ZN12_GLOBAL__N_112calc_igammacIfEET_S1_S1_@rel32@hi+12
	s_swappc_b64 s[30:31], s[0:1]
	v_mov_b32_e32 v84, v0
.LBB31_71:
	v_and_b32_e32 v40, 0xffff0000, v102
	s_and_b32 vcc_lo, exec_lo, s39
	s_cbranch_vccnz .LBB31_73
; %bb.72:
	s_waitcnt vmcnt(7)
	s_delay_alu instid0(VALU_DEP_1) | instskip(SKIP_3) | instid1(SALU_CYCLE_1)
	v_dual_mov_b32 v0, v40 :: v_dual_mov_b32 v1, v83
	s_getpc_b64 s[0:1]
	s_add_u32 s0, s0, _ZN12_GLOBAL__N_111calc_igammaIfEET_S1_S1_@rel32@lo+4
	s_addc_u32 s1, s1, _ZN12_GLOBAL__N_111calc_igammaIfEET_S1_S1_@rel32@hi+12
	s_swappc_b64 s[30:31], s[0:1]
	v_mov_b32_e32 v85, v0
	s_cbranch_execz .LBB31_74
	s_branch .LBB31_75
.LBB31_73:
.LBB31_74:
	s_waitcnt vmcnt(7)
	s_delay_alu instid0(VALU_DEP_1) | instskip(SKIP_3) | instid1(SALU_CYCLE_1)
	v_dual_mov_b32 v0, v40 :: v_dual_mov_b32 v1, v83
	s_getpc_b64 s[0:1]
	s_add_u32 s0, s0, _ZN12_GLOBAL__N_112calc_igammacIfEET_S1_S1_@rel32@lo+4
	s_addc_u32 s1, s1, _ZN12_GLOBAL__N_112calc_igammacIfEET_S1_S1_@rel32@hi+12
	s_swappc_b64 s[30:31], s[0:1]
	v_mov_b32_e32 v85, v0
.LBB31_75:
	s_waitcnt vmcnt(22)
	v_lshlrev_b32_e32 v40, 16, v101
	s_and_b32 vcc_lo, exec_lo, s39
	s_cbranch_vccnz .LBB31_77
; %bb.76:
	s_waitcnt vmcnt(6)
	s_delay_alu instid0(VALU_DEP_1) | instskip(SKIP_3) | instid1(SALU_CYCLE_1)
	v_dual_mov_b32 v0, v40 :: v_dual_mov_b32 v1, v78
	s_getpc_b64 s[0:1]
	s_add_u32 s0, s0, _ZN12_GLOBAL__N_111calc_igammaIfEET_S1_S1_@rel32@lo+4
	s_addc_u32 s1, s1, _ZN12_GLOBAL__N_111calc_igammaIfEET_S1_S1_@rel32@hi+12
	s_swappc_b64 s[30:31], s[0:1]
	v_mov_b32_e32 v82, v0
	s_cbranch_execz .LBB31_78
	s_branch .LBB31_79
.LBB31_77:
                                        ; implicit-def: $vgpr82
.LBB31_78:
	s_waitcnt vmcnt(6)
	s_delay_alu instid0(VALU_DEP_1) | instskip(SKIP_3) | instid1(SALU_CYCLE_1)
	v_dual_mov_b32 v0, v40 :: v_dual_mov_b32 v1, v78
	s_getpc_b64 s[0:1]
	s_add_u32 s0, s0, _ZN12_GLOBAL__N_112calc_igammacIfEET_S1_S1_@rel32@lo+4
	s_addc_u32 s1, s1, _ZN12_GLOBAL__N_112calc_igammacIfEET_S1_S1_@rel32@hi+12
	s_swappc_b64 s[30:31], s[0:1]
	v_mov_b32_e32 v82, v0
.LBB31_79:
	v_and_b32_e32 v40, 0xffff0000, v101
	s_and_b32 vcc_lo, exec_lo, s39
	s_cbranch_vccnz .LBB31_81
; %bb.80:
	s_waitcnt vmcnt(6)
	s_delay_alu instid0(VALU_DEP_1) | instskip(SKIP_3) | instid1(SALU_CYCLE_1)
	v_dual_mov_b32 v0, v40 :: v_dual_mov_b32 v1, v79
	s_getpc_b64 s[0:1]
	s_add_u32 s0, s0, _ZN12_GLOBAL__N_111calc_igammaIfEET_S1_S1_@rel32@lo+4
	s_addc_u32 s1, s1, _ZN12_GLOBAL__N_111calc_igammaIfEET_S1_S1_@rel32@hi+12
	s_swappc_b64 s[30:31], s[0:1]
	v_mov_b32_e32 v83, v0
	s_cbranch_execz .LBB31_82
	s_branch .LBB31_83
.LBB31_81:
.LBB31_82:
	s_waitcnt vmcnt(6)
	s_delay_alu instid0(VALU_DEP_1) | instskip(SKIP_3) | instid1(SALU_CYCLE_1)
	v_dual_mov_b32 v0, v40 :: v_dual_mov_b32 v1, v79
	s_getpc_b64 s[0:1]
	s_add_u32 s0, s0, _ZN12_GLOBAL__N_112calc_igammacIfEET_S1_S1_@rel32@lo+4
	s_addc_u32 s1, s1, _ZN12_GLOBAL__N_112calc_igammacIfEET_S1_S1_@rel32@hi+12
	s_swappc_b64 s[30:31], s[0:1]
	v_mov_b32_e32 v83, v0
.LBB31_83:
	s_waitcnt vmcnt(21)
	v_lshlrev_b32_e32 v40, 16, v100
	s_and_b32 vcc_lo, exec_lo, s39
	s_cbranch_vccnz .LBB31_85
; %bb.84:
	s_waitcnt vmcnt(5)
	s_delay_alu instid0(VALU_DEP_1) | instskip(SKIP_3) | instid1(SALU_CYCLE_1)
	v_dual_mov_b32 v0, v40 :: v_dual_mov_b32 v1, v74
	s_getpc_b64 s[0:1]
	s_add_u32 s0, s0, _ZN12_GLOBAL__N_111calc_igammaIfEET_S1_S1_@rel32@lo+4
	s_addc_u32 s1, s1, _ZN12_GLOBAL__N_111calc_igammaIfEET_S1_S1_@rel32@hi+12
	s_swappc_b64 s[30:31], s[0:1]
	v_mov_b32_e32 v78, v0
	s_cbranch_execz .LBB31_86
	s_branch .LBB31_87
.LBB31_85:
                                        ; implicit-def: $vgpr78
.LBB31_86:
	s_waitcnt vmcnt(5)
	s_delay_alu instid0(VALU_DEP_1) | instskip(SKIP_3) | instid1(SALU_CYCLE_1)
	v_dual_mov_b32 v0, v40 :: v_dual_mov_b32 v1, v74
	s_getpc_b64 s[0:1]
	s_add_u32 s0, s0, _ZN12_GLOBAL__N_112calc_igammacIfEET_S1_S1_@rel32@lo+4
	s_addc_u32 s1, s1, _ZN12_GLOBAL__N_112calc_igammacIfEET_S1_S1_@rel32@hi+12
	s_swappc_b64 s[30:31], s[0:1]
	v_mov_b32_e32 v78, v0
.LBB31_87:
	v_and_b32_e32 v40, 0xffff0000, v100
	s_and_b32 vcc_lo, exec_lo, s39
	s_cbranch_vccnz .LBB31_89
; %bb.88:
	s_waitcnt vmcnt(5)
	s_delay_alu instid0(VALU_DEP_1) | instskip(SKIP_3) | instid1(SALU_CYCLE_1)
	v_dual_mov_b32 v0, v40 :: v_dual_mov_b32 v1, v75
	s_getpc_b64 s[0:1]
	s_add_u32 s0, s0, _ZN12_GLOBAL__N_111calc_igammaIfEET_S1_S1_@rel32@lo+4
	s_addc_u32 s1, s1, _ZN12_GLOBAL__N_111calc_igammaIfEET_S1_S1_@rel32@hi+12
	s_swappc_b64 s[30:31], s[0:1]
	v_mov_b32_e32 v79, v0
	s_cbranch_execz .LBB31_90
	s_branch .LBB31_91
.LBB31_89:
.LBB31_90:
	s_waitcnt vmcnt(5)
	s_delay_alu instid0(VALU_DEP_1) | instskip(SKIP_3) | instid1(SALU_CYCLE_1)
	v_dual_mov_b32 v0, v40 :: v_dual_mov_b32 v1, v75
	s_getpc_b64 s[0:1]
	s_add_u32 s0, s0, _ZN12_GLOBAL__N_112calc_igammacIfEET_S1_S1_@rel32@lo+4
	s_addc_u32 s1, s1, _ZN12_GLOBAL__N_112calc_igammacIfEET_S1_S1_@rel32@hi+12
	s_swappc_b64 s[30:31], s[0:1]
	v_mov_b32_e32 v79, v0
.LBB31_91:
	s_waitcnt vmcnt(20)
	v_lshlrev_b32_e32 v40, 16, v99
	s_and_b32 vcc_lo, exec_lo, s39
	s_cbranch_vccnz .LBB31_93
; %bb.92:
	s_waitcnt vmcnt(4)
	s_delay_alu instid0(VALU_DEP_1) | instskip(SKIP_3) | instid1(SALU_CYCLE_1)
	v_dual_mov_b32 v0, v40 :: v_dual_mov_b32 v1, v70
	s_getpc_b64 s[0:1]
	s_add_u32 s0, s0, _ZN12_GLOBAL__N_111calc_igammaIfEET_S1_S1_@rel32@lo+4
	s_addc_u32 s1, s1, _ZN12_GLOBAL__N_111calc_igammaIfEET_S1_S1_@rel32@hi+12
	s_swappc_b64 s[30:31], s[0:1]
	v_mov_b32_e32 v74, v0
	s_cbranch_execz .LBB31_94
	s_branch .LBB31_95
.LBB31_93:
                                        ; implicit-def: $vgpr74
.LBB31_94:
	s_waitcnt vmcnt(4)
	s_delay_alu instid0(VALU_DEP_1) | instskip(SKIP_3) | instid1(SALU_CYCLE_1)
	v_dual_mov_b32 v0, v40 :: v_dual_mov_b32 v1, v70
	s_getpc_b64 s[0:1]
	s_add_u32 s0, s0, _ZN12_GLOBAL__N_112calc_igammacIfEET_S1_S1_@rel32@lo+4
	s_addc_u32 s1, s1, _ZN12_GLOBAL__N_112calc_igammacIfEET_S1_S1_@rel32@hi+12
	s_swappc_b64 s[30:31], s[0:1]
	v_mov_b32_e32 v74, v0
.LBB31_95:
	v_and_b32_e32 v40, 0xffff0000, v99
	s_and_b32 vcc_lo, exec_lo, s39
	s_cbranch_vccnz .LBB31_97
; %bb.96:
	s_waitcnt vmcnt(4)
	s_delay_alu instid0(VALU_DEP_1) | instskip(SKIP_3) | instid1(SALU_CYCLE_1)
	v_dual_mov_b32 v0, v40 :: v_dual_mov_b32 v1, v71
	s_getpc_b64 s[0:1]
	s_add_u32 s0, s0, _ZN12_GLOBAL__N_111calc_igammaIfEET_S1_S1_@rel32@lo+4
	s_addc_u32 s1, s1, _ZN12_GLOBAL__N_111calc_igammaIfEET_S1_S1_@rel32@hi+12
	s_swappc_b64 s[30:31], s[0:1]
	v_mov_b32_e32 v75, v0
	s_cbranch_execz .LBB31_98
	s_branch .LBB31_99
.LBB31_97:
.LBB31_98:
	s_waitcnt vmcnt(4)
	s_delay_alu instid0(VALU_DEP_1) | instskip(SKIP_3) | instid1(SALU_CYCLE_1)
	v_dual_mov_b32 v0, v40 :: v_dual_mov_b32 v1, v71
	s_getpc_b64 s[0:1]
	s_add_u32 s0, s0, _ZN12_GLOBAL__N_112calc_igammacIfEET_S1_S1_@rel32@lo+4
	s_addc_u32 s1, s1, _ZN12_GLOBAL__N_112calc_igammacIfEET_S1_S1_@rel32@hi+12
	s_swappc_b64 s[30:31], s[0:1]
	v_mov_b32_e32 v75, v0
.LBB31_99:
	s_waitcnt vmcnt(19)
	v_lshlrev_b32_e32 v40, 16, v98
	s_and_b32 vcc_lo, exec_lo, s39
	s_cbranch_vccnz .LBB31_101
; %bb.100:
	s_waitcnt vmcnt(3)
	s_delay_alu instid0(VALU_DEP_1) | instskip(SKIP_3) | instid1(SALU_CYCLE_1)
	v_dual_mov_b32 v0, v40 :: v_dual_mov_b32 v1, v66
	s_getpc_b64 s[0:1]
	s_add_u32 s0, s0, _ZN12_GLOBAL__N_111calc_igammaIfEET_S1_S1_@rel32@lo+4
	s_addc_u32 s1, s1, _ZN12_GLOBAL__N_111calc_igammaIfEET_S1_S1_@rel32@hi+12
	s_swappc_b64 s[30:31], s[0:1]
	v_mov_b32_e32 v70, v0
	s_cbranch_execz .LBB31_102
	s_branch .LBB31_103
.LBB31_101:
                                        ; implicit-def: $vgpr70
.LBB31_102:
	s_waitcnt vmcnt(3)
	s_delay_alu instid0(VALU_DEP_1) | instskip(SKIP_3) | instid1(SALU_CYCLE_1)
	v_dual_mov_b32 v0, v40 :: v_dual_mov_b32 v1, v66
	s_getpc_b64 s[0:1]
	s_add_u32 s0, s0, _ZN12_GLOBAL__N_112calc_igammacIfEET_S1_S1_@rel32@lo+4
	s_addc_u32 s1, s1, _ZN12_GLOBAL__N_112calc_igammacIfEET_S1_S1_@rel32@hi+12
	s_swappc_b64 s[30:31], s[0:1]
	v_mov_b32_e32 v70, v0
.LBB31_103:
	v_and_b32_e32 v40, 0xffff0000, v98
	s_and_b32 vcc_lo, exec_lo, s39
	s_cbranch_vccnz .LBB31_105
; %bb.104:
	s_waitcnt vmcnt(3)
	s_delay_alu instid0(VALU_DEP_1) | instskip(SKIP_3) | instid1(SALU_CYCLE_1)
	v_dual_mov_b32 v0, v40 :: v_dual_mov_b32 v1, v67
	s_getpc_b64 s[0:1]
	s_add_u32 s0, s0, _ZN12_GLOBAL__N_111calc_igammaIfEET_S1_S1_@rel32@lo+4
	s_addc_u32 s1, s1, _ZN12_GLOBAL__N_111calc_igammaIfEET_S1_S1_@rel32@hi+12
	s_swappc_b64 s[30:31], s[0:1]
	v_mov_b32_e32 v71, v0
	s_cbranch_execz .LBB31_106
	s_branch .LBB31_107
.LBB31_105:
.LBB31_106:
	s_waitcnt vmcnt(3)
	s_delay_alu instid0(VALU_DEP_1) | instskip(SKIP_3) | instid1(SALU_CYCLE_1)
	v_dual_mov_b32 v0, v40 :: v_dual_mov_b32 v1, v67
	s_getpc_b64 s[0:1]
	s_add_u32 s0, s0, _ZN12_GLOBAL__N_112calc_igammacIfEET_S1_S1_@rel32@lo+4
	s_addc_u32 s1, s1, _ZN12_GLOBAL__N_112calc_igammacIfEET_S1_S1_@rel32@hi+12
	s_swappc_b64 s[30:31], s[0:1]
	v_mov_b32_e32 v71, v0
.LBB31_107:
	s_waitcnt vmcnt(18)
	v_lshlrev_b32_e32 v40, 16, v97
	s_and_b32 vcc_lo, exec_lo, s39
	s_cbranch_vccnz .LBB31_109
; %bb.108:
	s_delay_alu instid0(VALU_DEP_1)
	v_mov_b32_e32 v0, v40
	s_waitcnt vmcnt(2)
	v_mov_b32_e32 v1, v60
	s_getpc_b64 s[0:1]
	s_add_u32 s0, s0, _ZN12_GLOBAL__N_111calc_igammaIfEET_S1_S1_@rel32@lo+4
	s_addc_u32 s1, s1, _ZN12_GLOBAL__N_111calc_igammaIfEET_S1_S1_@rel32@hi+12
	s_delay_alu instid0(SALU_CYCLE_1)
	s_swappc_b64 s[30:31], s[0:1]
	v_mov_b32_e32 v66, v0
	s_cbranch_execz .LBB31_110
	s_branch .LBB31_111
.LBB31_109:
                                        ; implicit-def: $vgpr66
.LBB31_110:
	s_delay_alu instid0(VALU_DEP_1)
	v_mov_b32_e32 v0, v40
	s_waitcnt vmcnt(2)
	v_mov_b32_e32 v1, v60
	s_getpc_b64 s[0:1]
	s_add_u32 s0, s0, _ZN12_GLOBAL__N_112calc_igammacIfEET_S1_S1_@rel32@lo+4
	s_addc_u32 s1, s1, _ZN12_GLOBAL__N_112calc_igammacIfEET_S1_S1_@rel32@hi+12
	s_delay_alu instid0(SALU_CYCLE_1)
	s_swappc_b64 s[30:31], s[0:1]
	v_mov_b32_e32 v66, v0
.LBB31_111:
	v_and_b32_e32 v40, 0xffff0000, v97
	s_and_b32 vcc_lo, exec_lo, s39
	s_cbranch_vccnz .LBB31_113
; %bb.112:
	s_waitcnt vmcnt(2)
	s_delay_alu instid0(VALU_DEP_1) | instskip(SKIP_3) | instid1(SALU_CYCLE_1)
	v_dual_mov_b32 v0, v40 :: v_dual_mov_b32 v1, v61
	s_getpc_b64 s[0:1]
	s_add_u32 s0, s0, _ZN12_GLOBAL__N_111calc_igammaIfEET_S1_S1_@rel32@lo+4
	s_addc_u32 s1, s1, _ZN12_GLOBAL__N_111calc_igammaIfEET_S1_S1_@rel32@hi+12
	s_swappc_b64 s[30:31], s[0:1]
	v_mov_b32_e32 v67, v0
	s_cbranch_execz .LBB31_114
	s_branch .LBB31_115
.LBB31_113:
.LBB31_114:
	s_waitcnt vmcnt(2)
	s_delay_alu instid0(VALU_DEP_1) | instskip(SKIP_3) | instid1(SALU_CYCLE_1)
	v_dual_mov_b32 v0, v40 :: v_dual_mov_b32 v1, v61
	s_getpc_b64 s[0:1]
	s_add_u32 s0, s0, _ZN12_GLOBAL__N_112calc_igammacIfEET_S1_S1_@rel32@lo+4
	s_addc_u32 s1, s1, _ZN12_GLOBAL__N_112calc_igammacIfEET_S1_S1_@rel32@hi+12
	s_swappc_b64 s[30:31], s[0:1]
	v_mov_b32_e32 v67, v0
.LBB31_115:
	s_waitcnt vmcnt(17)
	v_lshlrev_b32_e32 v40, 16, v96
	s_and_b32 vcc_lo, exec_lo, s39
	s_cbranch_vccnz .LBB31_117
; %bb.116:
	s_delay_alu instid0(VALU_DEP_1)
	v_mov_b32_e32 v0, v40
	s_waitcnt vmcnt(1)
	v_mov_b32_e32 v1, v56
	s_getpc_b64 s[0:1]
	s_add_u32 s0, s0, _ZN12_GLOBAL__N_111calc_igammaIfEET_S1_S1_@rel32@lo+4
	s_addc_u32 s1, s1, _ZN12_GLOBAL__N_111calc_igammaIfEET_S1_S1_@rel32@hi+12
	s_delay_alu instid0(SALU_CYCLE_1)
	s_swappc_b64 s[30:31], s[0:1]
	v_mov_b32_e32 v60, v0
	s_cbranch_execz .LBB31_118
	s_branch .LBB31_119
.LBB31_117:
                                        ; implicit-def: $vgpr60
.LBB31_118:
	s_delay_alu instid0(VALU_DEP_1)
	v_mov_b32_e32 v0, v40
	s_waitcnt vmcnt(1)
	v_mov_b32_e32 v1, v56
	s_getpc_b64 s[0:1]
	s_add_u32 s0, s0, _ZN12_GLOBAL__N_112calc_igammacIfEET_S1_S1_@rel32@lo+4
	s_addc_u32 s1, s1, _ZN12_GLOBAL__N_112calc_igammacIfEET_S1_S1_@rel32@hi+12
	s_delay_alu instid0(SALU_CYCLE_1)
	s_swappc_b64 s[30:31], s[0:1]
	v_mov_b32_e32 v60, v0
.LBB31_119:
	v_and_b32_e32 v40, 0xffff0000, v96
	s_and_b32 vcc_lo, exec_lo, s39
	s_cbranch_vccnz .LBB31_121
; %bb.120:
	s_waitcnt vmcnt(1)
	s_delay_alu instid0(VALU_DEP_1) | instskip(SKIP_3) | instid1(SALU_CYCLE_1)
	v_dual_mov_b32 v0, v40 :: v_dual_mov_b32 v1, v57
	s_getpc_b64 s[0:1]
	s_add_u32 s0, s0, _ZN12_GLOBAL__N_111calc_igammaIfEET_S1_S1_@rel32@lo+4
	s_addc_u32 s1, s1, _ZN12_GLOBAL__N_111calc_igammaIfEET_S1_S1_@rel32@hi+12
	s_swappc_b64 s[30:31], s[0:1]
	v_mov_b32_e32 v61, v0
	s_cbranch_execz .LBB31_122
	s_branch .LBB31_123
.LBB31_121:
.LBB31_122:
	s_waitcnt vmcnt(1)
	s_delay_alu instid0(VALU_DEP_1) | instskip(SKIP_3) | instid1(SALU_CYCLE_1)
	v_dual_mov_b32 v0, v40 :: v_dual_mov_b32 v1, v57
	s_getpc_b64 s[0:1]
	s_add_u32 s0, s0, _ZN12_GLOBAL__N_112calc_igammacIfEET_S1_S1_@rel32@lo+4
	s_addc_u32 s1, s1, _ZN12_GLOBAL__N_112calc_igammacIfEET_S1_S1_@rel32@hi+12
	s_swappc_b64 s[30:31], s[0:1]
	v_mov_b32_e32 v61, v0
.LBB31_123:
	s_waitcnt vmcnt(16)
	v_lshlrev_b32_e32 v40, 16, v95
	s_and_b32 vcc_lo, exec_lo, s39
	s_cbranch_vccnz .LBB31_125
; %bb.124:
	s_delay_alu instid0(VALU_DEP_1)
	v_mov_b32_e32 v0, v40
	s_waitcnt vmcnt(0)
	v_mov_b32_e32 v1, v44
	s_getpc_b64 s[0:1]
	s_add_u32 s0, s0, _ZN12_GLOBAL__N_111calc_igammaIfEET_S1_S1_@rel32@lo+4
	s_addc_u32 s1, s1, _ZN12_GLOBAL__N_111calc_igammaIfEET_S1_S1_@rel32@hi+12
	s_delay_alu instid0(SALU_CYCLE_1)
	s_swappc_b64 s[30:31], s[0:1]
	v_mov_b32_e32 v56, v0
	s_cbranch_execz .LBB31_126
	s_branch .LBB31_127
.LBB31_125:
                                        ; implicit-def: $vgpr56
.LBB31_126:
	s_delay_alu instid0(VALU_DEP_1)
	v_mov_b32_e32 v0, v40
	s_waitcnt vmcnt(0)
	v_mov_b32_e32 v1, v44
	s_getpc_b64 s[0:1]
	s_add_u32 s0, s0, _ZN12_GLOBAL__N_112calc_igammacIfEET_S1_S1_@rel32@lo+4
	s_addc_u32 s1, s1, _ZN12_GLOBAL__N_112calc_igammacIfEET_S1_S1_@rel32@hi+12
	s_delay_alu instid0(SALU_CYCLE_1)
	s_swappc_b64 s[30:31], s[0:1]
	v_mov_b32_e32 v56, v0
.LBB31_127:
	v_and_b32_e32 v40, 0xffff0000, v95
	s_and_b32 vcc_lo, exec_lo, s39
	s_cbranch_vccnz .LBB31_129
; %bb.128:
	s_waitcnt vmcnt(0)
	s_delay_alu instid0(VALU_DEP_1) | instskip(SKIP_3) | instid1(SALU_CYCLE_1)
	v_dual_mov_b32 v0, v40 :: v_dual_mov_b32 v1, v45
	s_getpc_b64 s[0:1]
	s_add_u32 s0, s0, _ZN12_GLOBAL__N_111calc_igammaIfEET_S1_S1_@rel32@lo+4
	s_addc_u32 s1, s1, _ZN12_GLOBAL__N_111calc_igammaIfEET_S1_S1_@rel32@hi+12
	s_swappc_b64 s[30:31], s[0:1]
	v_mov_b32_e32 v57, v0
	s_cbranch_execz .LBB31_130
	s_branch .LBB31_131
.LBB31_129:
.LBB31_130:
	s_waitcnt vmcnt(0)
	s_delay_alu instid0(VALU_DEP_1) | instskip(SKIP_3) | instid1(SALU_CYCLE_1)
	v_dual_mov_b32 v0, v40 :: v_dual_mov_b32 v1, v45
	s_getpc_b64 s[0:1]
	s_add_u32 s0, s0, _ZN12_GLOBAL__N_112calc_igammacIfEET_S1_S1_@rel32@lo+4
	s_addc_u32 s1, s1, _ZN12_GLOBAL__N_112calc_igammacIfEET_S1_S1_@rel32@hi+12
	s_swappc_b64 s[30:31], s[0:1]
	v_mov_b32_e32 v57, v0
.LBB31_131:
	s_add_u32 s2, s40, s46
	s_addc_u32 s3, s41, s47
	v_add_co_u32 v8, s0, s2, v87
	s_delay_alu instid0(VALU_DEP_1) | instskip(NEXT) | instid1(VALU_DEP_2)
	v_add_co_ci_u32_e64 v9, null, s3, 0, s0
	v_add_co_u32 v0, vcc_lo, 0x1000, v8
	s_delay_alu instid0(VALU_DEP_2)
	v_add_co_ci_u32_e32 v1, vcc_lo, 0, v9, vcc_lo
	v_add_co_u32 v2, vcc_lo, 0x3000, v8
	v_add_co_ci_u32_e32 v3, vcc_lo, 0, v9, vcc_lo
	v_add_co_u32 v4, vcc_lo, 0x5000, v8
	;; [unrolled: 2-line block ×3, first 2 shown]
	v_add_co_ci_u32_e32 v7, vcc_lo, 0, v9, vcc_lo
	global_store_b64 v87, v[42:43], s[2:3]
	s_waitcnt vmcnt(14)
	global_store_b64 v91, v[58:59], s[2:3]
	s_waitcnt vmcnt(12)
	;; [unrolled: 2-line block ×3, first 2 shown]
	s_clause 0x3
	global_store_b64 v94, v[76:77], s[2:3]
	global_store_b64 v[0:1], v[46:47], off
	global_store_b64 v[2:3], v[62:63], off
	;; [unrolled: 1-line block ×3, first 2 shown]
	s_waitcnt vmcnt(9)
	global_store_b64 v[6:7], v[80:81], off
	v_add_co_u32 v0, vcc_lo, 0x9000, v8
	v_add_co_ci_u32_e32 v1, vcc_lo, 0, v9, vcc_lo
	v_add_co_u32 v2, vcc_lo, 0xb000, v8
	v_add_co_ci_u32_e32 v3, vcc_lo, 0, v9, vcc_lo
	;; [unrolled: 2-line block ×4, first 2 shown]
	s_waitcnt vmcnt(8)
	global_store_b64 v88, v[84:85], s[2:3]
	s_waitcnt vmcnt(6)
	global_store_b64 v89, v[78:79], s[2:3]
	;; [unrolled: 2-line block ×3, first 2 shown]
	s_waitcnt vmcnt(2)
	s_clause 0x3
	global_store_b64 v92, v[60:61], s[2:3]
	global_store_b64 v[0:1], v[82:83], off
	global_store_b64 v[2:3], v[74:75], off
	;; [unrolled: 1-line block ×3, first 2 shown]
	s_waitcnt vmcnt(1)
	global_store_b64 v[6:7], v[56:57], off
	s_branch .LBB31_2
.LBB31_132:
	s_clause 0x1
	s_load_b32 s6, s[36:37], 0x24
	s_load_b128 s[0:3], s[36:37], 0x28
	v_cndmask_b32_e64 v0, 0, 1, s49
	v_dual_mov_b32 v31, v86 :: v_dual_mov_b32 v2, s41
	v_dual_mov_b32 v1, s40 :: v_dual_mov_b32 v4, s43
	v_dual_mov_b32 v3, s42 :: v_dual_mov_b32 v6, s45
	v_mov_b32_e32 v5, s44
	v_mov_b32_e32 v7, s48
	s_add_u32 s8, s36, 56
	s_addc_u32 s9, s37, 0
	s_mov_b32 s12, s38
	s_getpc_b64 s[4:5]
	s_add_u32 s4, s4, _ZN2at6native25elementwise_kernel_helperILb1EN12_GLOBAL__N_110CalcIgammaIfEENS0_6memory8policies11unroll_baseILi512ESt5arrayIPcLm3EE23TrivialOffsetCalculatorILi2EjESB_ILi1EjENS5_12LoadWithCastILi2EEENS5_13StoreWithCastILi1EEELi32ELi1EEEEEvT0_T1_@rel32@lo+4
	s_addc_u32 s5, s5, _ZN2at6native25elementwise_kernel_helperILb1EN12_GLOBAL__N_110CalcIgammaIfEENS0_6memory8policies11unroll_baseILi512ESt5arrayIPcLm3EE23TrivialOffsetCalculatorILi2EjESB_ILi1EjENS5_12LoadWithCastILi2EEENS5_13StoreWithCastILi1EEELi32ELi1EEEEEvT0_T1_@rel32@hi+12
	s_waitcnt lgkmcnt(0)
	v_lshrrev_b16 v9, 8, s6
	v_mov_b32_e32 v10, s0
	v_dual_mov_b32 v8, s6 :: v_dual_mov_b32 v11, s1
	v_dual_mov_b32 v12, s2 :: v_dual_mov_b32 v13, s3
	s_swappc_b64 s[30:31], s[4:5]
	s_endpgm
	.section	.rodata,"a",@progbits
	.p2align	6, 0x0
	.amdhsa_kernel _ZN2at6native39vectorized_templated_elementwise_kernelILi2EN12_GLOBAL__N_110CalcIgammaIfEESt5arrayIPcLm3EE23TrivialOffsetCalculatorILi2EjES8_ILi1EjENS0_6memory12LoadWithCastILi2EEENSB_13StoreWithCastILi1EEEfJN3c108BFloat16EfEEEviT0_T1_T2_T3_T4_T5_
		.amdhsa_group_segment_fixed_size 0
		.amdhsa_private_segment_fixed_size 448
		.amdhsa_kernarg_size 312
		.amdhsa_user_sgpr_count 15
		.amdhsa_user_sgpr_dispatch_ptr 0
		.amdhsa_user_sgpr_queue_ptr 0
		.amdhsa_user_sgpr_kernarg_segment_ptr 1
		.amdhsa_user_sgpr_dispatch_id 0
		.amdhsa_user_sgpr_private_segment_size 0
		.amdhsa_wavefront_size32 1
		.amdhsa_uses_dynamic_stack 0
		.amdhsa_enable_private_segment 1
		.amdhsa_system_sgpr_workgroup_id_x 1
		.amdhsa_system_sgpr_workgroup_id_y 0
		.amdhsa_system_sgpr_workgroup_id_z 0
		.amdhsa_system_sgpr_workgroup_info 0
		.amdhsa_system_vgpr_workitem_id 0
		.amdhsa_next_free_vgpr 147
		.amdhsa_next_free_sgpr 77
		.amdhsa_reserve_vcc 1
		.amdhsa_float_round_mode_32 0
		.amdhsa_float_round_mode_16_64 0
		.amdhsa_float_denorm_mode_32 3
		.amdhsa_float_denorm_mode_16_64 3
		.amdhsa_dx10_clamp 1
		.amdhsa_ieee_mode 1
		.amdhsa_fp16_overflow 0
		.amdhsa_workgroup_processor_mode 1
		.amdhsa_memory_ordered 1
		.amdhsa_forward_progress 0
		.amdhsa_shared_vgpr_count 0
		.amdhsa_exception_fp_ieee_invalid_op 0
		.amdhsa_exception_fp_denorm_src 0
		.amdhsa_exception_fp_ieee_div_zero 0
		.amdhsa_exception_fp_ieee_overflow 0
		.amdhsa_exception_fp_ieee_underflow 0
		.amdhsa_exception_fp_ieee_inexact 0
		.amdhsa_exception_int_div_zero 0
	.end_amdhsa_kernel
	.section	.text._ZN2at6native39vectorized_templated_elementwise_kernelILi2EN12_GLOBAL__N_110CalcIgammaIfEESt5arrayIPcLm3EE23TrivialOffsetCalculatorILi2EjES8_ILi1EjENS0_6memory12LoadWithCastILi2EEENSB_13StoreWithCastILi1EEEfJN3c108BFloat16EfEEEviT0_T1_T2_T3_T4_T5_,"axG",@progbits,_ZN2at6native39vectorized_templated_elementwise_kernelILi2EN12_GLOBAL__N_110CalcIgammaIfEESt5arrayIPcLm3EE23TrivialOffsetCalculatorILi2EjES8_ILi1EjENS0_6memory12LoadWithCastILi2EEENSB_13StoreWithCastILi1EEEfJN3c108BFloat16EfEEEviT0_T1_T2_T3_T4_T5_,comdat
.Lfunc_end31:
	.size	_ZN2at6native39vectorized_templated_elementwise_kernelILi2EN12_GLOBAL__N_110CalcIgammaIfEESt5arrayIPcLm3EE23TrivialOffsetCalculatorILi2EjES8_ILi1EjENS0_6memory12LoadWithCastILi2EEENSB_13StoreWithCastILi1EEEfJN3c108BFloat16EfEEEviT0_T1_T2_T3_T4_T5_, .Lfunc_end31-_ZN2at6native39vectorized_templated_elementwise_kernelILi2EN12_GLOBAL__N_110CalcIgammaIfEESt5arrayIPcLm3EE23TrivialOffsetCalculatorILi2EjES8_ILi1EjENS0_6memory12LoadWithCastILi2EEENSB_13StoreWithCastILi1EEEfJN3c108BFloat16EfEEEviT0_T1_T2_T3_T4_T5_
                                        ; -- End function
	.section	.AMDGPU.csdata,"",@progbits
; Kernel info:
; codeLenInByte = 4964
; NumSgprs: 79
; NumVgprs: 147
; ScratchSize: 448
; MemoryBound: 0
; FloatMode: 240
; IeeeMode: 1
; LDSByteSize: 0 bytes/workgroup (compile time only)
; SGPRBlocks: 9
; VGPRBlocks: 18
; NumSGPRsForWavesPerEU: 79
; NumVGPRsForWavesPerEU: 147
; Occupancy: 9
; WaveLimiterHint : 0
; COMPUTE_PGM_RSRC2:SCRATCH_EN: 1
; COMPUTE_PGM_RSRC2:USER_SGPR: 15
; COMPUTE_PGM_RSRC2:TRAP_HANDLER: 0
; COMPUTE_PGM_RSRC2:TGID_X_EN: 1
; COMPUTE_PGM_RSRC2:TGID_Y_EN: 0
; COMPUTE_PGM_RSRC2:TGID_Z_EN: 0
; COMPUTE_PGM_RSRC2:TIDIG_COMP_CNT: 0
	.section	.text._ZN2at6native39vectorized_templated_elementwise_kernelILi8EN12_GLOBAL__N_110CalcIgammaIfEESt5arrayIPcLm3EE23TrivialOffsetCalculatorILi2EjES8_ILi1EjENS0_6memory12LoadWithCastILi2EEENSB_13StoreWithCastILi1EEEN3c108BFloat16EJSH_fEEEviT0_T1_T2_T3_T4_T5_,"axG",@progbits,_ZN2at6native39vectorized_templated_elementwise_kernelILi8EN12_GLOBAL__N_110CalcIgammaIfEESt5arrayIPcLm3EE23TrivialOffsetCalculatorILi2EjES8_ILi1EjENS0_6memory12LoadWithCastILi2EEENSB_13StoreWithCastILi1EEEN3c108BFloat16EJSH_fEEEviT0_T1_T2_T3_T4_T5_,comdat
	.globl	_ZN2at6native39vectorized_templated_elementwise_kernelILi8EN12_GLOBAL__N_110CalcIgammaIfEESt5arrayIPcLm3EE23TrivialOffsetCalculatorILi2EjES8_ILi1EjENS0_6memory12LoadWithCastILi2EEENSB_13StoreWithCastILi1EEEN3c108BFloat16EJSH_fEEEviT0_T1_T2_T3_T4_T5_ ; -- Begin function _ZN2at6native39vectorized_templated_elementwise_kernelILi8EN12_GLOBAL__N_110CalcIgammaIfEESt5arrayIPcLm3EE23TrivialOffsetCalculatorILi2EjES8_ILi1EjENS0_6memory12LoadWithCastILi2EEENSB_13StoreWithCastILi1EEEN3c108BFloat16EJSH_fEEEviT0_T1_T2_T3_T4_T5_
	.p2align	8
	.type	_ZN2at6native39vectorized_templated_elementwise_kernelILi8EN12_GLOBAL__N_110CalcIgammaIfEESt5arrayIPcLm3EE23TrivialOffsetCalculatorILi2EjES8_ILi1EjENS0_6memory12LoadWithCastILi2EEENSB_13StoreWithCastILi1EEEN3c108BFloat16EJSH_fEEEviT0_T1_T2_T3_T4_T5_,@function
_ZN2at6native39vectorized_templated_elementwise_kernelILi8EN12_GLOBAL__N_110CalcIgammaIfEESt5arrayIPcLm3EE23TrivialOffsetCalculatorILi2EjES8_ILi1EjENS0_6memory12LoadWithCastILi2EEENSB_13StoreWithCastILi1EEEN3c108BFloat16EJSH_fEEEviT0_T1_T2_T3_T4_T5_: ; @_ZN2at6native39vectorized_templated_elementwise_kernelILi8EN12_GLOBAL__N_110CalcIgammaIfEESt5arrayIPcLm3EE23TrivialOffsetCalculatorILi2EjES8_ILi1EjENS0_6memory12LoadWithCastILi2EEENSB_13StoreWithCastILi1EEEN3c108BFloat16EJSH_fEEEviT0_T1_T2_T3_T4_T5_
; %bb.0:
	s_mov_b64 s[36:37], s[0:1]
	s_clause 0x1
	s_load_b64 s[2:3], s[0:1], 0x0
	s_load_b32 s0, s[0:1], 0x38
	s_clause 0x1
	s_load_b64 s[44:45], s[36:37], 0x18
	s_load_b128 s[40:43], s[36:37], 0x8
	v_mov_b32_e32 v42, v0
	s_mov_b32 s38, s15
	s_mov_b32 s32, 0
	s_waitcnt lgkmcnt(0)
	s_bitcmp1_b32 s3, 0
	s_cselect_b32 s49, -1, 0
	s_not_b32 s1, s15
	s_delay_alu instid0(SALU_CYCLE_1) | instskip(NEXT) | instid1(SALU_CYCLE_1)
	s_add_i32 s0, s0, s1
	s_lshl_b32 s0, s0, 14
	s_delay_alu instid0(SALU_CYCLE_1)
	s_sub_i32 s48, s2, s0
	s_mov_b32 s2, -1
	s_cmpk_gt_i32 s48, 0x3fff
	s_cbranch_scc1 .LBB32_3
; %bb.1:
	s_and_b32 vcc_lo, exec_lo, s2
	s_cbranch_vccnz .LBB32_132
.LBB32_2:
	s_endpgm
.LBB32_3:
	s_ashr_i32 s1, s0, 31
	v_lshlrev_b32_e32 v102, 4, v42
	s_lshl_b64 s[46:47], s[0:1], 1
	s_xor_b32 s50, s49, -1
	s_add_u32 s2, s42, s46
	s_addc_u32 s3, s43, s47
	v_add_co_u32 v2, s4, s2, v102
	s_delay_alu instid0(VALU_DEP_1) | instskip(SKIP_1) | instid1(VALU_DEP_2)
	v_add_co_ci_u32_e64 v3, null, s3, 0, s4
	s_lshl_b64 s[0:1], s[0:1], 2
	v_add_co_u32 v0, vcc_lo, 0x2000, v2
	v_lshlrev_b32_e32 v5, 5, v42
	s_delay_alu instid0(VALU_DEP_3)
	v_add_co_ci_u32_e32 v1, vcc_lo, 0, v3, vcc_lo
	s_add_u32 s0, s44, s0
	s_addc_u32 s1, s45, s1
	v_or_b32_e32 v4, 0x400, v42
	s_clause 0x1
	global_load_b128 v[56:59], v102, s[2:3]
	global_load_b128 v[66:69], v[0:1], off
	s_clause 0x1
	global_load_b128 v[98:101], v5, s[0:1] offset:16
	global_load_b128 v[44:47], v5, s[0:1]
	v_add_co_u32 v0, vcc_lo, 0x6000, v2
	v_lshlrev_b32_e32 v103, 4, v4
	v_add_co_u32 v2, s4, s0, v5
	v_add_co_ci_u32_e32 v1, vcc_lo, 0, v3, vcc_lo
	v_add_co_ci_u32_e64 v3, null, s1, 0, s4
	s_clause 0x1
	global_load_b128 v[74:77], v103, s[2:3]
	global_load_b128 v[82:85], v[0:1], off
	v_add_co_u32 v0, vcc_lo, 0x4000, v2
	v_add_co_ci_u32_e32 v1, vcc_lo, 0, v3, vcc_lo
	v_lshlrev_b32_e32 v4, 5, v4
	v_add_co_u32 v2, vcc_lo, 0xc000, v2
	v_add_co_ci_u32_e32 v3, vcc_lo, 0, v3, vcc_lo
	s_clause 0x5
	global_load_b128 v[60:63], v[0:1], off
	global_load_b128 v[94:97], v[0:1], off offset:16
	global_load_b128 v[90:93], v4, s[0:1] offset:16
	global_load_b128 v[70:73], v4, s[0:1]
	global_load_b128 v[78:81], v[2:3], off
	global_load_b128 v[86:89], v[2:3], off offset:16
	s_mov_b32 s39, 0
	s_waitcnt vmcnt(11)
	v_lshlrev_b32_e32 v40, 16, v56
	s_waitcnt vmcnt(8)
	v_bfe_u32 v0, v44, 16, 1
	v_cmp_o_f32_e32 vcc_lo, v44, v44
	s_delay_alu instid0(VALU_DEP_2) | instskip(NEXT) | instid1(VALU_DEP_1)
	v_add3_u32 v0, v44, v0, 0x7fff
	v_and_b32_e32 v0, 0xffff0000, v0
	s_delay_alu instid0(VALU_DEP_1)
	v_cndmask_b32_e32 v44, 0x7fc00000, v0, vcc_lo
	s_and_b32 vcc_lo, exec_lo, s50
	s_cbranch_vccz .LBB32_5
; %bb.4:
	v_mov_b32_e32 v0, v40
	s_delay_alu instid0(VALU_DEP_2) | instskip(SKIP_3) | instid1(SALU_CYCLE_1)
	v_mov_b32_e32 v1, v44
	s_getpc_b64 s[0:1]
	s_add_u32 s0, s0, _ZN12_GLOBAL__N_111calc_igammaIfEET_S1_S1_@rel32@lo+4
	s_addc_u32 s1, s1, _ZN12_GLOBAL__N_111calc_igammaIfEET_S1_S1_@rel32@hi+12
	s_swappc_b64 s[30:31], s[0:1]
	v_mov_b32_e32 v43, v0
	s_and_not1_b32 vcc_lo, exec_lo, s39
	s_cbranch_vccz .LBB32_6
	s_branch .LBB32_7
.LBB32_5:
                                        ; implicit-def: $vgpr43
.LBB32_6:
	v_mov_b32_e32 v0, v40
	s_delay_alu instid0(VALU_DEP_2) | instskip(SKIP_3) | instid1(SALU_CYCLE_1)
	v_mov_b32_e32 v1, v44
	s_getpc_b64 s[0:1]
	s_add_u32 s0, s0, _ZN12_GLOBAL__N_112calc_igammacIfEET_S1_S1_@rel32@lo+4
	s_addc_u32 s1, s1, _ZN12_GLOBAL__N_112calc_igammacIfEET_S1_S1_@rel32@hi+12
	s_swappc_b64 s[30:31], s[0:1]
	v_mov_b32_e32 v43, v0
.LBB32_7:
	v_bfe_u32 v0, v45, 16, 1
	v_cndmask_b32_e64 v1, 0, 1, s50
	v_cmp_o_f32_e32 vcc_lo, v45, v45
	v_and_b32_e32 v40, 0xffff0000, v56
	s_delay_alu instid0(VALU_DEP_4) | instskip(NEXT) | instid1(VALU_DEP_4)
	v_add3_u32 v0, v45, v0, 0x7fff
	v_cmp_ne_u32_e64 s39, 1, v1
	s_delay_alu instid0(VALU_DEP_2) | instskip(NEXT) | instid1(VALU_DEP_1)
	v_and_b32_e32 v0, 0xffff0000, v0
	v_cndmask_b32_e32 v45, 0x7fc00000, v0, vcc_lo
	s_and_not1_b32 vcc_lo, exec_lo, s50
	s_cbranch_vccnz .LBB32_9
; %bb.8:
	s_delay_alu instid0(VALU_DEP_1) | instskip(SKIP_3) | instid1(SALU_CYCLE_1)
	v_dual_mov_b32 v0, v40 :: v_dual_mov_b32 v1, v45
	s_getpc_b64 s[0:1]
	s_add_u32 s0, s0, _ZN12_GLOBAL__N_111calc_igammaIfEET_S1_S1_@rel32@lo+4
	s_addc_u32 s1, s1, _ZN12_GLOBAL__N_111calc_igammaIfEET_S1_S1_@rel32@hi+12
	s_swappc_b64 s[30:31], s[0:1]
	v_mov_b32_e32 v44, v0
	s_cbranch_execz .LBB32_10
	s_branch .LBB32_11
.LBB32_9:
                                        ; implicit-def: $vgpr44
.LBB32_10:
	s_delay_alu instid0(VALU_DEP_1) | instskip(SKIP_3) | instid1(SALU_CYCLE_1)
	v_dual_mov_b32 v0, v40 :: v_dual_mov_b32 v1, v45
	s_getpc_b64 s[0:1]
	s_add_u32 s0, s0, _ZN12_GLOBAL__N_112calc_igammacIfEET_S1_S1_@rel32@lo+4
	s_addc_u32 s1, s1, _ZN12_GLOBAL__N_112calc_igammacIfEET_S1_S1_@rel32@hi+12
	s_swappc_b64 s[30:31], s[0:1]
	v_mov_b32_e32 v44, v0
.LBB32_11:
	v_bfe_u32 v0, v46, 16, 1
	v_cmp_o_f32_e32 vcc_lo, v46, v46
	v_lshlrev_b32_e32 v40, 16, v57
	s_delay_alu instid0(VALU_DEP_3) | instskip(NEXT) | instid1(VALU_DEP_1)
	v_add3_u32 v0, v46, v0, 0x7fff
	v_and_b32_e32 v0, 0xffff0000, v0
	s_delay_alu instid0(VALU_DEP_1)
	v_cndmask_b32_e32 v46, 0x7fc00000, v0, vcc_lo
	s_and_b32 vcc_lo, exec_lo, s39
	s_cbranch_vccnz .LBB32_13
; %bb.12:
	s_delay_alu instid0(VALU_DEP_1) | instskip(SKIP_3) | instid1(SALU_CYCLE_1)
	v_dual_mov_b32 v0, v40 :: v_dual_mov_b32 v1, v46
	s_getpc_b64 s[0:1]
	s_add_u32 s0, s0, _ZN12_GLOBAL__N_111calc_igammaIfEET_S1_S1_@rel32@lo+4
	s_addc_u32 s1, s1, _ZN12_GLOBAL__N_111calc_igammaIfEET_S1_S1_@rel32@hi+12
	s_swappc_b64 s[30:31], s[0:1]
	v_mov_b32_e32 v45, v0
	s_cbranch_execz .LBB32_14
	s_branch .LBB32_15
.LBB32_13:
                                        ; implicit-def: $vgpr45
.LBB32_14:
	s_delay_alu instid0(VALU_DEP_1) | instskip(SKIP_3) | instid1(SALU_CYCLE_1)
	v_dual_mov_b32 v0, v40 :: v_dual_mov_b32 v1, v46
	s_getpc_b64 s[0:1]
	s_add_u32 s0, s0, _ZN12_GLOBAL__N_112calc_igammacIfEET_S1_S1_@rel32@lo+4
	s_addc_u32 s1, s1, _ZN12_GLOBAL__N_112calc_igammacIfEET_S1_S1_@rel32@hi+12
	s_swappc_b64 s[30:31], s[0:1]
	v_mov_b32_e32 v45, v0
.LBB32_15:
	v_bfe_u32 v0, v47, 16, 1
	v_cmp_o_f32_e32 vcc_lo, v47, v47
	v_and_b32_e32 v40, 0xffff0000, v57
	s_delay_alu instid0(VALU_DEP_3) | instskip(NEXT) | instid1(VALU_DEP_1)
	v_add3_u32 v0, v47, v0, 0x7fff
	v_and_b32_e32 v0, 0xffff0000, v0
	s_delay_alu instid0(VALU_DEP_1)
	v_cndmask_b32_e32 v47, 0x7fc00000, v0, vcc_lo
	s_and_b32 vcc_lo, exec_lo, s39
	s_cbranch_vccnz .LBB32_17
; %bb.16:
	s_delay_alu instid0(VALU_DEP_1) | instskip(SKIP_3) | instid1(SALU_CYCLE_1)
	v_dual_mov_b32 v0, v40 :: v_dual_mov_b32 v1, v47
	s_getpc_b64 s[0:1]
	s_add_u32 s0, s0, _ZN12_GLOBAL__N_111calc_igammaIfEET_S1_S1_@rel32@lo+4
	s_addc_u32 s1, s1, _ZN12_GLOBAL__N_111calc_igammaIfEET_S1_S1_@rel32@hi+12
	s_swappc_b64 s[30:31], s[0:1]
	v_mov_b32_e32 v46, v0
	s_cbranch_execz .LBB32_18
	s_branch .LBB32_19
.LBB32_17:
                                        ; implicit-def: $vgpr46
.LBB32_18:
	s_delay_alu instid0(VALU_DEP_1) | instskip(SKIP_3) | instid1(SALU_CYCLE_1)
	v_dual_mov_b32 v0, v40 :: v_dual_mov_b32 v1, v47
	s_getpc_b64 s[0:1]
	s_add_u32 s0, s0, _ZN12_GLOBAL__N_112calc_igammacIfEET_S1_S1_@rel32@lo+4
	s_addc_u32 s1, s1, _ZN12_GLOBAL__N_112calc_igammacIfEET_S1_S1_@rel32@hi+12
	s_swappc_b64 s[30:31], s[0:1]
	v_mov_b32_e32 v46, v0
.LBB32_19:
	v_bfe_u32 v0, v98, 16, 1
	v_cmp_o_f32_e32 vcc_lo, v98, v98
	v_lshlrev_b32_e32 v40, 16, v58
	s_delay_alu instid0(VALU_DEP_3) | instskip(NEXT) | instid1(VALU_DEP_1)
	v_add3_u32 v0, v98, v0, 0x7fff
	v_and_b32_e32 v0, 0xffff0000, v0
	s_delay_alu instid0(VALU_DEP_1)
	v_cndmask_b32_e32 v56, 0x7fc00000, v0, vcc_lo
	s_and_b32 vcc_lo, exec_lo, s39
	s_cbranch_vccnz .LBB32_21
; %bb.20:
	v_mov_b32_e32 v0, v40
	s_delay_alu instid0(VALU_DEP_2) | instskip(SKIP_3) | instid1(SALU_CYCLE_1)
	v_mov_b32_e32 v1, v56
	s_getpc_b64 s[0:1]
	s_add_u32 s0, s0, _ZN12_GLOBAL__N_111calc_igammaIfEET_S1_S1_@rel32@lo+4
	s_addc_u32 s1, s1, _ZN12_GLOBAL__N_111calc_igammaIfEET_S1_S1_@rel32@hi+12
	s_swappc_b64 s[30:31], s[0:1]
	v_mov_b32_e32 v47, v0
	s_cbranch_execz .LBB32_22
	s_branch .LBB32_23
.LBB32_21:
                                        ; implicit-def: $vgpr47
.LBB32_22:
	v_mov_b32_e32 v0, v40
	s_delay_alu instid0(VALU_DEP_2) | instskip(SKIP_3) | instid1(SALU_CYCLE_1)
	v_mov_b32_e32 v1, v56
	s_getpc_b64 s[0:1]
	s_add_u32 s0, s0, _ZN12_GLOBAL__N_112calc_igammacIfEET_S1_S1_@rel32@lo+4
	s_addc_u32 s1, s1, _ZN12_GLOBAL__N_112calc_igammacIfEET_S1_S1_@rel32@hi+12
	s_swappc_b64 s[30:31], s[0:1]
	v_mov_b32_e32 v47, v0
.LBB32_23:
	v_bfe_u32 v0, v99, 16, 1
	v_cmp_o_f32_e32 vcc_lo, v99, v99
	v_and_b32_e32 v40, 0xffff0000, v58
	s_delay_alu instid0(VALU_DEP_3) | instskip(NEXT) | instid1(VALU_DEP_1)
	v_add3_u32 v0, v99, v0, 0x7fff
	v_and_b32_e32 v0, 0xffff0000, v0
	s_delay_alu instid0(VALU_DEP_1)
	v_cndmask_b32_e32 v57, 0x7fc00000, v0, vcc_lo
	s_and_b32 vcc_lo, exec_lo, s39
	s_cbranch_vccnz .LBB32_25
; %bb.24:
	s_delay_alu instid0(VALU_DEP_1) | instskip(SKIP_3) | instid1(SALU_CYCLE_1)
	v_dual_mov_b32 v0, v40 :: v_dual_mov_b32 v1, v57
	s_getpc_b64 s[0:1]
	s_add_u32 s0, s0, _ZN12_GLOBAL__N_111calc_igammaIfEET_S1_S1_@rel32@lo+4
	s_addc_u32 s1, s1, _ZN12_GLOBAL__N_111calc_igammaIfEET_S1_S1_@rel32@hi+12
	s_swappc_b64 s[30:31], s[0:1]
	v_mov_b32_e32 v56, v0
	s_cbranch_execz .LBB32_26
	s_branch .LBB32_27
.LBB32_25:
                                        ; implicit-def: $vgpr56
.LBB32_26:
	s_delay_alu instid0(VALU_DEP_1) | instskip(SKIP_3) | instid1(SALU_CYCLE_1)
	v_dual_mov_b32 v0, v40 :: v_dual_mov_b32 v1, v57
	s_getpc_b64 s[0:1]
	s_add_u32 s0, s0, _ZN12_GLOBAL__N_112calc_igammacIfEET_S1_S1_@rel32@lo+4
	s_addc_u32 s1, s1, _ZN12_GLOBAL__N_112calc_igammacIfEET_S1_S1_@rel32@hi+12
	s_swappc_b64 s[30:31], s[0:1]
	v_mov_b32_e32 v56, v0
.LBB32_27:
	v_bfe_u32 v0, v100, 16, 1
	v_cmp_o_f32_e32 vcc_lo, v100, v100
	v_lshlrev_b32_e32 v40, 16, v59
	s_delay_alu instid0(VALU_DEP_3) | instskip(NEXT) | instid1(VALU_DEP_1)
	v_add3_u32 v0, v100, v0, 0x7fff
	v_and_b32_e32 v0, 0xffff0000, v0
	s_delay_alu instid0(VALU_DEP_1)
	v_cndmask_b32_e32 v58, 0x7fc00000, v0, vcc_lo
	s_and_b32 vcc_lo, exec_lo, s39
	s_cbranch_vccnz .LBB32_29
; %bb.28:
	s_delay_alu instid0(VALU_DEP_1) | instskip(SKIP_3) | instid1(SALU_CYCLE_1)
	v_dual_mov_b32 v0, v40 :: v_dual_mov_b32 v1, v58
	s_getpc_b64 s[0:1]
	s_add_u32 s0, s0, _ZN12_GLOBAL__N_111calc_igammaIfEET_S1_S1_@rel32@lo+4
	s_addc_u32 s1, s1, _ZN12_GLOBAL__N_111calc_igammaIfEET_S1_S1_@rel32@hi+12
	s_swappc_b64 s[30:31], s[0:1]
	v_mov_b32_e32 v57, v0
	s_cbranch_execz .LBB32_30
	s_branch .LBB32_31
.LBB32_29:
                                        ; implicit-def: $vgpr57
.LBB32_30:
	s_delay_alu instid0(VALU_DEP_1) | instskip(SKIP_3) | instid1(SALU_CYCLE_1)
	v_dual_mov_b32 v0, v40 :: v_dual_mov_b32 v1, v58
	s_getpc_b64 s[0:1]
	s_add_u32 s0, s0, _ZN12_GLOBAL__N_112calc_igammacIfEET_S1_S1_@rel32@lo+4
	s_addc_u32 s1, s1, _ZN12_GLOBAL__N_112calc_igammacIfEET_S1_S1_@rel32@hi+12
	s_swappc_b64 s[30:31], s[0:1]
	v_mov_b32_e32 v57, v0
.LBB32_31:
	v_bfe_u32 v0, v101, 16, 1
	v_cmp_o_f32_e32 vcc_lo, v101, v101
	v_and_b32_e32 v40, 0xffff0000, v59
	s_delay_alu instid0(VALU_DEP_3) | instskip(NEXT) | instid1(VALU_DEP_1)
	v_add3_u32 v0, v101, v0, 0x7fff
	v_and_b32_e32 v0, 0xffff0000, v0
	s_delay_alu instid0(VALU_DEP_1)
	v_cndmask_b32_e32 v59, 0x7fc00000, v0, vcc_lo
	s_and_b32 vcc_lo, exec_lo, s39
	s_cbranch_vccnz .LBB32_33
; %bb.32:
	s_delay_alu instid0(VALU_DEP_1) | instskip(SKIP_3) | instid1(SALU_CYCLE_1)
	v_dual_mov_b32 v0, v40 :: v_dual_mov_b32 v1, v59
	s_getpc_b64 s[0:1]
	s_add_u32 s0, s0, _ZN12_GLOBAL__N_111calc_igammaIfEET_S1_S1_@rel32@lo+4
	s_addc_u32 s1, s1, _ZN12_GLOBAL__N_111calc_igammaIfEET_S1_S1_@rel32@hi+12
	s_swappc_b64 s[30:31], s[0:1]
	v_mov_b32_e32 v58, v0
	s_cbranch_execz .LBB32_34
	s_branch .LBB32_35
.LBB32_33:
                                        ; implicit-def: $vgpr58
.LBB32_34:
	s_delay_alu instid0(VALU_DEP_1) | instskip(SKIP_3) | instid1(SALU_CYCLE_1)
	v_dual_mov_b32 v0, v40 :: v_dual_mov_b32 v1, v59
	s_getpc_b64 s[0:1]
	s_add_u32 s0, s0, _ZN12_GLOBAL__N_112calc_igammacIfEET_S1_S1_@rel32@lo+4
	s_addc_u32 s1, s1, _ZN12_GLOBAL__N_112calc_igammacIfEET_S1_S1_@rel32@hi+12
	s_swappc_b64 s[30:31], s[0:1]
	v_mov_b32_e32 v58, v0
.LBB32_35:
	s_waitcnt vmcnt(5)
	v_bfe_u32 v0, v60, 16, 1
	v_cmp_o_f32_e32 vcc_lo, v60, v60
	v_lshlrev_b32_e32 v40, 16, v66
	s_delay_alu instid0(VALU_DEP_3) | instskip(NEXT) | instid1(VALU_DEP_1)
	v_add3_u32 v0, v60, v0, 0x7fff
	v_and_b32_e32 v0, 0xffff0000, v0
	s_delay_alu instid0(VALU_DEP_1)
	v_cndmask_b32_e32 v60, 0x7fc00000, v0, vcc_lo
	s_and_b32 vcc_lo, exec_lo, s39
	s_cbranch_vccnz .LBB32_37
; %bb.36:
	v_mov_b32_e32 v0, v40
	s_delay_alu instid0(VALU_DEP_2) | instskip(SKIP_3) | instid1(SALU_CYCLE_1)
	v_mov_b32_e32 v1, v60
	s_getpc_b64 s[0:1]
	s_add_u32 s0, s0, _ZN12_GLOBAL__N_111calc_igammaIfEET_S1_S1_@rel32@lo+4
	s_addc_u32 s1, s1, _ZN12_GLOBAL__N_111calc_igammaIfEET_S1_S1_@rel32@hi+12
	s_swappc_b64 s[30:31], s[0:1]
	v_mov_b32_e32 v59, v0
	s_cbranch_execz .LBB32_38
	s_branch .LBB32_39
.LBB32_37:
                                        ; implicit-def: $vgpr59
.LBB32_38:
	v_mov_b32_e32 v0, v40
	s_delay_alu instid0(VALU_DEP_2) | instskip(SKIP_3) | instid1(SALU_CYCLE_1)
	v_mov_b32_e32 v1, v60
	s_getpc_b64 s[0:1]
	s_add_u32 s0, s0, _ZN12_GLOBAL__N_112calc_igammacIfEET_S1_S1_@rel32@lo+4
	s_addc_u32 s1, s1, _ZN12_GLOBAL__N_112calc_igammacIfEET_S1_S1_@rel32@hi+12
	s_swappc_b64 s[30:31], s[0:1]
	v_mov_b32_e32 v59, v0
.LBB32_39:
	v_bfe_u32 v0, v61, 16, 1
	v_cmp_o_f32_e32 vcc_lo, v61, v61
	v_and_b32_e32 v40, 0xffff0000, v66
	s_delay_alu instid0(VALU_DEP_3) | instskip(NEXT) | instid1(VALU_DEP_1)
	v_add3_u32 v0, v61, v0, 0x7fff
	v_and_b32_e32 v0, 0xffff0000, v0
	s_delay_alu instid0(VALU_DEP_1)
	v_cndmask_b32_e32 v61, 0x7fc00000, v0, vcc_lo
	s_and_b32 vcc_lo, exec_lo, s39
	s_cbranch_vccnz .LBB32_41
; %bb.40:
	s_delay_alu instid0(VALU_DEP_1) | instskip(SKIP_3) | instid1(SALU_CYCLE_1)
	v_dual_mov_b32 v0, v40 :: v_dual_mov_b32 v1, v61
	s_getpc_b64 s[0:1]
	s_add_u32 s0, s0, _ZN12_GLOBAL__N_111calc_igammaIfEET_S1_S1_@rel32@lo+4
	s_addc_u32 s1, s1, _ZN12_GLOBAL__N_111calc_igammaIfEET_S1_S1_@rel32@hi+12
	s_swappc_b64 s[30:31], s[0:1]
	v_mov_b32_e32 v60, v0
	s_cbranch_execz .LBB32_42
	s_branch .LBB32_43
.LBB32_41:
                                        ; implicit-def: $vgpr60
.LBB32_42:
	s_delay_alu instid0(VALU_DEP_1) | instskip(SKIP_3) | instid1(SALU_CYCLE_1)
	v_dual_mov_b32 v0, v40 :: v_dual_mov_b32 v1, v61
	s_getpc_b64 s[0:1]
	s_add_u32 s0, s0, _ZN12_GLOBAL__N_112calc_igammacIfEET_S1_S1_@rel32@lo+4
	s_addc_u32 s1, s1, _ZN12_GLOBAL__N_112calc_igammacIfEET_S1_S1_@rel32@hi+12
	s_swappc_b64 s[30:31], s[0:1]
	v_mov_b32_e32 v60, v0
.LBB32_43:
	v_bfe_u32 v0, v62, 16, 1
	v_cmp_o_f32_e32 vcc_lo, v62, v62
	v_lshlrev_b32_e32 v40, 16, v67
	s_delay_alu instid0(VALU_DEP_3) | instskip(NEXT) | instid1(VALU_DEP_1)
	v_add3_u32 v0, v62, v0, 0x7fff
	v_and_b32_e32 v0, 0xffff0000, v0
	s_delay_alu instid0(VALU_DEP_1)
	v_cndmask_b32_e32 v62, 0x7fc00000, v0, vcc_lo
	s_and_b32 vcc_lo, exec_lo, s39
	s_cbranch_vccnz .LBB32_45
; %bb.44:
	s_delay_alu instid0(VALU_DEP_1) | instskip(SKIP_3) | instid1(SALU_CYCLE_1)
	v_dual_mov_b32 v0, v40 :: v_dual_mov_b32 v1, v62
	s_getpc_b64 s[0:1]
	s_add_u32 s0, s0, _ZN12_GLOBAL__N_111calc_igammaIfEET_S1_S1_@rel32@lo+4
	s_addc_u32 s1, s1, _ZN12_GLOBAL__N_111calc_igammaIfEET_S1_S1_@rel32@hi+12
	s_swappc_b64 s[30:31], s[0:1]
	v_mov_b32_e32 v61, v0
	s_cbranch_execz .LBB32_46
	s_branch .LBB32_47
.LBB32_45:
                                        ; implicit-def: $vgpr61
.LBB32_46:
	s_delay_alu instid0(VALU_DEP_1) | instskip(SKIP_3) | instid1(SALU_CYCLE_1)
	v_dual_mov_b32 v0, v40 :: v_dual_mov_b32 v1, v62
	s_getpc_b64 s[0:1]
	s_add_u32 s0, s0, _ZN12_GLOBAL__N_112calc_igammacIfEET_S1_S1_@rel32@lo+4
	s_addc_u32 s1, s1, _ZN12_GLOBAL__N_112calc_igammacIfEET_S1_S1_@rel32@hi+12
	s_swappc_b64 s[30:31], s[0:1]
	v_mov_b32_e32 v61, v0
.LBB32_47:
	v_bfe_u32 v0, v63, 16, 1
	v_cmp_o_f32_e32 vcc_lo, v63, v63
	v_and_b32_e32 v40, 0xffff0000, v67
	s_delay_alu instid0(VALU_DEP_3) | instskip(NEXT) | instid1(VALU_DEP_1)
	v_add3_u32 v0, v63, v0, 0x7fff
	v_and_b32_e32 v0, 0xffff0000, v0
	s_delay_alu instid0(VALU_DEP_1)
	v_cndmask_b32_e32 v63, 0x7fc00000, v0, vcc_lo
	s_and_b32 vcc_lo, exec_lo, s39
	s_cbranch_vccnz .LBB32_49
; %bb.48:
	s_delay_alu instid0(VALU_DEP_1) | instskip(SKIP_3) | instid1(SALU_CYCLE_1)
	v_dual_mov_b32 v0, v40 :: v_dual_mov_b32 v1, v63
	s_getpc_b64 s[0:1]
	s_add_u32 s0, s0, _ZN12_GLOBAL__N_111calc_igammaIfEET_S1_S1_@rel32@lo+4
	s_addc_u32 s1, s1, _ZN12_GLOBAL__N_111calc_igammaIfEET_S1_S1_@rel32@hi+12
	s_swappc_b64 s[30:31], s[0:1]
	v_mov_b32_e32 v62, v0
	s_cbranch_execz .LBB32_50
	s_branch .LBB32_51
.LBB32_49:
                                        ; implicit-def: $vgpr62
.LBB32_50:
	s_delay_alu instid0(VALU_DEP_1) | instskip(SKIP_3) | instid1(SALU_CYCLE_1)
	v_dual_mov_b32 v0, v40 :: v_dual_mov_b32 v1, v63
	s_getpc_b64 s[0:1]
	s_add_u32 s0, s0, _ZN12_GLOBAL__N_112calc_igammacIfEET_S1_S1_@rel32@lo+4
	s_addc_u32 s1, s1, _ZN12_GLOBAL__N_112calc_igammacIfEET_S1_S1_@rel32@hi+12
	s_swappc_b64 s[30:31], s[0:1]
	v_mov_b32_e32 v62, v0
.LBB32_51:
	s_waitcnt vmcnt(4)
	v_bfe_u32 v0, v94, 16, 1
	v_cmp_o_f32_e32 vcc_lo, v94, v94
	v_lshlrev_b32_e32 v40, 16, v68
	s_delay_alu instid0(VALU_DEP_3) | instskip(NEXT) | instid1(VALU_DEP_1)
	v_add3_u32 v0, v94, v0, 0x7fff
	v_and_b32_e32 v0, 0xffff0000, v0
	s_delay_alu instid0(VALU_DEP_1)
	v_cndmask_b32_e32 v66, 0x7fc00000, v0, vcc_lo
	s_and_b32 vcc_lo, exec_lo, s39
	s_cbranch_vccnz .LBB32_53
; %bb.52:
	s_delay_alu instid0(VALU_DEP_1) | instskip(SKIP_3) | instid1(SALU_CYCLE_1)
	v_dual_mov_b32 v0, v40 :: v_dual_mov_b32 v1, v66
	s_getpc_b64 s[0:1]
	s_add_u32 s0, s0, _ZN12_GLOBAL__N_111calc_igammaIfEET_S1_S1_@rel32@lo+4
	s_addc_u32 s1, s1, _ZN12_GLOBAL__N_111calc_igammaIfEET_S1_S1_@rel32@hi+12
	s_swappc_b64 s[30:31], s[0:1]
	v_mov_b32_e32 v63, v0
	s_cbranch_execz .LBB32_54
	s_branch .LBB32_55
.LBB32_53:
                                        ; implicit-def: $vgpr63
.LBB32_54:
	s_delay_alu instid0(VALU_DEP_1) | instskip(SKIP_3) | instid1(SALU_CYCLE_1)
	v_dual_mov_b32 v0, v40 :: v_dual_mov_b32 v1, v66
	s_getpc_b64 s[0:1]
	s_add_u32 s0, s0, _ZN12_GLOBAL__N_112calc_igammacIfEET_S1_S1_@rel32@lo+4
	s_addc_u32 s1, s1, _ZN12_GLOBAL__N_112calc_igammacIfEET_S1_S1_@rel32@hi+12
	s_swappc_b64 s[30:31], s[0:1]
	v_mov_b32_e32 v63, v0
.LBB32_55:
	v_bfe_u32 v0, v95, 16, 1
	v_cmp_o_f32_e32 vcc_lo, v95, v95
	v_and_b32_e32 v40, 0xffff0000, v68
	s_delay_alu instid0(VALU_DEP_3) | instskip(NEXT) | instid1(VALU_DEP_1)
	v_add3_u32 v0, v95, v0, 0x7fff
	v_and_b32_e32 v0, 0xffff0000, v0
	s_delay_alu instid0(VALU_DEP_1)
	v_cndmask_b32_e32 v67, 0x7fc00000, v0, vcc_lo
	s_and_b32 vcc_lo, exec_lo, s39
	s_cbranch_vccnz .LBB32_57
; %bb.56:
	s_delay_alu instid0(VALU_DEP_1) | instskip(SKIP_3) | instid1(SALU_CYCLE_1)
	v_dual_mov_b32 v0, v40 :: v_dual_mov_b32 v1, v67
	s_getpc_b64 s[0:1]
	s_add_u32 s0, s0, _ZN12_GLOBAL__N_111calc_igammaIfEET_S1_S1_@rel32@lo+4
	s_addc_u32 s1, s1, _ZN12_GLOBAL__N_111calc_igammaIfEET_S1_S1_@rel32@hi+12
	s_swappc_b64 s[30:31], s[0:1]
	v_mov_b32_e32 v66, v0
	s_cbranch_execz .LBB32_58
	s_branch .LBB32_59
.LBB32_57:
                                        ; implicit-def: $vgpr66
.LBB32_58:
	s_delay_alu instid0(VALU_DEP_1) | instskip(SKIP_3) | instid1(SALU_CYCLE_1)
	v_dual_mov_b32 v0, v40 :: v_dual_mov_b32 v1, v67
	s_getpc_b64 s[0:1]
	s_add_u32 s0, s0, _ZN12_GLOBAL__N_112calc_igammacIfEET_S1_S1_@rel32@lo+4
	s_addc_u32 s1, s1, _ZN12_GLOBAL__N_112calc_igammacIfEET_S1_S1_@rel32@hi+12
	s_swappc_b64 s[30:31], s[0:1]
	v_mov_b32_e32 v66, v0
.LBB32_59:
	v_bfe_u32 v0, v96, 16, 1
	v_cmp_o_f32_e32 vcc_lo, v96, v96
	v_lshlrev_b32_e32 v40, 16, v69
	s_delay_alu instid0(VALU_DEP_3) | instskip(NEXT) | instid1(VALU_DEP_1)
	v_add3_u32 v0, v96, v0, 0x7fff
	v_and_b32_e32 v0, 0xffff0000, v0
	s_delay_alu instid0(VALU_DEP_1)
	v_cndmask_b32_e32 v68, 0x7fc00000, v0, vcc_lo
	s_and_b32 vcc_lo, exec_lo, s39
	s_cbranch_vccnz .LBB32_61
; %bb.60:
	v_mov_b32_e32 v0, v40
	s_delay_alu instid0(VALU_DEP_2) | instskip(SKIP_3) | instid1(SALU_CYCLE_1)
	v_mov_b32_e32 v1, v68
	s_getpc_b64 s[0:1]
	s_add_u32 s0, s0, _ZN12_GLOBAL__N_111calc_igammaIfEET_S1_S1_@rel32@lo+4
	s_addc_u32 s1, s1, _ZN12_GLOBAL__N_111calc_igammaIfEET_S1_S1_@rel32@hi+12
	s_swappc_b64 s[30:31], s[0:1]
	v_mov_b32_e32 v67, v0
	s_cbranch_execz .LBB32_62
	s_branch .LBB32_63
.LBB32_61:
                                        ; implicit-def: $vgpr67
.LBB32_62:
	v_mov_b32_e32 v0, v40
	s_delay_alu instid0(VALU_DEP_2) | instskip(SKIP_3) | instid1(SALU_CYCLE_1)
	v_mov_b32_e32 v1, v68
	s_getpc_b64 s[0:1]
	s_add_u32 s0, s0, _ZN12_GLOBAL__N_112calc_igammacIfEET_S1_S1_@rel32@lo+4
	s_addc_u32 s1, s1, _ZN12_GLOBAL__N_112calc_igammacIfEET_S1_S1_@rel32@hi+12
	s_swappc_b64 s[30:31], s[0:1]
	v_mov_b32_e32 v67, v0
.LBB32_63:
	v_bfe_u32 v0, v97, 16, 1
	v_cmp_o_f32_e32 vcc_lo, v97, v97
	v_and_b32_e32 v40, 0xffff0000, v69
	s_delay_alu instid0(VALU_DEP_3) | instskip(NEXT) | instid1(VALU_DEP_1)
	v_add3_u32 v0, v97, v0, 0x7fff
	v_and_b32_e32 v0, 0xffff0000, v0
	s_delay_alu instid0(VALU_DEP_1)
	v_cndmask_b32_e32 v69, 0x7fc00000, v0, vcc_lo
	s_and_b32 vcc_lo, exec_lo, s39
	s_cbranch_vccnz .LBB32_65
; %bb.64:
	s_delay_alu instid0(VALU_DEP_1) | instskip(SKIP_3) | instid1(SALU_CYCLE_1)
	v_dual_mov_b32 v0, v40 :: v_dual_mov_b32 v1, v69
	s_getpc_b64 s[0:1]
	s_add_u32 s0, s0, _ZN12_GLOBAL__N_111calc_igammaIfEET_S1_S1_@rel32@lo+4
	s_addc_u32 s1, s1, _ZN12_GLOBAL__N_111calc_igammaIfEET_S1_S1_@rel32@hi+12
	s_swappc_b64 s[30:31], s[0:1]
	v_mov_b32_e32 v68, v0
	s_cbranch_execz .LBB32_66
	s_branch .LBB32_67
.LBB32_65:
                                        ; implicit-def: $vgpr68
.LBB32_66:
	s_delay_alu instid0(VALU_DEP_1) | instskip(SKIP_3) | instid1(SALU_CYCLE_1)
	v_dual_mov_b32 v0, v40 :: v_dual_mov_b32 v1, v69
	s_getpc_b64 s[0:1]
	s_add_u32 s0, s0, _ZN12_GLOBAL__N_112calc_igammacIfEET_S1_S1_@rel32@lo+4
	s_addc_u32 s1, s1, _ZN12_GLOBAL__N_112calc_igammacIfEET_S1_S1_@rel32@hi+12
	s_swappc_b64 s[30:31], s[0:1]
	v_mov_b32_e32 v68, v0
.LBB32_67:
	s_waitcnt vmcnt(2)
	v_bfe_u32 v0, v70, 16, 1
	v_cmp_o_f32_e32 vcc_lo, v70, v70
	v_lshlrev_b32_e32 v40, 16, v74
	s_delay_alu instid0(VALU_DEP_3) | instskip(NEXT) | instid1(VALU_DEP_1)
	v_add3_u32 v0, v70, v0, 0x7fff
	v_and_b32_e32 v0, 0xffff0000, v0
	s_delay_alu instid0(VALU_DEP_1)
	v_cndmask_b32_e32 v70, 0x7fc00000, v0, vcc_lo
	s_and_b32 vcc_lo, exec_lo, s39
	s_cbranch_vccnz .LBB32_69
; %bb.68:
	s_delay_alu instid0(VALU_DEP_1) | instskip(SKIP_3) | instid1(SALU_CYCLE_1)
	v_dual_mov_b32 v0, v40 :: v_dual_mov_b32 v1, v70
	s_getpc_b64 s[0:1]
	s_add_u32 s0, s0, _ZN12_GLOBAL__N_111calc_igammaIfEET_S1_S1_@rel32@lo+4
	s_addc_u32 s1, s1, _ZN12_GLOBAL__N_111calc_igammaIfEET_S1_S1_@rel32@hi+12
	s_swappc_b64 s[30:31], s[0:1]
	v_mov_b32_e32 v69, v0
	s_cbranch_execz .LBB32_70
	s_branch .LBB32_71
.LBB32_69:
                                        ; implicit-def: $vgpr69
.LBB32_70:
	s_delay_alu instid0(VALU_DEP_1) | instskip(SKIP_3) | instid1(SALU_CYCLE_1)
	v_dual_mov_b32 v0, v40 :: v_dual_mov_b32 v1, v70
	s_getpc_b64 s[0:1]
	s_add_u32 s0, s0, _ZN12_GLOBAL__N_112calc_igammacIfEET_S1_S1_@rel32@lo+4
	s_addc_u32 s1, s1, _ZN12_GLOBAL__N_112calc_igammacIfEET_S1_S1_@rel32@hi+12
	s_swappc_b64 s[30:31], s[0:1]
	v_mov_b32_e32 v69, v0
.LBB32_71:
	v_bfe_u32 v0, v71, 16, 1
	v_cmp_o_f32_e32 vcc_lo, v71, v71
	v_and_b32_e32 v40, 0xffff0000, v74
	s_delay_alu instid0(VALU_DEP_3) | instskip(NEXT) | instid1(VALU_DEP_1)
	v_add3_u32 v0, v71, v0, 0x7fff
	v_and_b32_e32 v0, 0xffff0000, v0
	s_delay_alu instid0(VALU_DEP_1)
	v_cndmask_b32_e32 v71, 0x7fc00000, v0, vcc_lo
	s_and_b32 vcc_lo, exec_lo, s39
	s_cbranch_vccnz .LBB32_73
; %bb.72:
	s_delay_alu instid0(VALU_DEP_1) | instskip(SKIP_3) | instid1(SALU_CYCLE_1)
	v_dual_mov_b32 v0, v40 :: v_dual_mov_b32 v1, v71
	s_getpc_b64 s[0:1]
	s_add_u32 s0, s0, _ZN12_GLOBAL__N_111calc_igammaIfEET_S1_S1_@rel32@lo+4
	s_addc_u32 s1, s1, _ZN12_GLOBAL__N_111calc_igammaIfEET_S1_S1_@rel32@hi+12
	s_swappc_b64 s[30:31], s[0:1]
	v_mov_b32_e32 v70, v0
	s_cbranch_execz .LBB32_74
	s_branch .LBB32_75
.LBB32_73:
                                        ; implicit-def: $vgpr70
.LBB32_74:
	s_delay_alu instid0(VALU_DEP_1) | instskip(SKIP_3) | instid1(SALU_CYCLE_1)
	v_dual_mov_b32 v0, v40 :: v_dual_mov_b32 v1, v71
	s_getpc_b64 s[0:1]
	s_add_u32 s0, s0, _ZN12_GLOBAL__N_112calc_igammacIfEET_S1_S1_@rel32@lo+4
	s_addc_u32 s1, s1, _ZN12_GLOBAL__N_112calc_igammacIfEET_S1_S1_@rel32@hi+12
	s_swappc_b64 s[30:31], s[0:1]
	v_mov_b32_e32 v70, v0
.LBB32_75:
	v_bfe_u32 v0, v72, 16, 1
	v_cmp_o_f32_e32 vcc_lo, v72, v72
	v_lshlrev_b32_e32 v40, 16, v75
	s_delay_alu instid0(VALU_DEP_3) | instskip(NEXT) | instid1(VALU_DEP_1)
	v_add3_u32 v0, v72, v0, 0x7fff
	v_and_b32_e32 v0, 0xffff0000, v0
	s_delay_alu instid0(VALU_DEP_1)
	v_cndmask_b32_e32 v72, 0x7fc00000, v0, vcc_lo
	s_and_b32 vcc_lo, exec_lo, s39
	s_cbranch_vccnz .LBB32_77
; %bb.76:
	v_mov_b32_e32 v0, v40
	s_delay_alu instid0(VALU_DEP_2) | instskip(SKIP_3) | instid1(SALU_CYCLE_1)
	v_mov_b32_e32 v1, v72
	s_getpc_b64 s[0:1]
	s_add_u32 s0, s0, _ZN12_GLOBAL__N_111calc_igammaIfEET_S1_S1_@rel32@lo+4
	s_addc_u32 s1, s1, _ZN12_GLOBAL__N_111calc_igammaIfEET_S1_S1_@rel32@hi+12
	s_swappc_b64 s[30:31], s[0:1]
	v_mov_b32_e32 v71, v0
	s_cbranch_execz .LBB32_78
	s_branch .LBB32_79
.LBB32_77:
                                        ; implicit-def: $vgpr71
.LBB32_78:
	v_mov_b32_e32 v0, v40
	s_delay_alu instid0(VALU_DEP_2) | instskip(SKIP_3) | instid1(SALU_CYCLE_1)
	v_mov_b32_e32 v1, v72
	s_getpc_b64 s[0:1]
	s_add_u32 s0, s0, _ZN12_GLOBAL__N_112calc_igammacIfEET_S1_S1_@rel32@lo+4
	s_addc_u32 s1, s1, _ZN12_GLOBAL__N_112calc_igammacIfEET_S1_S1_@rel32@hi+12
	s_swappc_b64 s[30:31], s[0:1]
	v_mov_b32_e32 v71, v0
.LBB32_79:
	v_bfe_u32 v0, v73, 16, 1
	v_cmp_o_f32_e32 vcc_lo, v73, v73
	v_and_b32_e32 v40, 0xffff0000, v75
	s_delay_alu instid0(VALU_DEP_3) | instskip(NEXT) | instid1(VALU_DEP_1)
	v_add3_u32 v0, v73, v0, 0x7fff
	v_and_b32_e32 v0, 0xffff0000, v0
	s_delay_alu instid0(VALU_DEP_1)
	v_cndmask_b32_e32 v73, 0x7fc00000, v0, vcc_lo
	s_and_b32 vcc_lo, exec_lo, s39
	s_cbranch_vccnz .LBB32_81
; %bb.80:
	s_delay_alu instid0(VALU_DEP_1) | instskip(SKIP_3) | instid1(SALU_CYCLE_1)
	v_dual_mov_b32 v0, v40 :: v_dual_mov_b32 v1, v73
	s_getpc_b64 s[0:1]
	s_add_u32 s0, s0, _ZN12_GLOBAL__N_111calc_igammaIfEET_S1_S1_@rel32@lo+4
	s_addc_u32 s1, s1, _ZN12_GLOBAL__N_111calc_igammaIfEET_S1_S1_@rel32@hi+12
	s_swappc_b64 s[30:31], s[0:1]
	v_mov_b32_e32 v72, v0
	s_cbranch_execz .LBB32_82
	s_branch .LBB32_83
.LBB32_81:
                                        ; implicit-def: $vgpr72
.LBB32_82:
	s_delay_alu instid0(VALU_DEP_1) | instskip(SKIP_3) | instid1(SALU_CYCLE_1)
	v_dual_mov_b32 v0, v40 :: v_dual_mov_b32 v1, v73
	s_getpc_b64 s[0:1]
	s_add_u32 s0, s0, _ZN12_GLOBAL__N_112calc_igammacIfEET_S1_S1_@rel32@lo+4
	s_addc_u32 s1, s1, _ZN12_GLOBAL__N_112calc_igammacIfEET_S1_S1_@rel32@hi+12
	s_swappc_b64 s[30:31], s[0:1]
	v_mov_b32_e32 v72, v0
.LBB32_83:
	v_bfe_u32 v0, v90, 16, 1
	v_cmp_o_f32_e32 vcc_lo, v90, v90
	v_lshlrev_b32_e32 v40, 16, v76
	s_delay_alu instid0(VALU_DEP_3) | instskip(NEXT) | instid1(VALU_DEP_1)
	v_add3_u32 v0, v90, v0, 0x7fff
	v_and_b32_e32 v0, 0xffff0000, v0
	s_delay_alu instid0(VALU_DEP_1)
	v_cndmask_b32_e32 v74, 0x7fc00000, v0, vcc_lo
	s_and_b32 vcc_lo, exec_lo, s39
	s_cbranch_vccnz .LBB32_85
; %bb.84:
	s_delay_alu instid0(VALU_DEP_1) | instskip(SKIP_3) | instid1(SALU_CYCLE_1)
	v_dual_mov_b32 v0, v40 :: v_dual_mov_b32 v1, v74
	s_getpc_b64 s[0:1]
	s_add_u32 s0, s0, _ZN12_GLOBAL__N_111calc_igammaIfEET_S1_S1_@rel32@lo+4
	s_addc_u32 s1, s1, _ZN12_GLOBAL__N_111calc_igammaIfEET_S1_S1_@rel32@hi+12
	s_swappc_b64 s[30:31], s[0:1]
	v_mov_b32_e32 v73, v0
	s_cbranch_execz .LBB32_86
	s_branch .LBB32_87
.LBB32_85:
                                        ; implicit-def: $vgpr73
.LBB32_86:
	s_delay_alu instid0(VALU_DEP_1) | instskip(SKIP_3) | instid1(SALU_CYCLE_1)
	v_dual_mov_b32 v0, v40 :: v_dual_mov_b32 v1, v74
	s_getpc_b64 s[0:1]
	s_add_u32 s0, s0, _ZN12_GLOBAL__N_112calc_igammacIfEET_S1_S1_@rel32@lo+4
	s_addc_u32 s1, s1, _ZN12_GLOBAL__N_112calc_igammacIfEET_S1_S1_@rel32@hi+12
	s_swappc_b64 s[30:31], s[0:1]
	v_mov_b32_e32 v73, v0
.LBB32_87:
	v_bfe_u32 v0, v91, 16, 1
	v_cmp_o_f32_e32 vcc_lo, v91, v91
	v_and_b32_e32 v40, 0xffff0000, v76
	s_delay_alu instid0(VALU_DEP_3) | instskip(NEXT) | instid1(VALU_DEP_1)
	v_add3_u32 v0, v91, v0, 0x7fff
	v_and_b32_e32 v0, 0xffff0000, v0
	s_delay_alu instid0(VALU_DEP_1)
	v_cndmask_b32_e32 v75, 0x7fc00000, v0, vcc_lo
	s_and_b32 vcc_lo, exec_lo, s39
	s_cbranch_vccnz .LBB32_89
; %bb.88:
	s_delay_alu instid0(VALU_DEP_1) | instskip(SKIP_3) | instid1(SALU_CYCLE_1)
	v_dual_mov_b32 v0, v40 :: v_dual_mov_b32 v1, v75
	s_getpc_b64 s[0:1]
	s_add_u32 s0, s0, _ZN12_GLOBAL__N_111calc_igammaIfEET_S1_S1_@rel32@lo+4
	s_addc_u32 s1, s1, _ZN12_GLOBAL__N_111calc_igammaIfEET_S1_S1_@rel32@hi+12
	s_swappc_b64 s[30:31], s[0:1]
	v_mov_b32_e32 v74, v0
	s_cbranch_execz .LBB32_90
	s_branch .LBB32_91
.LBB32_89:
                                        ; implicit-def: $vgpr74
.LBB32_90:
	s_delay_alu instid0(VALU_DEP_1) | instskip(SKIP_3) | instid1(SALU_CYCLE_1)
	v_dual_mov_b32 v0, v40 :: v_dual_mov_b32 v1, v75
	s_getpc_b64 s[0:1]
	s_add_u32 s0, s0, _ZN12_GLOBAL__N_112calc_igammacIfEET_S1_S1_@rel32@lo+4
	s_addc_u32 s1, s1, _ZN12_GLOBAL__N_112calc_igammacIfEET_S1_S1_@rel32@hi+12
	s_swappc_b64 s[30:31], s[0:1]
	v_mov_b32_e32 v74, v0
.LBB32_91:
	v_bfe_u32 v0, v92, 16, 1
	v_cmp_o_f32_e32 vcc_lo, v92, v92
	v_lshlrev_b32_e32 v40, 16, v77
	s_delay_alu instid0(VALU_DEP_3) | instskip(NEXT) | instid1(VALU_DEP_1)
	v_add3_u32 v0, v92, v0, 0x7fff
	v_and_b32_e32 v0, 0xffff0000, v0
	s_delay_alu instid0(VALU_DEP_1)
	v_cndmask_b32_e32 v76, 0x7fc00000, v0, vcc_lo
	s_and_b32 vcc_lo, exec_lo, s39
	s_cbranch_vccnz .LBB32_93
; %bb.92:
	v_mov_b32_e32 v0, v40
	s_delay_alu instid0(VALU_DEP_2) | instskip(SKIP_3) | instid1(SALU_CYCLE_1)
	v_mov_b32_e32 v1, v76
	s_getpc_b64 s[0:1]
	s_add_u32 s0, s0, _ZN12_GLOBAL__N_111calc_igammaIfEET_S1_S1_@rel32@lo+4
	s_addc_u32 s1, s1, _ZN12_GLOBAL__N_111calc_igammaIfEET_S1_S1_@rel32@hi+12
	s_swappc_b64 s[30:31], s[0:1]
	v_mov_b32_e32 v75, v0
	s_cbranch_execz .LBB32_94
	s_branch .LBB32_95
.LBB32_93:
                                        ; implicit-def: $vgpr75
.LBB32_94:
	v_mov_b32_e32 v0, v40
	s_delay_alu instid0(VALU_DEP_2) | instskip(SKIP_3) | instid1(SALU_CYCLE_1)
	v_mov_b32_e32 v1, v76
	s_getpc_b64 s[0:1]
	s_add_u32 s0, s0, _ZN12_GLOBAL__N_112calc_igammacIfEET_S1_S1_@rel32@lo+4
	s_addc_u32 s1, s1, _ZN12_GLOBAL__N_112calc_igammacIfEET_S1_S1_@rel32@hi+12
	s_swappc_b64 s[30:31], s[0:1]
	v_mov_b32_e32 v75, v0
.LBB32_95:
	v_bfe_u32 v0, v93, 16, 1
	v_cmp_o_f32_e32 vcc_lo, v93, v93
	v_and_b32_e32 v40, 0xffff0000, v77
	s_delay_alu instid0(VALU_DEP_3) | instskip(NEXT) | instid1(VALU_DEP_1)
	v_add3_u32 v0, v93, v0, 0x7fff
	v_and_b32_e32 v0, 0xffff0000, v0
	s_delay_alu instid0(VALU_DEP_1)
	v_cndmask_b32_e32 v77, 0x7fc00000, v0, vcc_lo
	s_and_b32 vcc_lo, exec_lo, s39
	s_cbranch_vccnz .LBB32_97
; %bb.96:
	s_delay_alu instid0(VALU_DEP_1) | instskip(SKIP_3) | instid1(SALU_CYCLE_1)
	v_dual_mov_b32 v0, v40 :: v_dual_mov_b32 v1, v77
	s_getpc_b64 s[0:1]
	s_add_u32 s0, s0, _ZN12_GLOBAL__N_111calc_igammaIfEET_S1_S1_@rel32@lo+4
	s_addc_u32 s1, s1, _ZN12_GLOBAL__N_111calc_igammaIfEET_S1_S1_@rel32@hi+12
	s_swappc_b64 s[30:31], s[0:1]
	v_mov_b32_e32 v76, v0
	s_cbranch_execz .LBB32_98
	s_branch .LBB32_99
.LBB32_97:
                                        ; implicit-def: $vgpr76
.LBB32_98:
	s_delay_alu instid0(VALU_DEP_1) | instskip(SKIP_3) | instid1(SALU_CYCLE_1)
	v_dual_mov_b32 v0, v40 :: v_dual_mov_b32 v1, v77
	s_getpc_b64 s[0:1]
	s_add_u32 s0, s0, _ZN12_GLOBAL__N_112calc_igammacIfEET_S1_S1_@rel32@lo+4
	s_addc_u32 s1, s1, _ZN12_GLOBAL__N_112calc_igammacIfEET_S1_S1_@rel32@hi+12
	s_swappc_b64 s[30:31], s[0:1]
	v_mov_b32_e32 v76, v0
.LBB32_99:
	s_waitcnt vmcnt(1)
	v_bfe_u32 v0, v78, 16, 1
	v_cmp_o_f32_e32 vcc_lo, v78, v78
	v_lshlrev_b32_e32 v40, 16, v82
	s_delay_alu instid0(VALU_DEP_3) | instskip(NEXT) | instid1(VALU_DEP_1)
	v_add3_u32 v0, v78, v0, 0x7fff
	v_and_b32_e32 v0, 0xffff0000, v0
	s_delay_alu instid0(VALU_DEP_1)
	v_cndmask_b32_e32 v78, 0x7fc00000, v0, vcc_lo
	s_and_b32 vcc_lo, exec_lo, s39
	s_cbranch_vccnz .LBB32_101
; %bb.100:
	s_delay_alu instid0(VALU_DEP_1) | instskip(SKIP_3) | instid1(SALU_CYCLE_1)
	v_dual_mov_b32 v0, v40 :: v_dual_mov_b32 v1, v78
	s_getpc_b64 s[0:1]
	s_add_u32 s0, s0, _ZN12_GLOBAL__N_111calc_igammaIfEET_S1_S1_@rel32@lo+4
	s_addc_u32 s1, s1, _ZN12_GLOBAL__N_111calc_igammaIfEET_S1_S1_@rel32@hi+12
	s_swappc_b64 s[30:31], s[0:1]
	v_mov_b32_e32 v77, v0
	s_cbranch_execz .LBB32_102
	s_branch .LBB32_103
.LBB32_101:
                                        ; implicit-def: $vgpr77
.LBB32_102:
	s_delay_alu instid0(VALU_DEP_1) | instskip(SKIP_3) | instid1(SALU_CYCLE_1)
	v_dual_mov_b32 v0, v40 :: v_dual_mov_b32 v1, v78
	s_getpc_b64 s[0:1]
	s_add_u32 s0, s0, _ZN12_GLOBAL__N_112calc_igammacIfEET_S1_S1_@rel32@lo+4
	s_addc_u32 s1, s1, _ZN12_GLOBAL__N_112calc_igammacIfEET_S1_S1_@rel32@hi+12
	s_swappc_b64 s[30:31], s[0:1]
	v_mov_b32_e32 v77, v0
.LBB32_103:
	v_bfe_u32 v0, v79, 16, 1
	v_cmp_o_f32_e32 vcc_lo, v79, v79
	v_and_b32_e32 v40, 0xffff0000, v82
	s_delay_alu instid0(VALU_DEP_3) | instskip(NEXT) | instid1(VALU_DEP_1)
	v_add3_u32 v0, v79, v0, 0x7fff
	v_and_b32_e32 v0, 0xffff0000, v0
	s_delay_alu instid0(VALU_DEP_1)
	v_cndmask_b32_e32 v79, 0x7fc00000, v0, vcc_lo
	s_and_b32 vcc_lo, exec_lo, s39
	s_cbranch_vccnz .LBB32_105
; %bb.104:
	s_delay_alu instid0(VALU_DEP_1) | instskip(SKIP_3) | instid1(SALU_CYCLE_1)
	v_dual_mov_b32 v0, v40 :: v_dual_mov_b32 v1, v79
	s_getpc_b64 s[0:1]
	s_add_u32 s0, s0, _ZN12_GLOBAL__N_111calc_igammaIfEET_S1_S1_@rel32@lo+4
	s_addc_u32 s1, s1, _ZN12_GLOBAL__N_111calc_igammaIfEET_S1_S1_@rel32@hi+12
	s_swappc_b64 s[30:31], s[0:1]
	v_mov_b32_e32 v78, v0
	s_cbranch_execz .LBB32_106
	s_branch .LBB32_107
.LBB32_105:
                                        ; implicit-def: $vgpr78
.LBB32_106:
	s_delay_alu instid0(VALU_DEP_1) | instskip(SKIP_3) | instid1(SALU_CYCLE_1)
	v_dual_mov_b32 v0, v40 :: v_dual_mov_b32 v1, v79
	s_getpc_b64 s[0:1]
	s_add_u32 s0, s0, _ZN12_GLOBAL__N_112calc_igammacIfEET_S1_S1_@rel32@lo+4
	s_addc_u32 s1, s1, _ZN12_GLOBAL__N_112calc_igammacIfEET_S1_S1_@rel32@hi+12
	s_swappc_b64 s[30:31], s[0:1]
	v_mov_b32_e32 v78, v0
.LBB32_107:
	v_bfe_u32 v0, v80, 16, 1
	v_cmp_o_f32_e32 vcc_lo, v80, v80
	v_lshlrev_b32_e32 v40, 16, v83
	s_delay_alu instid0(VALU_DEP_3) | instskip(NEXT) | instid1(VALU_DEP_1)
	v_add3_u32 v0, v80, v0, 0x7fff
	v_and_b32_e32 v0, 0xffff0000, v0
	s_delay_alu instid0(VALU_DEP_1)
	v_cndmask_b32_e32 v80, 0x7fc00000, v0, vcc_lo
	s_and_b32 vcc_lo, exec_lo, s39
	s_cbranch_vccnz .LBB32_109
; %bb.108:
	v_mov_b32_e32 v0, v40
	s_delay_alu instid0(VALU_DEP_2) | instskip(SKIP_3) | instid1(SALU_CYCLE_1)
	v_mov_b32_e32 v1, v80
	s_getpc_b64 s[0:1]
	s_add_u32 s0, s0, _ZN12_GLOBAL__N_111calc_igammaIfEET_S1_S1_@rel32@lo+4
	s_addc_u32 s1, s1, _ZN12_GLOBAL__N_111calc_igammaIfEET_S1_S1_@rel32@hi+12
	s_swappc_b64 s[30:31], s[0:1]
	v_mov_b32_e32 v79, v0
	s_cbranch_execz .LBB32_110
	s_branch .LBB32_111
.LBB32_109:
                                        ; implicit-def: $vgpr79
.LBB32_110:
	v_mov_b32_e32 v0, v40
	s_delay_alu instid0(VALU_DEP_2) | instskip(SKIP_3) | instid1(SALU_CYCLE_1)
	v_mov_b32_e32 v1, v80
	s_getpc_b64 s[0:1]
	s_add_u32 s0, s0, _ZN12_GLOBAL__N_112calc_igammacIfEET_S1_S1_@rel32@lo+4
	s_addc_u32 s1, s1, _ZN12_GLOBAL__N_112calc_igammacIfEET_S1_S1_@rel32@hi+12
	s_swappc_b64 s[30:31], s[0:1]
	v_mov_b32_e32 v79, v0
.LBB32_111:
	v_bfe_u32 v0, v81, 16, 1
	v_cmp_o_f32_e32 vcc_lo, v81, v81
	v_and_b32_e32 v40, 0xffff0000, v83
	s_delay_alu instid0(VALU_DEP_3) | instskip(NEXT) | instid1(VALU_DEP_1)
	v_add3_u32 v0, v81, v0, 0x7fff
	v_and_b32_e32 v0, 0xffff0000, v0
	s_delay_alu instid0(VALU_DEP_1)
	v_cndmask_b32_e32 v81, 0x7fc00000, v0, vcc_lo
	s_and_b32 vcc_lo, exec_lo, s39
	s_cbranch_vccnz .LBB32_113
; %bb.112:
	s_delay_alu instid0(VALU_DEP_1) | instskip(SKIP_3) | instid1(SALU_CYCLE_1)
	v_dual_mov_b32 v0, v40 :: v_dual_mov_b32 v1, v81
	s_getpc_b64 s[0:1]
	s_add_u32 s0, s0, _ZN12_GLOBAL__N_111calc_igammaIfEET_S1_S1_@rel32@lo+4
	s_addc_u32 s1, s1, _ZN12_GLOBAL__N_111calc_igammaIfEET_S1_S1_@rel32@hi+12
	s_swappc_b64 s[30:31], s[0:1]
	v_mov_b32_e32 v80, v0
	s_cbranch_execz .LBB32_114
	s_branch .LBB32_115
.LBB32_113:
                                        ; implicit-def: $vgpr80
.LBB32_114:
	s_delay_alu instid0(VALU_DEP_1) | instskip(SKIP_3) | instid1(SALU_CYCLE_1)
	v_dual_mov_b32 v0, v40 :: v_dual_mov_b32 v1, v81
	s_getpc_b64 s[0:1]
	s_add_u32 s0, s0, _ZN12_GLOBAL__N_112calc_igammacIfEET_S1_S1_@rel32@lo+4
	s_addc_u32 s1, s1, _ZN12_GLOBAL__N_112calc_igammacIfEET_S1_S1_@rel32@hi+12
	s_swappc_b64 s[30:31], s[0:1]
	v_mov_b32_e32 v80, v0
.LBB32_115:
	s_waitcnt vmcnt(0)
	v_bfe_u32 v0, v86, 16, 1
	v_cmp_o_f32_e32 vcc_lo, v86, v86
	v_lshlrev_b32_e32 v40, 16, v84
	s_delay_alu instid0(VALU_DEP_3) | instskip(NEXT) | instid1(VALU_DEP_1)
	v_add3_u32 v0, v86, v0, 0x7fff
	v_and_b32_e32 v0, 0xffff0000, v0
	s_delay_alu instid0(VALU_DEP_1)
	v_cndmask_b32_e32 v82, 0x7fc00000, v0, vcc_lo
	s_and_b32 vcc_lo, exec_lo, s39
	s_cbranch_vccnz .LBB32_117
; %bb.116:
	s_delay_alu instid0(VALU_DEP_1) | instskip(SKIP_3) | instid1(SALU_CYCLE_1)
	v_dual_mov_b32 v0, v40 :: v_dual_mov_b32 v1, v82
	s_getpc_b64 s[0:1]
	s_add_u32 s0, s0, _ZN12_GLOBAL__N_111calc_igammaIfEET_S1_S1_@rel32@lo+4
	s_addc_u32 s1, s1, _ZN12_GLOBAL__N_111calc_igammaIfEET_S1_S1_@rel32@hi+12
	s_swappc_b64 s[30:31], s[0:1]
	v_mov_b32_e32 v81, v0
	s_cbranch_execz .LBB32_118
	s_branch .LBB32_119
.LBB32_117:
                                        ; implicit-def: $vgpr81
.LBB32_118:
	s_delay_alu instid0(VALU_DEP_1) | instskip(SKIP_3) | instid1(SALU_CYCLE_1)
	v_dual_mov_b32 v0, v40 :: v_dual_mov_b32 v1, v82
	s_getpc_b64 s[0:1]
	s_add_u32 s0, s0, _ZN12_GLOBAL__N_112calc_igammacIfEET_S1_S1_@rel32@lo+4
	s_addc_u32 s1, s1, _ZN12_GLOBAL__N_112calc_igammacIfEET_S1_S1_@rel32@hi+12
	s_swappc_b64 s[30:31], s[0:1]
	v_mov_b32_e32 v81, v0
.LBB32_119:
	v_bfe_u32 v0, v87, 16, 1
	v_cmp_o_f32_e32 vcc_lo, v87, v87
	v_and_b32_e32 v40, 0xffff0000, v84
	s_delay_alu instid0(VALU_DEP_3) | instskip(NEXT) | instid1(VALU_DEP_1)
	v_add3_u32 v0, v87, v0, 0x7fff
	v_and_b32_e32 v0, 0xffff0000, v0
	s_delay_alu instid0(VALU_DEP_1)
	v_cndmask_b32_e32 v83, 0x7fc00000, v0, vcc_lo
	s_and_b32 vcc_lo, exec_lo, s39
	s_cbranch_vccnz .LBB32_121
; %bb.120:
	s_delay_alu instid0(VALU_DEP_1) | instskip(SKIP_3) | instid1(SALU_CYCLE_1)
	v_dual_mov_b32 v0, v40 :: v_dual_mov_b32 v1, v83
	s_getpc_b64 s[0:1]
	s_add_u32 s0, s0, _ZN12_GLOBAL__N_111calc_igammaIfEET_S1_S1_@rel32@lo+4
	s_addc_u32 s1, s1, _ZN12_GLOBAL__N_111calc_igammaIfEET_S1_S1_@rel32@hi+12
	s_swappc_b64 s[30:31], s[0:1]
	v_mov_b32_e32 v82, v0
	s_cbranch_execz .LBB32_122
	s_branch .LBB32_123
.LBB32_121:
                                        ; implicit-def: $vgpr82
.LBB32_122:
	s_delay_alu instid0(VALU_DEP_1) | instskip(SKIP_3) | instid1(SALU_CYCLE_1)
	v_dual_mov_b32 v0, v40 :: v_dual_mov_b32 v1, v83
	s_getpc_b64 s[0:1]
	s_add_u32 s0, s0, _ZN12_GLOBAL__N_112calc_igammacIfEET_S1_S1_@rel32@lo+4
	s_addc_u32 s1, s1, _ZN12_GLOBAL__N_112calc_igammacIfEET_S1_S1_@rel32@hi+12
	s_swappc_b64 s[30:31], s[0:1]
	v_mov_b32_e32 v82, v0
.LBB32_123:
	v_bfe_u32 v0, v88, 16, 1
	v_cmp_o_f32_e32 vcc_lo, v88, v88
	v_lshlrev_b32_e32 v40, 16, v85
	s_delay_alu instid0(VALU_DEP_3) | instskip(NEXT) | instid1(VALU_DEP_1)
	v_add3_u32 v0, v88, v0, 0x7fff
	v_and_b32_e32 v0, 0xffff0000, v0
	s_delay_alu instid0(VALU_DEP_1)
	v_cndmask_b32_e32 v84, 0x7fc00000, v0, vcc_lo
	s_and_b32 vcc_lo, exec_lo, s39
	s_cbranch_vccnz .LBB32_125
; %bb.124:
	v_mov_b32_e32 v0, v40
	s_delay_alu instid0(VALU_DEP_2) | instskip(SKIP_3) | instid1(SALU_CYCLE_1)
	v_mov_b32_e32 v1, v84
	s_getpc_b64 s[0:1]
	s_add_u32 s0, s0, _ZN12_GLOBAL__N_111calc_igammaIfEET_S1_S1_@rel32@lo+4
	s_addc_u32 s1, s1, _ZN12_GLOBAL__N_111calc_igammaIfEET_S1_S1_@rel32@hi+12
	s_swappc_b64 s[30:31], s[0:1]
	v_mov_b32_e32 v83, v0
	s_cbranch_execz .LBB32_126
	s_branch .LBB32_127
.LBB32_125:
                                        ; implicit-def: $vgpr83
.LBB32_126:
	v_mov_b32_e32 v0, v40
	s_delay_alu instid0(VALU_DEP_2) | instskip(SKIP_3) | instid1(SALU_CYCLE_1)
	v_mov_b32_e32 v1, v84
	s_getpc_b64 s[0:1]
	s_add_u32 s0, s0, _ZN12_GLOBAL__N_112calc_igammacIfEET_S1_S1_@rel32@lo+4
	s_addc_u32 s1, s1, _ZN12_GLOBAL__N_112calc_igammacIfEET_S1_S1_@rel32@hi+12
	s_swappc_b64 s[30:31], s[0:1]
	v_mov_b32_e32 v83, v0
.LBB32_127:
	v_bfe_u32 v0, v89, 16, 1
	v_cmp_o_f32_e32 vcc_lo, v89, v89
	v_and_b32_e32 v40, 0xffff0000, v85
	s_delay_alu instid0(VALU_DEP_3) | instskip(NEXT) | instid1(VALU_DEP_1)
	v_add3_u32 v0, v89, v0, 0x7fff
	v_and_b32_e32 v0, 0xffff0000, v0
	s_delay_alu instid0(VALU_DEP_1)
	v_cndmask_b32_e32 v84, 0x7fc00000, v0, vcc_lo
	s_and_b32 vcc_lo, exec_lo, s39
	s_cbranch_vccnz .LBB32_129
; %bb.128:
	v_mov_b32_e32 v0, v40
	s_delay_alu instid0(VALU_DEP_2) | instskip(SKIP_3) | instid1(SALU_CYCLE_1)
	v_mov_b32_e32 v1, v84
	s_getpc_b64 s[0:1]
	s_add_u32 s0, s0, _ZN12_GLOBAL__N_111calc_igammaIfEET_S1_S1_@rel32@lo+4
	s_addc_u32 s1, s1, _ZN12_GLOBAL__N_111calc_igammaIfEET_S1_S1_@rel32@hi+12
	s_swappc_b64 s[30:31], s[0:1]
	s_cbranch_execz .LBB32_130
	s_branch .LBB32_131
.LBB32_129:
                                        ; implicit-def: $vgpr0
.LBB32_130:
	v_mov_b32_e32 v0, v40
	s_delay_alu instid0(VALU_DEP_2) | instskip(SKIP_3) | instid1(SALU_CYCLE_1)
	v_mov_b32_e32 v1, v84
	s_getpc_b64 s[0:1]
	s_add_u32 s0, s0, _ZN12_GLOBAL__N_112calc_igammacIfEET_S1_S1_@rel32@lo+4
	s_addc_u32 s1, s1, _ZN12_GLOBAL__N_112calc_igammacIfEET_S1_S1_@rel32@hi+12
	s_swappc_b64 s[30:31], s[0:1]
.LBB32_131:
	v_bfe_u32 v1, v43, 16, 1
	v_bfe_u32 v2, v44, 16, 1
	;; [unrolled: 1-line block ×3, first 2 shown]
	v_cmp_o_f32_e32 vcc_lo, v43, v43
	v_bfe_u32 v4, v46, 16, 1
	v_add3_u32 v1, v43, v1, 0x7fff
	v_add3_u32 v2, v44, v2, 0x7fff
	v_add3_u32 v3, v45, v3, 0x7fff
	v_bfe_u32 v5, v47, 16, 1
	v_add3_u32 v4, v46, v4, 0x7fff
	v_lshrrev_b32_e32 v1, 16, v1
	v_lshrrev_b32_e32 v2, 16, v2
	v_bfe_u32 v6, v56, 16, 1
	v_add3_u32 v5, v47, v5, 0x7fff
	v_bfe_u32 v8, v58, 16, 1
	v_cndmask_b32_e32 v1, 0x7fc0, v1, vcc_lo
	v_cmp_o_f32_e32 vcc_lo, v44, v44
	v_bfe_u32 v10, v60, 16, 1
	v_lshrrev_b32_e32 v5, 16, v5
	v_add3_u32 v8, v58, v8, 0x7fff
	v_bfe_u32 v12, v67, 16, 1
	v_cndmask_b32_e32 v7, 0x7fc0, v2, vcc_lo
	v_lshrrev_b32_e32 v2, 16, v3
	v_cmp_o_f32_e32 vcc_lo, v45, v45
	v_lshrrev_b32_e32 v3, 16, v4
	v_add3_u32 v4, v56, v6, 0x7fff
	v_bfe_u32 v6, v57, 16, 1
	v_lshrrev_b32_e32 v8, 16, v8
	v_cndmask_b32_e32 v2, 0x7fc0, v2, vcc_lo
	v_cmp_o_f32_e32 vcc_lo, v47, v47
	v_lshrrev_b32_e32 v4, 16, v4
	v_add3_u32 v6, v57, v6, 0x7fff
	v_perm_b32 v1, v7, v1, 0x5040100
	v_bfe_u32 v7, v62, 16, 1
	v_cndmask_b32_e32 v5, 0x7fc0, v5, vcc_lo
	v_cmp_o_f32_e32 vcc_lo, v56, v56
	v_lshrrev_b32_e32 v6, 16, v6
	v_add3_u32 v12, v67, v12, 0x7fff
	s_add_u32 s0, s40, s46
	s_addc_u32 s1, s41, s47
	v_cndmask_b32_e32 v9, 0x7fc0, v4, vcc_lo
	v_cmp_o_f32_e32 vcc_lo, v57, v57
	v_add_co_u32 v19, s2, s0, v102
	s_delay_alu instid0(VALU_DEP_1)
	v_add_co_ci_u32_e64 v20, null, s1, 0, s2
	v_cndmask_b32_e32 v4, 0x7fc0, v6, vcc_lo
	v_cmp_o_f32_e32 vcc_lo, v58, v58
	v_bfe_u32 v14, v73, 16, 1
	v_bfe_u32 v16, v75, 16, 1
	v_bfe_u32 v15, v76, 16, 1
	v_bfe_u32 v22, v77, 16, 1
	v_cndmask_b32_e32 v6, 0x7fc0, v8, vcc_lo
	v_bfe_u32 v8, v59, 16, 1
	v_cmp_o_f32_e32 vcc_lo, v46, v46
	v_add3_u32 v14, v73, v14, 0x7fff
	v_add3_u32 v16, v75, v16, 0x7fff
	v_perm_b32 v4, v6, v4, 0x5040100
	v_add3_u32 v6, v60, v10, 0x7fff
	v_cndmask_b32_e32 v11, 0x7fc0, v3, vcc_lo
	v_perm_b32 v3, v9, v5, 0x5040100
	v_add3_u32 v5, v59, v8, 0x7fff
	v_bfe_u32 v8, v61, 16, 1
	v_cmp_o_f32_e32 vcc_lo, v59, v59
	v_lshrrev_b32_e32 v6, 16, v6
	v_bfe_u32 v10, v63, 16, 1
	v_lshrrev_b32_e32 v5, 16, v5
	v_add3_u32 v8, v61, v8, 0x7fff
	v_perm_b32 v2, v11, v2, 0x5040100
	v_bfe_u32 v11, v68, 16, 1
	v_add3_u32 v10, v63, v10, 0x7fff
	v_cndmask_b32_e32 v5, 0x7fc0, v5, vcc_lo
	v_cmp_o_f32_e32 vcc_lo, v60, v60
	v_add3_u32 v15, v76, v15, 0x7fff
	v_add3_u32 v11, v68, v11, 0x7fff
	v_bfe_u32 v23, v82, 16, 1
	v_bfe_u32 v24, v83, 16, 1
	v_cndmask_b32_e32 v9, 0x7fc0, v6, vcc_lo
	v_add3_u32 v6, v62, v7, 0x7fff
	v_lshrrev_b32_e32 v7, 16, v8
	v_cmp_o_f32_e32 vcc_lo, v61, v61
	v_bfe_u32 v8, v66, 16, 1
	v_lshrrev_b32_e32 v11, 16, v11
	v_lshrrev_b32_e32 v6, 16, v6
	v_perm_b32 v5, v9, v5, 0x5040100
	v_cndmask_b32_e32 v13, 0x7fc0, v7, vcc_lo
	v_lshrrev_b32_e32 v7, 16, v10
	v_cmp_o_f32_e32 vcc_lo, v63, v63
	v_lshrrev_b32_e32 v10, 16, v12
	v_add3_u32 v8, v66, v8, 0x7fff
	v_lshrrev_b32_e32 v15, 16, v15
	v_bfe_u32 v25, v0, 16, 1
	v_cndmask_b32_e32 v7, 0x7fc0, v7, vcc_lo
	v_cmp_o_f32_e32 vcc_lo, v67, v67
	v_lshrrev_b32_e32 v8, 16, v8
	v_add3_u32 v24, v83, v24, 0x7fff
	v_cndmask_b32_e32 v10, 0x7fc0, v10, vcc_lo
	v_cmp_o_f32_e32 vcc_lo, v68, v68
	v_cndmask_b32_e32 v11, 0x7fc0, v11, vcc_lo
	v_cmp_o_f32_e32 vcc_lo, v66, v66
	v_cndmask_b32_e32 v12, 0x7fc0, v8, vcc_lo
	s_delay_alu instid0(VALU_DEP_3)
	v_perm_b32 v8, v11, v10, 0x5040100
	v_bfe_u32 v10, v70, 16, 1
	v_bfe_u32 v11, v69, 16, 1
	v_cmp_o_f32_e32 vcc_lo, v62, v62
	v_perm_b32 v7, v12, v7, 0x5040100
	v_bfe_u32 v12, v72, 16, 1
	v_add3_u32 v9, v70, v10, 0x7fff
	v_add3_u32 v10, v69, v11, 0x7fff
	v_cndmask_b32_e32 v6, 0x7fc0, v6, vcc_lo
	v_add_co_u32 v17, vcc_lo, 0x2000, v19
	v_add_co_ci_u32_e32 v18, vcc_lo, 0, v20, vcc_lo
	v_bfe_u32 v11, v71, 16, 1
	v_lshrrev_b32_e32 v10, 16, v10
	v_cmp_o_f32_e32 vcc_lo, v69, v69
	v_perm_b32 v6, v6, v13, 0x5040100
	v_lshrrev_b32_e32 v9, 16, v9
	v_add3_u32 v11, v71, v11, 0x7fff
	v_cndmask_b32_e32 v13, 0x7fc0, v10, vcc_lo
	v_cmp_o_f32_e32 vcc_lo, v70, v70
	v_add3_u32 v10, v72, v12, 0x7fff
	s_delay_alu instid0(VALU_DEP_4) | instskip(SKIP_4) | instid1(VALU_DEP_4)
	v_lshrrev_b32_e32 v11, 16, v11
	v_bfe_u32 v12, v74, 16, 1
	v_cndmask_b32_e32 v9, 0x7fc0, v9, vcc_lo
	v_cmp_o_f32_e32 vcc_lo, v71, v71
	v_lshrrev_b32_e32 v10, 16, v10
	v_add3_u32 v12, v74, v12, 0x7fff
	s_delay_alu instid0(VALU_DEP_4)
	v_perm_b32 v9, v9, v13, 0x5040100
	v_cndmask_b32_e32 v21, 0x7fc0, v11, vcc_lo
	v_lshrrev_b32_e32 v11, 16, v14
	v_cmp_o_f32_e32 vcc_lo, v73, v73
	v_lshrrev_b32_e32 v14, 16, v16
	v_lshrrev_b32_e32 v12, 16, v12
	s_delay_alu instid0(VALU_DEP_4) | instskip(SKIP_1) | instid1(VALU_DEP_4)
	v_cndmask_b32_e32 v11, 0x7fc0, v11, vcc_lo
	v_cmp_o_f32_e32 vcc_lo, v75, v75
	v_cndmask_b32_e32 v14, 0x7fc0, v14, vcc_lo
	v_cmp_o_f32_e32 vcc_lo, v76, v76
	;; [unrolled: 2-line block ×4, first 2 shown]
	s_delay_alu instid0(VALU_DEP_4)
	v_perm_b32 v12, v15, v14, 0x5040100
	v_add3_u32 v15, v77, v22, 0x7fff
	v_bfe_u32 v22, v80, 16, 1
	v_perm_b32 v11, v16, v11, 0x5040100
	v_cndmask_b32_e32 v10, 0x7fc0, v10, vcc_lo
	v_bfe_u32 v16, v79, 16, 1
	v_lshrrev_b32_e32 v15, 16, v15
	v_cmp_o_f32_e32 vcc_lo, v77, v77
	v_bfe_u32 v14, v78, 16, 1
	v_perm_b32 v10, v10, v21, 0x5040100
	v_add3_u32 v16, v79, v16, 0x7fff
	v_add3_u32 v21, v80, v22, 0x7fff
	v_cndmask_b32_e32 v22, 0x7fc0, v15, vcc_lo
	v_cmp_o_f32_e32 vcc_lo, v79, v79
	v_add3_u32 v14, v78, v14, 0x7fff
	v_lshrrev_b32_e32 v15, 16, v16
	v_lshrrev_b32_e32 v16, 16, v21
	v_bfe_u32 v21, v81, 16, 1
	s_delay_alu instid0(VALU_DEP_4) | instskip(NEXT) | instid1(VALU_DEP_4)
	v_lshrrev_b32_e32 v14, 16, v14
	v_cndmask_b32_e32 v26, 0x7fc0, v15, vcc_lo
	v_cmp_o_f32_e32 vcc_lo, v80, v80
	s_delay_alu instid0(VALU_DEP_4) | instskip(SKIP_3) | instid1(VALU_DEP_4)
	v_add3_u32 v21, v81, v21, 0x7fff
	v_add3_u32 v15, v82, v23, 0x7fff
	;; [unrolled: 1-line block ×3, first 2 shown]
	v_cndmask_b32_e32 v25, 0x7fc0, v16, vcc_lo
	v_lshrrev_b32_e32 v16, 16, v21
	v_cmp_o_f32_e32 vcc_lo, v81, v81
	v_lshrrev_b32_e32 v21, 16, v24
	v_lshrrev_b32_e32 v23, 16, v23
	;; [unrolled: 1-line block ×3, first 2 shown]
	v_cndmask_b32_e32 v24, 0x7fc0, v16, vcc_lo
	v_cmp_o_f32_e32 vcc_lo, v83, v83
	v_cndmask_b32_e32 v16, 0x7fc0, v21, vcc_lo
	v_cmp_o_f32_e32 vcc_lo, v0, v0
	;; [unrolled: 2-line block ×3, first 2 shown]
	s_delay_alu instid0(VALU_DEP_2) | instskip(SKIP_2) | instid1(VALU_DEP_2)
	v_perm_b32 v16, v0, v16, 0x5040100
	v_cndmask_b32_e32 v15, 0x7fc0, v15, vcc_lo
	v_cmp_o_f32_e32 vcc_lo, v78, v78
	v_perm_b32 v15, v15, v24, 0x5040100
	v_cndmask_b32_e32 v21, 0x7fc0, v14, vcc_lo
	v_add_co_u32 v19, vcc_lo, 0x6000, v19
	v_perm_b32 v14, v25, v26, 0x5040100
	v_add_co_ci_u32_e32 v20, vcc_lo, 0, v20, vcc_lo
	s_delay_alu instid0(VALU_DEP_4)
	v_perm_b32 v13, v21, v22, 0x5040100
	s_clause 0x3
	global_store_b128 v102, v[1:4], s[0:1]
	global_store_b128 v103, v[9:12], s[0:1]
	global_store_b128 v[17:18], v[5:8], off
	global_store_b128 v[19:20], v[13:16], off
	s_branch .LBB32_2
.LBB32_132:
	s_clause 0x1
	s_load_b32 s6, s[36:37], 0x24
	s_load_b128 s[0:3], s[36:37], 0x28
	v_cndmask_b32_e64 v0, 0, 1, s49
	v_dual_mov_b32 v31, v42 :: v_dual_mov_b32 v2, s41
	v_dual_mov_b32 v1, s40 :: v_dual_mov_b32 v4, s43
	;; [unrolled: 1-line block ×3, first 2 shown]
	v_mov_b32_e32 v5, s44
	v_mov_b32_e32 v7, s48
	s_add_u32 s8, s36, 56
	s_addc_u32 s9, s37, 0
	s_mov_b32 s12, s38
	s_getpc_b64 s[4:5]
	s_add_u32 s4, s4, _ZN2at6native25elementwise_kernel_helperILb1EN12_GLOBAL__N_110CalcIgammaIfEENS0_6memory8policies11unroll_baseILi512ESt5arrayIPcLm3EE23TrivialOffsetCalculatorILi2EjESB_ILi1EjENS5_12LoadWithCastILi2EEENS5_13StoreWithCastILi1EEELi32ELi1EEEEEvT0_T1_@rel32@lo+4
	s_addc_u32 s5, s5, _ZN2at6native25elementwise_kernel_helperILb1EN12_GLOBAL__N_110CalcIgammaIfEENS0_6memory8policies11unroll_baseILi512ESt5arrayIPcLm3EE23TrivialOffsetCalculatorILi2EjESB_ILi1EjENS5_12LoadWithCastILi2EEENS5_13StoreWithCastILi1EEELi32ELi1EEEEEvT0_T1_@rel32@hi+12
	s_waitcnt lgkmcnt(0)
	v_lshrrev_b16 v9, 8, s6
	v_mov_b32_e32 v10, s0
	v_dual_mov_b32 v8, s6 :: v_dual_mov_b32 v11, s1
	v_dual_mov_b32 v12, s2 :: v_dual_mov_b32 v13, s3
	s_swappc_b64 s[30:31], s[4:5]
	s_endpgm
	.section	.rodata,"a",@progbits
	.p2align	6, 0x0
	.amdhsa_kernel _ZN2at6native39vectorized_templated_elementwise_kernelILi8EN12_GLOBAL__N_110CalcIgammaIfEESt5arrayIPcLm3EE23TrivialOffsetCalculatorILi2EjES8_ILi1EjENS0_6memory12LoadWithCastILi2EEENSB_13StoreWithCastILi1EEEN3c108BFloat16EJSH_fEEEviT0_T1_T2_T3_T4_T5_
		.amdhsa_group_segment_fixed_size 0
		.amdhsa_private_segment_fixed_size 448
		.amdhsa_kernarg_size 312
		.amdhsa_user_sgpr_count 15
		.amdhsa_user_sgpr_dispatch_ptr 0
		.amdhsa_user_sgpr_queue_ptr 0
		.amdhsa_user_sgpr_kernarg_segment_ptr 1
		.amdhsa_user_sgpr_dispatch_id 0
		.amdhsa_user_sgpr_private_segment_size 0
		.amdhsa_wavefront_size32 1
		.amdhsa_uses_dynamic_stack 0
		.amdhsa_enable_private_segment 1
		.amdhsa_system_sgpr_workgroup_id_x 1
		.amdhsa_system_sgpr_workgroup_id_y 0
		.amdhsa_system_sgpr_workgroup_id_z 0
		.amdhsa_system_sgpr_workgroup_info 0
		.amdhsa_system_vgpr_workitem_id 0
		.amdhsa_next_free_vgpr 147
		.amdhsa_next_free_sgpr 77
		.amdhsa_reserve_vcc 1
		.amdhsa_float_round_mode_32 0
		.amdhsa_float_round_mode_16_64 0
		.amdhsa_float_denorm_mode_32 3
		.amdhsa_float_denorm_mode_16_64 3
		.amdhsa_dx10_clamp 1
		.amdhsa_ieee_mode 1
		.amdhsa_fp16_overflow 0
		.amdhsa_workgroup_processor_mode 1
		.amdhsa_memory_ordered 1
		.amdhsa_forward_progress 0
		.amdhsa_shared_vgpr_count 0
		.amdhsa_exception_fp_ieee_invalid_op 0
		.amdhsa_exception_fp_denorm_src 0
		.amdhsa_exception_fp_ieee_div_zero 0
		.amdhsa_exception_fp_ieee_overflow 0
		.amdhsa_exception_fp_ieee_underflow 0
		.amdhsa_exception_fp_ieee_inexact 0
		.amdhsa_exception_int_div_zero 0
	.end_amdhsa_kernel
	.section	.text._ZN2at6native39vectorized_templated_elementwise_kernelILi8EN12_GLOBAL__N_110CalcIgammaIfEESt5arrayIPcLm3EE23TrivialOffsetCalculatorILi2EjES8_ILi1EjENS0_6memory12LoadWithCastILi2EEENSB_13StoreWithCastILi1EEEN3c108BFloat16EJSH_fEEEviT0_T1_T2_T3_T4_T5_,"axG",@progbits,_ZN2at6native39vectorized_templated_elementwise_kernelILi8EN12_GLOBAL__N_110CalcIgammaIfEESt5arrayIPcLm3EE23TrivialOffsetCalculatorILi2EjES8_ILi1EjENS0_6memory12LoadWithCastILi2EEENSB_13StoreWithCastILi1EEEN3c108BFloat16EJSH_fEEEviT0_T1_T2_T3_T4_T5_,comdat
.Lfunc_end32:
	.size	_ZN2at6native39vectorized_templated_elementwise_kernelILi8EN12_GLOBAL__N_110CalcIgammaIfEESt5arrayIPcLm3EE23TrivialOffsetCalculatorILi2EjES8_ILi1EjENS0_6memory12LoadWithCastILi2EEENSB_13StoreWithCastILi1EEEN3c108BFloat16EJSH_fEEEviT0_T1_T2_T3_T4_T5_, .Lfunc_end32-_ZN2at6native39vectorized_templated_elementwise_kernelILi8EN12_GLOBAL__N_110CalcIgammaIfEESt5arrayIPcLm3EE23TrivialOffsetCalculatorILi2EjES8_ILi1EjENS0_6memory12LoadWithCastILi2EEENSB_13StoreWithCastILi1EEEN3c108BFloat16EJSH_fEEEviT0_T1_T2_T3_T4_T5_
                                        ; -- End function
	.section	.AMDGPU.csdata,"",@progbits
; Kernel info:
; codeLenInByte = 6844
; NumSgprs: 79
; NumVgprs: 147
; ScratchSize: 448
; MemoryBound: 0
; FloatMode: 240
; IeeeMode: 1
; LDSByteSize: 0 bytes/workgroup (compile time only)
; SGPRBlocks: 9
; VGPRBlocks: 18
; NumSGPRsForWavesPerEU: 79
; NumVGPRsForWavesPerEU: 147
; Occupancy: 9
; WaveLimiterHint : 0
; COMPUTE_PGM_RSRC2:SCRATCH_EN: 1
; COMPUTE_PGM_RSRC2:USER_SGPR: 15
; COMPUTE_PGM_RSRC2:TRAP_HANDLER: 0
; COMPUTE_PGM_RSRC2:TGID_X_EN: 1
; COMPUTE_PGM_RSRC2:TGID_Y_EN: 0
; COMPUTE_PGM_RSRC2:TGID_Z_EN: 0
; COMPUTE_PGM_RSRC2:TIDIG_COMP_CNT: 0
	.section	.text._ZN2at6native39vectorized_templated_elementwise_kernelILi4EN12_GLOBAL__N_110CalcIgammaIfEESt5arrayIPcLm3EE23TrivialOffsetCalculatorILi2EjES8_ILi1EjENS0_6memory12LoadWithCastILi2EEENSB_13StoreWithCastILi1EEEN3c108BFloat16EJSH_fEEEviT0_T1_T2_T3_T4_T5_,"axG",@progbits,_ZN2at6native39vectorized_templated_elementwise_kernelILi4EN12_GLOBAL__N_110CalcIgammaIfEESt5arrayIPcLm3EE23TrivialOffsetCalculatorILi2EjES8_ILi1EjENS0_6memory12LoadWithCastILi2EEENSB_13StoreWithCastILi1EEEN3c108BFloat16EJSH_fEEEviT0_T1_T2_T3_T4_T5_,comdat
	.globl	_ZN2at6native39vectorized_templated_elementwise_kernelILi4EN12_GLOBAL__N_110CalcIgammaIfEESt5arrayIPcLm3EE23TrivialOffsetCalculatorILi2EjES8_ILi1EjENS0_6memory12LoadWithCastILi2EEENSB_13StoreWithCastILi1EEEN3c108BFloat16EJSH_fEEEviT0_T1_T2_T3_T4_T5_ ; -- Begin function _ZN2at6native39vectorized_templated_elementwise_kernelILi4EN12_GLOBAL__N_110CalcIgammaIfEESt5arrayIPcLm3EE23TrivialOffsetCalculatorILi2EjES8_ILi1EjENS0_6memory12LoadWithCastILi2EEENSB_13StoreWithCastILi1EEEN3c108BFloat16EJSH_fEEEviT0_T1_T2_T3_T4_T5_
	.p2align	8
	.type	_ZN2at6native39vectorized_templated_elementwise_kernelILi4EN12_GLOBAL__N_110CalcIgammaIfEESt5arrayIPcLm3EE23TrivialOffsetCalculatorILi2EjES8_ILi1EjENS0_6memory12LoadWithCastILi2EEENSB_13StoreWithCastILi1EEEN3c108BFloat16EJSH_fEEEviT0_T1_T2_T3_T4_T5_,@function
_ZN2at6native39vectorized_templated_elementwise_kernelILi4EN12_GLOBAL__N_110CalcIgammaIfEESt5arrayIPcLm3EE23TrivialOffsetCalculatorILi2EjES8_ILi1EjENS0_6memory12LoadWithCastILi2EEENSB_13StoreWithCastILi1EEEN3c108BFloat16EJSH_fEEEviT0_T1_T2_T3_T4_T5_: ; @_ZN2at6native39vectorized_templated_elementwise_kernelILi4EN12_GLOBAL__N_110CalcIgammaIfEESt5arrayIPcLm3EE23TrivialOffsetCalculatorILi2EjES8_ILi1EjENS0_6memory12LoadWithCastILi2EEENSB_13StoreWithCastILi1EEEN3c108BFloat16EJSH_fEEEviT0_T1_T2_T3_T4_T5_
; %bb.0:
	s_mov_b64 s[36:37], s[0:1]
	s_clause 0x1
	s_load_b64 s[2:3], s[0:1], 0x0
	s_load_b32 s0, s[0:1], 0x38
	s_clause 0x1
	s_load_b64 s[44:45], s[36:37], 0x18
	s_load_b128 s[40:43], s[36:37], 0x8
	v_mov_b32_e32 v42, v0
	s_mov_b32 s38, s15
	s_mov_b32 s32, 0
	s_waitcnt lgkmcnt(0)
	s_bitcmp1_b32 s3, 0
	s_cselect_b32 s49, -1, 0
	s_not_b32 s1, s15
	s_delay_alu instid0(SALU_CYCLE_1) | instskip(NEXT) | instid1(SALU_CYCLE_1)
	s_add_i32 s0, s0, s1
	s_lshl_b32 s0, s0, 14
	s_delay_alu instid0(SALU_CYCLE_1)
	s_sub_i32 s48, s2, s0
	s_mov_b32 s2, -1
	s_cmpk_gt_i32 s48, 0x3fff
	s_cbranch_scc1 .LBB33_3
; %bb.1:
	s_and_b32 vcc_lo, exec_lo, s2
	s_cbranch_vccnz .LBB33_132
.LBB33_2:
	s_endpgm
.LBB33_3:
	s_ashr_i32 s1, s0, 31
	v_lshlrev_b32_e32 v102, 3, v42
	s_lshl_b64 s[46:47], s[0:1], 1
	s_xor_b32 s50, s49, -1
	s_add_u32 s2, s42, s46
	s_addc_u32 s3, s43, s47
	v_add_co_u32 v4, s4, s2, v102
	s_delay_alu instid0(VALU_DEP_1) | instskip(SKIP_1) | instid1(VALU_DEP_3)
	v_add_co_ci_u32_e64 v5, null, s3, 0, s4
	v_or_b32_e32 v6, 0x400, v42
	v_add_co_u32 v0, vcc_lo, 0x1000, v4
	s_delay_alu instid0(VALU_DEP_3)
	v_add_co_ci_u32_e32 v1, vcc_lo, 0, v5, vcc_lo
	v_add_co_u32 v2, vcc_lo, 0x3000, v4
	v_lshlrev_b32_e32 v9, 4, v42
	v_lshlrev_b32_e32 v103, 3, v6
	s_lshl_b64 s[0:1], s[0:1], 2
	v_add_co_ci_u32_e32 v3, vcc_lo, 0, v5, vcc_lo
	v_or_b32_e32 v7, 0x800, v42
	s_add_u32 s0, s44, s0
	s_clause 0x3
	global_load_b64 v[100:101], v102, s[2:3]
	global_load_b64 v[98:99], v[0:1], off
	global_load_b64 v[96:97], v103, s[2:3]
	global_load_b64 v[94:95], v[2:3], off
	v_or_b32_e32 v8, 0xc00, v42
	v_add_co_u32 v0, vcc_lo, 0x5000, v4
	s_addc_u32 s1, s45, s1
	v_add_co_u32 v10, s4, s0, v9
	v_add_co_ci_u32_e32 v1, vcc_lo, 0, v5, vcc_lo
	v_lshlrev_b32_e32 v104, 3, v7
	v_add_co_ci_u32_e64 v11, null, s1, 0, s4
	v_add_co_u32 v2, vcc_lo, 0x7000, v4
	v_lshlrev_b32_e32 v105, 3, v8
	v_add_co_ci_u32_e32 v3, vcc_lo, 0, v5, vcc_lo
	v_add_co_u32 v4, vcc_lo, 0x2000, v10
	v_add_co_ci_u32_e32 v5, vcc_lo, 0, v11, vcc_lo
	s_clause 0x3
	global_load_b64 v[92:93], v104, s[2:3]
	global_load_b64 v[90:91], v[0:1], off
	global_load_b64 v[88:89], v105, s[2:3]
	global_load_b64 v[86:87], v[2:3], off
	s_clause 0x1
	global_load_b128 v[44:47], v9, s[0:1]
	global_load_b128 v[56:59], v[4:5], off
	v_add_co_u32 v0, vcc_lo, 0x6000, v10
	v_add_co_ci_u32_e32 v1, vcc_lo, 0, v11, vcc_lo
	v_lshlrev_b32_e32 v6, 4, v6
	v_add_co_u32 v2, vcc_lo, 0xa000, v10
	v_lshlrev_b32_e32 v7, 4, v7
	v_add_co_ci_u32_e32 v3, vcc_lo, 0, v11, vcc_lo
	v_add_co_u32 v4, vcc_lo, 0xe000, v10
	v_lshlrev_b32_e32 v8, 4, v8
	v_add_co_ci_u32_e32 v5, vcc_lo, 0, v11, vcc_lo
	s_clause 0x5
	global_load_b128 v[60:63], v6, s[0:1]
	global_load_b128 v[66:69], v[0:1], off
	global_load_b128 v[70:73], v7, s[0:1]
	global_load_b128 v[74:77], v[2:3], off
	;; [unrolled: 2-line block ×3, first 2 shown]
	s_mov_b32 s39, 0
	s_waitcnt vmcnt(15)
	v_lshlrev_b32_e32 v40, 16, v100
	s_waitcnt vmcnt(7)
	v_bfe_u32 v0, v44, 16, 1
	v_cmp_o_f32_e32 vcc_lo, v44, v44
	s_delay_alu instid0(VALU_DEP_2) | instskip(NEXT) | instid1(VALU_DEP_1)
	v_add3_u32 v0, v44, v0, 0x7fff
	v_and_b32_e32 v0, 0xffff0000, v0
	s_delay_alu instid0(VALU_DEP_1)
	v_cndmask_b32_e32 v44, 0x7fc00000, v0, vcc_lo
	s_and_b32 vcc_lo, exec_lo, s50
	s_cbranch_vccz .LBB33_5
; %bb.4:
	v_mov_b32_e32 v0, v40
	s_delay_alu instid0(VALU_DEP_2) | instskip(SKIP_3) | instid1(SALU_CYCLE_1)
	v_mov_b32_e32 v1, v44
	s_getpc_b64 s[0:1]
	s_add_u32 s0, s0, _ZN12_GLOBAL__N_111calc_igammaIfEET_S1_S1_@rel32@lo+4
	s_addc_u32 s1, s1, _ZN12_GLOBAL__N_111calc_igammaIfEET_S1_S1_@rel32@hi+12
	s_swappc_b64 s[30:31], s[0:1]
	v_mov_b32_e32 v43, v0
	s_and_not1_b32 vcc_lo, exec_lo, s39
	s_cbranch_vccz .LBB33_6
	s_branch .LBB33_7
.LBB33_5:
                                        ; implicit-def: $vgpr43
.LBB33_6:
	v_mov_b32_e32 v0, v40
	s_delay_alu instid0(VALU_DEP_2) | instskip(SKIP_3) | instid1(SALU_CYCLE_1)
	v_mov_b32_e32 v1, v44
	s_getpc_b64 s[0:1]
	s_add_u32 s0, s0, _ZN12_GLOBAL__N_112calc_igammacIfEET_S1_S1_@rel32@lo+4
	s_addc_u32 s1, s1, _ZN12_GLOBAL__N_112calc_igammacIfEET_S1_S1_@rel32@hi+12
	s_swappc_b64 s[30:31], s[0:1]
	v_mov_b32_e32 v43, v0
.LBB33_7:
	v_bfe_u32 v0, v45, 16, 1
	v_cndmask_b32_e64 v1, 0, 1, s50
	v_cmp_o_f32_e32 vcc_lo, v45, v45
	v_and_b32_e32 v40, 0xffff0000, v100
	s_delay_alu instid0(VALU_DEP_4) | instskip(NEXT) | instid1(VALU_DEP_4)
	v_add3_u32 v0, v45, v0, 0x7fff
	v_cmp_ne_u32_e64 s39, 1, v1
	s_delay_alu instid0(VALU_DEP_2) | instskip(NEXT) | instid1(VALU_DEP_1)
	v_and_b32_e32 v0, 0xffff0000, v0
	v_cndmask_b32_e32 v45, 0x7fc00000, v0, vcc_lo
	s_and_not1_b32 vcc_lo, exec_lo, s50
	s_cbranch_vccnz .LBB33_9
; %bb.8:
	s_delay_alu instid0(VALU_DEP_1) | instskip(SKIP_3) | instid1(SALU_CYCLE_1)
	v_dual_mov_b32 v0, v40 :: v_dual_mov_b32 v1, v45
	s_getpc_b64 s[0:1]
	s_add_u32 s0, s0, _ZN12_GLOBAL__N_111calc_igammaIfEET_S1_S1_@rel32@lo+4
	s_addc_u32 s1, s1, _ZN12_GLOBAL__N_111calc_igammaIfEET_S1_S1_@rel32@hi+12
	s_swappc_b64 s[30:31], s[0:1]
	v_mov_b32_e32 v44, v0
	s_cbranch_execz .LBB33_10
	s_branch .LBB33_11
.LBB33_9:
                                        ; implicit-def: $vgpr44
.LBB33_10:
	s_delay_alu instid0(VALU_DEP_1) | instskip(SKIP_3) | instid1(SALU_CYCLE_1)
	v_dual_mov_b32 v0, v40 :: v_dual_mov_b32 v1, v45
	s_getpc_b64 s[0:1]
	s_add_u32 s0, s0, _ZN12_GLOBAL__N_112calc_igammacIfEET_S1_S1_@rel32@lo+4
	s_addc_u32 s1, s1, _ZN12_GLOBAL__N_112calc_igammacIfEET_S1_S1_@rel32@hi+12
	s_swappc_b64 s[30:31], s[0:1]
	v_mov_b32_e32 v44, v0
.LBB33_11:
	v_bfe_u32 v0, v46, 16, 1
	v_cmp_o_f32_e32 vcc_lo, v46, v46
	v_lshlrev_b32_e32 v40, 16, v101
	s_delay_alu instid0(VALU_DEP_3) | instskip(NEXT) | instid1(VALU_DEP_1)
	v_add3_u32 v0, v46, v0, 0x7fff
	v_and_b32_e32 v0, 0xffff0000, v0
	s_delay_alu instid0(VALU_DEP_1)
	v_cndmask_b32_e32 v46, 0x7fc00000, v0, vcc_lo
	s_and_b32 vcc_lo, exec_lo, s39
	s_cbranch_vccnz .LBB33_13
; %bb.12:
	s_delay_alu instid0(VALU_DEP_1) | instskip(SKIP_3) | instid1(SALU_CYCLE_1)
	v_dual_mov_b32 v0, v40 :: v_dual_mov_b32 v1, v46
	s_getpc_b64 s[0:1]
	s_add_u32 s0, s0, _ZN12_GLOBAL__N_111calc_igammaIfEET_S1_S1_@rel32@lo+4
	s_addc_u32 s1, s1, _ZN12_GLOBAL__N_111calc_igammaIfEET_S1_S1_@rel32@hi+12
	s_swappc_b64 s[30:31], s[0:1]
	v_mov_b32_e32 v45, v0
	s_cbranch_execz .LBB33_14
	s_branch .LBB33_15
.LBB33_13:
                                        ; implicit-def: $vgpr45
.LBB33_14:
	s_delay_alu instid0(VALU_DEP_1) | instskip(SKIP_3) | instid1(SALU_CYCLE_1)
	v_dual_mov_b32 v0, v40 :: v_dual_mov_b32 v1, v46
	s_getpc_b64 s[0:1]
	s_add_u32 s0, s0, _ZN12_GLOBAL__N_112calc_igammacIfEET_S1_S1_@rel32@lo+4
	s_addc_u32 s1, s1, _ZN12_GLOBAL__N_112calc_igammacIfEET_S1_S1_@rel32@hi+12
	s_swappc_b64 s[30:31], s[0:1]
	v_mov_b32_e32 v45, v0
.LBB33_15:
	v_bfe_u32 v0, v47, 16, 1
	v_cmp_o_f32_e32 vcc_lo, v47, v47
	v_and_b32_e32 v40, 0xffff0000, v101
	s_delay_alu instid0(VALU_DEP_3) | instskip(NEXT) | instid1(VALU_DEP_1)
	v_add3_u32 v0, v47, v0, 0x7fff
	v_and_b32_e32 v0, 0xffff0000, v0
	s_delay_alu instid0(VALU_DEP_1)
	v_cndmask_b32_e32 v47, 0x7fc00000, v0, vcc_lo
	s_and_b32 vcc_lo, exec_lo, s39
	s_cbranch_vccnz .LBB33_17
; %bb.16:
	s_delay_alu instid0(VALU_DEP_1) | instskip(SKIP_3) | instid1(SALU_CYCLE_1)
	v_dual_mov_b32 v0, v40 :: v_dual_mov_b32 v1, v47
	s_getpc_b64 s[0:1]
	s_add_u32 s0, s0, _ZN12_GLOBAL__N_111calc_igammaIfEET_S1_S1_@rel32@lo+4
	s_addc_u32 s1, s1, _ZN12_GLOBAL__N_111calc_igammaIfEET_S1_S1_@rel32@hi+12
	s_swappc_b64 s[30:31], s[0:1]
	v_mov_b32_e32 v46, v0
	s_cbranch_execz .LBB33_18
	s_branch .LBB33_19
.LBB33_17:
                                        ; implicit-def: $vgpr46
.LBB33_18:
	s_delay_alu instid0(VALU_DEP_1) | instskip(SKIP_3) | instid1(SALU_CYCLE_1)
	v_dual_mov_b32 v0, v40 :: v_dual_mov_b32 v1, v47
	s_getpc_b64 s[0:1]
	s_add_u32 s0, s0, _ZN12_GLOBAL__N_112calc_igammacIfEET_S1_S1_@rel32@lo+4
	s_addc_u32 s1, s1, _ZN12_GLOBAL__N_112calc_igammacIfEET_S1_S1_@rel32@hi+12
	s_swappc_b64 s[30:31], s[0:1]
	v_mov_b32_e32 v46, v0
.LBB33_19:
	s_waitcnt vmcnt(6)
	v_bfe_u32 v0, v56, 16, 1
	v_cmp_o_f32_e32 vcc_lo, v56, v56
	v_lshlrev_b32_e32 v40, 16, v98
	s_delay_alu instid0(VALU_DEP_3) | instskip(NEXT) | instid1(VALU_DEP_1)
	v_add3_u32 v0, v56, v0, 0x7fff
	v_and_b32_e32 v0, 0xffff0000, v0
	s_delay_alu instid0(VALU_DEP_1)
	v_cndmask_b32_e32 v56, 0x7fc00000, v0, vcc_lo
	s_and_b32 vcc_lo, exec_lo, s39
	s_cbranch_vccnz .LBB33_21
; %bb.20:
	v_mov_b32_e32 v0, v40
	s_delay_alu instid0(VALU_DEP_2) | instskip(SKIP_3) | instid1(SALU_CYCLE_1)
	v_mov_b32_e32 v1, v56
	s_getpc_b64 s[0:1]
	s_add_u32 s0, s0, _ZN12_GLOBAL__N_111calc_igammaIfEET_S1_S1_@rel32@lo+4
	s_addc_u32 s1, s1, _ZN12_GLOBAL__N_111calc_igammaIfEET_S1_S1_@rel32@hi+12
	s_swappc_b64 s[30:31], s[0:1]
	v_mov_b32_e32 v47, v0
	s_cbranch_execz .LBB33_22
	s_branch .LBB33_23
.LBB33_21:
                                        ; implicit-def: $vgpr47
.LBB33_22:
	v_mov_b32_e32 v0, v40
	s_delay_alu instid0(VALU_DEP_2) | instskip(SKIP_3) | instid1(SALU_CYCLE_1)
	v_mov_b32_e32 v1, v56
	s_getpc_b64 s[0:1]
	s_add_u32 s0, s0, _ZN12_GLOBAL__N_112calc_igammacIfEET_S1_S1_@rel32@lo+4
	s_addc_u32 s1, s1, _ZN12_GLOBAL__N_112calc_igammacIfEET_S1_S1_@rel32@hi+12
	s_swappc_b64 s[30:31], s[0:1]
	v_mov_b32_e32 v47, v0
.LBB33_23:
	v_bfe_u32 v0, v57, 16, 1
	v_cmp_o_f32_e32 vcc_lo, v57, v57
	v_and_b32_e32 v40, 0xffff0000, v98
	s_delay_alu instid0(VALU_DEP_3) | instskip(NEXT) | instid1(VALU_DEP_1)
	v_add3_u32 v0, v57, v0, 0x7fff
	v_and_b32_e32 v0, 0xffff0000, v0
	s_delay_alu instid0(VALU_DEP_1)
	v_cndmask_b32_e32 v57, 0x7fc00000, v0, vcc_lo
	s_and_b32 vcc_lo, exec_lo, s39
	s_cbranch_vccnz .LBB33_25
; %bb.24:
	s_delay_alu instid0(VALU_DEP_1) | instskip(SKIP_3) | instid1(SALU_CYCLE_1)
	v_dual_mov_b32 v0, v40 :: v_dual_mov_b32 v1, v57
	s_getpc_b64 s[0:1]
	s_add_u32 s0, s0, _ZN12_GLOBAL__N_111calc_igammaIfEET_S1_S1_@rel32@lo+4
	s_addc_u32 s1, s1, _ZN12_GLOBAL__N_111calc_igammaIfEET_S1_S1_@rel32@hi+12
	s_swappc_b64 s[30:31], s[0:1]
	v_mov_b32_e32 v56, v0
	s_cbranch_execz .LBB33_26
	s_branch .LBB33_27
.LBB33_25:
                                        ; implicit-def: $vgpr56
.LBB33_26:
	s_delay_alu instid0(VALU_DEP_1) | instskip(SKIP_3) | instid1(SALU_CYCLE_1)
	v_dual_mov_b32 v0, v40 :: v_dual_mov_b32 v1, v57
	s_getpc_b64 s[0:1]
	s_add_u32 s0, s0, _ZN12_GLOBAL__N_112calc_igammacIfEET_S1_S1_@rel32@lo+4
	s_addc_u32 s1, s1, _ZN12_GLOBAL__N_112calc_igammacIfEET_S1_S1_@rel32@hi+12
	s_swappc_b64 s[30:31], s[0:1]
	v_mov_b32_e32 v56, v0
.LBB33_27:
	v_bfe_u32 v0, v58, 16, 1
	v_cmp_o_f32_e32 vcc_lo, v58, v58
	v_lshlrev_b32_e32 v40, 16, v99
	s_delay_alu instid0(VALU_DEP_3) | instskip(NEXT) | instid1(VALU_DEP_1)
	v_add3_u32 v0, v58, v0, 0x7fff
	v_and_b32_e32 v0, 0xffff0000, v0
	s_delay_alu instid0(VALU_DEP_1)
	v_cndmask_b32_e32 v58, 0x7fc00000, v0, vcc_lo
	s_and_b32 vcc_lo, exec_lo, s39
	s_cbranch_vccnz .LBB33_29
; %bb.28:
	s_delay_alu instid0(VALU_DEP_1) | instskip(SKIP_3) | instid1(SALU_CYCLE_1)
	v_dual_mov_b32 v0, v40 :: v_dual_mov_b32 v1, v58
	s_getpc_b64 s[0:1]
	s_add_u32 s0, s0, _ZN12_GLOBAL__N_111calc_igammaIfEET_S1_S1_@rel32@lo+4
	s_addc_u32 s1, s1, _ZN12_GLOBAL__N_111calc_igammaIfEET_S1_S1_@rel32@hi+12
	s_swappc_b64 s[30:31], s[0:1]
	v_mov_b32_e32 v57, v0
	s_cbranch_execz .LBB33_30
	s_branch .LBB33_31
.LBB33_29:
                                        ; implicit-def: $vgpr57
.LBB33_30:
	s_delay_alu instid0(VALU_DEP_1) | instskip(SKIP_3) | instid1(SALU_CYCLE_1)
	v_dual_mov_b32 v0, v40 :: v_dual_mov_b32 v1, v58
	s_getpc_b64 s[0:1]
	s_add_u32 s0, s0, _ZN12_GLOBAL__N_112calc_igammacIfEET_S1_S1_@rel32@lo+4
	s_addc_u32 s1, s1, _ZN12_GLOBAL__N_112calc_igammacIfEET_S1_S1_@rel32@hi+12
	s_swappc_b64 s[30:31], s[0:1]
	v_mov_b32_e32 v57, v0
.LBB33_31:
	v_bfe_u32 v0, v59, 16, 1
	v_cmp_o_f32_e32 vcc_lo, v59, v59
	v_and_b32_e32 v40, 0xffff0000, v99
	s_delay_alu instid0(VALU_DEP_3) | instskip(NEXT) | instid1(VALU_DEP_1)
	v_add3_u32 v0, v59, v0, 0x7fff
	v_and_b32_e32 v0, 0xffff0000, v0
	s_delay_alu instid0(VALU_DEP_1)
	v_cndmask_b32_e32 v58, 0x7fc00000, v0, vcc_lo
	s_and_b32 vcc_lo, exec_lo, s39
	s_cbranch_vccnz .LBB33_33
; %bb.32:
	s_delay_alu instid0(VALU_DEP_1) | instskip(SKIP_3) | instid1(SALU_CYCLE_1)
	v_dual_mov_b32 v0, v40 :: v_dual_mov_b32 v1, v58
	s_getpc_b64 s[0:1]
	s_add_u32 s0, s0, _ZN12_GLOBAL__N_111calc_igammaIfEET_S1_S1_@rel32@lo+4
	s_addc_u32 s1, s1, _ZN12_GLOBAL__N_111calc_igammaIfEET_S1_S1_@rel32@hi+12
	s_swappc_b64 s[30:31], s[0:1]
	v_mov_b32_e32 v59, v0
	s_cbranch_execz .LBB33_34
	s_branch .LBB33_35
.LBB33_33:
                                        ; implicit-def: $vgpr59
.LBB33_34:
	s_delay_alu instid0(VALU_DEP_1) | instskip(SKIP_3) | instid1(SALU_CYCLE_1)
	v_dual_mov_b32 v0, v40 :: v_dual_mov_b32 v1, v58
	s_getpc_b64 s[0:1]
	s_add_u32 s0, s0, _ZN12_GLOBAL__N_112calc_igammacIfEET_S1_S1_@rel32@lo+4
	s_addc_u32 s1, s1, _ZN12_GLOBAL__N_112calc_igammacIfEET_S1_S1_@rel32@hi+12
	s_swappc_b64 s[30:31], s[0:1]
	v_mov_b32_e32 v59, v0
.LBB33_35:
	s_waitcnt vmcnt(5)
	v_bfe_u32 v0, v60, 16, 1
	v_cmp_o_f32_e32 vcc_lo, v60, v60
	v_lshlrev_b32_e32 v40, 16, v96
	s_delay_alu instid0(VALU_DEP_3) | instskip(NEXT) | instid1(VALU_DEP_1)
	v_add3_u32 v0, v60, v0, 0x7fff
	v_and_b32_e32 v0, 0xffff0000, v0
	s_delay_alu instid0(VALU_DEP_1)
	v_cndmask_b32_e32 v60, 0x7fc00000, v0, vcc_lo
	s_and_b32 vcc_lo, exec_lo, s39
	s_cbranch_vccnz .LBB33_37
; %bb.36:
	v_mov_b32_e32 v0, v40
	s_delay_alu instid0(VALU_DEP_2) | instskip(SKIP_3) | instid1(SALU_CYCLE_1)
	v_mov_b32_e32 v1, v60
	s_getpc_b64 s[0:1]
	s_add_u32 s0, s0, _ZN12_GLOBAL__N_111calc_igammaIfEET_S1_S1_@rel32@lo+4
	s_addc_u32 s1, s1, _ZN12_GLOBAL__N_111calc_igammaIfEET_S1_S1_@rel32@hi+12
	s_swappc_b64 s[30:31], s[0:1]
	v_mov_b32_e32 v58, v0
	s_cbranch_execz .LBB33_38
	s_branch .LBB33_39
.LBB33_37:
                                        ; implicit-def: $vgpr58
.LBB33_38:
	v_mov_b32_e32 v0, v40
	s_delay_alu instid0(VALU_DEP_2) | instskip(SKIP_3) | instid1(SALU_CYCLE_1)
	v_mov_b32_e32 v1, v60
	s_getpc_b64 s[0:1]
	s_add_u32 s0, s0, _ZN12_GLOBAL__N_112calc_igammacIfEET_S1_S1_@rel32@lo+4
	s_addc_u32 s1, s1, _ZN12_GLOBAL__N_112calc_igammacIfEET_S1_S1_@rel32@hi+12
	s_swappc_b64 s[30:31], s[0:1]
	v_mov_b32_e32 v58, v0
.LBB33_39:
	v_bfe_u32 v0, v61, 16, 1
	v_cmp_o_f32_e32 vcc_lo, v61, v61
	v_and_b32_e32 v40, 0xffff0000, v96
	s_delay_alu instid0(VALU_DEP_3) | instskip(NEXT) | instid1(VALU_DEP_1)
	v_add3_u32 v0, v61, v0, 0x7fff
	v_and_b32_e32 v0, 0xffff0000, v0
	s_delay_alu instid0(VALU_DEP_1)
	v_cndmask_b32_e32 v61, 0x7fc00000, v0, vcc_lo
	s_and_b32 vcc_lo, exec_lo, s39
	s_cbranch_vccnz .LBB33_41
; %bb.40:
	s_delay_alu instid0(VALU_DEP_1) | instskip(SKIP_3) | instid1(SALU_CYCLE_1)
	v_dual_mov_b32 v0, v40 :: v_dual_mov_b32 v1, v61
	s_getpc_b64 s[0:1]
	s_add_u32 s0, s0, _ZN12_GLOBAL__N_111calc_igammaIfEET_S1_S1_@rel32@lo+4
	s_addc_u32 s1, s1, _ZN12_GLOBAL__N_111calc_igammaIfEET_S1_S1_@rel32@hi+12
	s_swappc_b64 s[30:31], s[0:1]
	v_mov_b32_e32 v60, v0
	s_cbranch_execz .LBB33_42
	s_branch .LBB33_43
.LBB33_41:
                                        ; implicit-def: $vgpr60
.LBB33_42:
	s_delay_alu instid0(VALU_DEP_1) | instskip(SKIP_3) | instid1(SALU_CYCLE_1)
	v_dual_mov_b32 v0, v40 :: v_dual_mov_b32 v1, v61
	s_getpc_b64 s[0:1]
	s_add_u32 s0, s0, _ZN12_GLOBAL__N_112calc_igammacIfEET_S1_S1_@rel32@lo+4
	s_addc_u32 s1, s1, _ZN12_GLOBAL__N_112calc_igammacIfEET_S1_S1_@rel32@hi+12
	s_swappc_b64 s[30:31], s[0:1]
	v_mov_b32_e32 v60, v0
.LBB33_43:
	v_bfe_u32 v0, v62, 16, 1
	v_cmp_o_f32_e32 vcc_lo, v62, v62
	v_lshlrev_b32_e32 v40, 16, v97
	s_delay_alu instid0(VALU_DEP_3) | instskip(NEXT) | instid1(VALU_DEP_1)
	v_add3_u32 v0, v62, v0, 0x7fff
	v_and_b32_e32 v0, 0xffff0000, v0
	s_delay_alu instid0(VALU_DEP_1)
	v_cndmask_b32_e32 v62, 0x7fc00000, v0, vcc_lo
	s_and_b32 vcc_lo, exec_lo, s39
	s_cbranch_vccnz .LBB33_45
; %bb.44:
	s_delay_alu instid0(VALU_DEP_1) | instskip(SKIP_3) | instid1(SALU_CYCLE_1)
	v_dual_mov_b32 v0, v40 :: v_dual_mov_b32 v1, v62
	s_getpc_b64 s[0:1]
	s_add_u32 s0, s0, _ZN12_GLOBAL__N_111calc_igammaIfEET_S1_S1_@rel32@lo+4
	s_addc_u32 s1, s1, _ZN12_GLOBAL__N_111calc_igammaIfEET_S1_S1_@rel32@hi+12
	s_swappc_b64 s[30:31], s[0:1]
	v_mov_b32_e32 v61, v0
	s_cbranch_execz .LBB33_46
	s_branch .LBB33_47
.LBB33_45:
                                        ; implicit-def: $vgpr61
.LBB33_46:
	s_delay_alu instid0(VALU_DEP_1) | instskip(SKIP_3) | instid1(SALU_CYCLE_1)
	v_dual_mov_b32 v0, v40 :: v_dual_mov_b32 v1, v62
	s_getpc_b64 s[0:1]
	s_add_u32 s0, s0, _ZN12_GLOBAL__N_112calc_igammacIfEET_S1_S1_@rel32@lo+4
	s_addc_u32 s1, s1, _ZN12_GLOBAL__N_112calc_igammacIfEET_S1_S1_@rel32@hi+12
	s_swappc_b64 s[30:31], s[0:1]
	v_mov_b32_e32 v61, v0
.LBB33_47:
	v_bfe_u32 v0, v63, 16, 1
	v_cmp_o_f32_e32 vcc_lo, v63, v63
	v_and_b32_e32 v40, 0xffff0000, v97
	s_delay_alu instid0(VALU_DEP_3) | instskip(NEXT) | instid1(VALU_DEP_1)
	v_add3_u32 v0, v63, v0, 0x7fff
	v_and_b32_e32 v0, 0xffff0000, v0
	s_delay_alu instid0(VALU_DEP_1)
	v_cndmask_b32_e32 v63, 0x7fc00000, v0, vcc_lo
	s_and_b32 vcc_lo, exec_lo, s39
	s_cbranch_vccnz .LBB33_49
; %bb.48:
	s_delay_alu instid0(VALU_DEP_1) | instskip(SKIP_3) | instid1(SALU_CYCLE_1)
	v_dual_mov_b32 v0, v40 :: v_dual_mov_b32 v1, v63
	s_getpc_b64 s[0:1]
	s_add_u32 s0, s0, _ZN12_GLOBAL__N_111calc_igammaIfEET_S1_S1_@rel32@lo+4
	s_addc_u32 s1, s1, _ZN12_GLOBAL__N_111calc_igammaIfEET_S1_S1_@rel32@hi+12
	s_swappc_b64 s[30:31], s[0:1]
	v_mov_b32_e32 v62, v0
	s_cbranch_execz .LBB33_50
	s_branch .LBB33_51
.LBB33_49:
                                        ; implicit-def: $vgpr62
.LBB33_50:
	s_delay_alu instid0(VALU_DEP_1) | instskip(SKIP_3) | instid1(SALU_CYCLE_1)
	v_dual_mov_b32 v0, v40 :: v_dual_mov_b32 v1, v63
	s_getpc_b64 s[0:1]
	s_add_u32 s0, s0, _ZN12_GLOBAL__N_112calc_igammacIfEET_S1_S1_@rel32@lo+4
	s_addc_u32 s1, s1, _ZN12_GLOBAL__N_112calc_igammacIfEET_S1_S1_@rel32@hi+12
	s_swappc_b64 s[30:31], s[0:1]
	v_mov_b32_e32 v62, v0
.LBB33_51:
	s_waitcnt vmcnt(4)
	v_bfe_u32 v0, v66, 16, 1
	v_cmp_o_f32_e32 vcc_lo, v66, v66
	v_lshlrev_b32_e32 v40, 16, v94
	s_delay_alu instid0(VALU_DEP_3) | instskip(NEXT) | instid1(VALU_DEP_1)
	v_add3_u32 v0, v66, v0, 0x7fff
	v_and_b32_e32 v0, 0xffff0000, v0
	s_delay_alu instid0(VALU_DEP_1)
	v_cndmask_b32_e32 v66, 0x7fc00000, v0, vcc_lo
	s_and_b32 vcc_lo, exec_lo, s39
	s_cbranch_vccnz .LBB33_53
; %bb.52:
	s_delay_alu instid0(VALU_DEP_1) | instskip(SKIP_3) | instid1(SALU_CYCLE_1)
	v_dual_mov_b32 v0, v40 :: v_dual_mov_b32 v1, v66
	s_getpc_b64 s[0:1]
	s_add_u32 s0, s0, _ZN12_GLOBAL__N_111calc_igammaIfEET_S1_S1_@rel32@lo+4
	s_addc_u32 s1, s1, _ZN12_GLOBAL__N_111calc_igammaIfEET_S1_S1_@rel32@hi+12
	s_swappc_b64 s[30:31], s[0:1]
	v_mov_b32_e32 v63, v0
	s_cbranch_execz .LBB33_54
	s_branch .LBB33_55
.LBB33_53:
                                        ; implicit-def: $vgpr63
.LBB33_54:
	s_delay_alu instid0(VALU_DEP_1) | instskip(SKIP_3) | instid1(SALU_CYCLE_1)
	v_dual_mov_b32 v0, v40 :: v_dual_mov_b32 v1, v66
	s_getpc_b64 s[0:1]
	s_add_u32 s0, s0, _ZN12_GLOBAL__N_112calc_igammacIfEET_S1_S1_@rel32@lo+4
	s_addc_u32 s1, s1, _ZN12_GLOBAL__N_112calc_igammacIfEET_S1_S1_@rel32@hi+12
	s_swappc_b64 s[30:31], s[0:1]
	v_mov_b32_e32 v63, v0
.LBB33_55:
	v_bfe_u32 v0, v67, 16, 1
	v_cmp_o_f32_e32 vcc_lo, v67, v67
	v_and_b32_e32 v40, 0xffff0000, v94
	s_delay_alu instid0(VALU_DEP_3) | instskip(NEXT) | instid1(VALU_DEP_1)
	v_add3_u32 v0, v67, v0, 0x7fff
	v_and_b32_e32 v0, 0xffff0000, v0
	s_delay_alu instid0(VALU_DEP_1)
	v_cndmask_b32_e32 v67, 0x7fc00000, v0, vcc_lo
	s_and_b32 vcc_lo, exec_lo, s39
	s_cbranch_vccnz .LBB33_57
; %bb.56:
	s_delay_alu instid0(VALU_DEP_1) | instskip(SKIP_3) | instid1(SALU_CYCLE_1)
	v_dual_mov_b32 v0, v40 :: v_dual_mov_b32 v1, v67
	s_getpc_b64 s[0:1]
	s_add_u32 s0, s0, _ZN12_GLOBAL__N_111calc_igammaIfEET_S1_S1_@rel32@lo+4
	s_addc_u32 s1, s1, _ZN12_GLOBAL__N_111calc_igammaIfEET_S1_S1_@rel32@hi+12
	s_swappc_b64 s[30:31], s[0:1]
	v_mov_b32_e32 v66, v0
	s_cbranch_execz .LBB33_58
	s_branch .LBB33_59
.LBB33_57:
                                        ; implicit-def: $vgpr66
.LBB33_58:
	s_delay_alu instid0(VALU_DEP_1) | instskip(SKIP_3) | instid1(SALU_CYCLE_1)
	v_dual_mov_b32 v0, v40 :: v_dual_mov_b32 v1, v67
	s_getpc_b64 s[0:1]
	s_add_u32 s0, s0, _ZN12_GLOBAL__N_112calc_igammacIfEET_S1_S1_@rel32@lo+4
	s_addc_u32 s1, s1, _ZN12_GLOBAL__N_112calc_igammacIfEET_S1_S1_@rel32@hi+12
	s_swappc_b64 s[30:31], s[0:1]
	v_mov_b32_e32 v66, v0
.LBB33_59:
	v_bfe_u32 v0, v68, 16, 1
	v_cmp_o_f32_e32 vcc_lo, v68, v68
	v_lshlrev_b32_e32 v40, 16, v95
	s_delay_alu instid0(VALU_DEP_3) | instskip(NEXT) | instid1(VALU_DEP_1)
	v_add3_u32 v0, v68, v0, 0x7fff
	v_and_b32_e32 v0, 0xffff0000, v0
	s_delay_alu instid0(VALU_DEP_1)
	v_cndmask_b32_e32 v68, 0x7fc00000, v0, vcc_lo
	s_and_b32 vcc_lo, exec_lo, s39
	s_cbranch_vccnz .LBB33_61
; %bb.60:
	v_mov_b32_e32 v0, v40
	s_delay_alu instid0(VALU_DEP_2) | instskip(SKIP_3) | instid1(SALU_CYCLE_1)
	v_mov_b32_e32 v1, v68
	s_getpc_b64 s[0:1]
	s_add_u32 s0, s0, _ZN12_GLOBAL__N_111calc_igammaIfEET_S1_S1_@rel32@lo+4
	s_addc_u32 s1, s1, _ZN12_GLOBAL__N_111calc_igammaIfEET_S1_S1_@rel32@hi+12
	s_swappc_b64 s[30:31], s[0:1]
	v_mov_b32_e32 v67, v0
	s_cbranch_execz .LBB33_62
	s_branch .LBB33_63
.LBB33_61:
                                        ; implicit-def: $vgpr67
.LBB33_62:
	v_mov_b32_e32 v0, v40
	s_delay_alu instid0(VALU_DEP_2) | instskip(SKIP_3) | instid1(SALU_CYCLE_1)
	v_mov_b32_e32 v1, v68
	s_getpc_b64 s[0:1]
	s_add_u32 s0, s0, _ZN12_GLOBAL__N_112calc_igammacIfEET_S1_S1_@rel32@lo+4
	s_addc_u32 s1, s1, _ZN12_GLOBAL__N_112calc_igammacIfEET_S1_S1_@rel32@hi+12
	s_swappc_b64 s[30:31], s[0:1]
	v_mov_b32_e32 v67, v0
.LBB33_63:
	v_bfe_u32 v0, v69, 16, 1
	v_cmp_o_f32_e32 vcc_lo, v69, v69
	v_and_b32_e32 v40, 0xffff0000, v95
	s_delay_alu instid0(VALU_DEP_3) | instskip(NEXT) | instid1(VALU_DEP_1)
	v_add3_u32 v0, v69, v0, 0x7fff
	v_and_b32_e32 v0, 0xffff0000, v0
	s_delay_alu instid0(VALU_DEP_1)
	v_cndmask_b32_e32 v69, 0x7fc00000, v0, vcc_lo
	s_and_b32 vcc_lo, exec_lo, s39
	s_cbranch_vccnz .LBB33_65
; %bb.64:
	s_delay_alu instid0(VALU_DEP_1) | instskip(SKIP_3) | instid1(SALU_CYCLE_1)
	v_dual_mov_b32 v0, v40 :: v_dual_mov_b32 v1, v69
	s_getpc_b64 s[0:1]
	s_add_u32 s0, s0, _ZN12_GLOBAL__N_111calc_igammaIfEET_S1_S1_@rel32@lo+4
	s_addc_u32 s1, s1, _ZN12_GLOBAL__N_111calc_igammaIfEET_S1_S1_@rel32@hi+12
	s_swappc_b64 s[30:31], s[0:1]
	v_mov_b32_e32 v68, v0
	s_cbranch_execz .LBB33_66
	s_branch .LBB33_67
.LBB33_65:
                                        ; implicit-def: $vgpr68
.LBB33_66:
	s_delay_alu instid0(VALU_DEP_1) | instskip(SKIP_3) | instid1(SALU_CYCLE_1)
	v_dual_mov_b32 v0, v40 :: v_dual_mov_b32 v1, v69
	s_getpc_b64 s[0:1]
	s_add_u32 s0, s0, _ZN12_GLOBAL__N_112calc_igammacIfEET_S1_S1_@rel32@lo+4
	s_addc_u32 s1, s1, _ZN12_GLOBAL__N_112calc_igammacIfEET_S1_S1_@rel32@hi+12
	s_swappc_b64 s[30:31], s[0:1]
	v_mov_b32_e32 v68, v0
.LBB33_67:
	s_waitcnt vmcnt(3)
	v_bfe_u32 v0, v70, 16, 1
	v_cmp_o_f32_e32 vcc_lo, v70, v70
	v_lshlrev_b32_e32 v40, 16, v92
	s_delay_alu instid0(VALU_DEP_3) | instskip(NEXT) | instid1(VALU_DEP_1)
	v_add3_u32 v0, v70, v0, 0x7fff
	v_and_b32_e32 v0, 0xffff0000, v0
	s_delay_alu instid0(VALU_DEP_1)
	v_cndmask_b32_e32 v70, 0x7fc00000, v0, vcc_lo
	s_and_b32 vcc_lo, exec_lo, s39
	s_cbranch_vccnz .LBB33_69
; %bb.68:
	s_delay_alu instid0(VALU_DEP_1) | instskip(SKIP_3) | instid1(SALU_CYCLE_1)
	v_dual_mov_b32 v0, v40 :: v_dual_mov_b32 v1, v70
	s_getpc_b64 s[0:1]
	s_add_u32 s0, s0, _ZN12_GLOBAL__N_111calc_igammaIfEET_S1_S1_@rel32@lo+4
	s_addc_u32 s1, s1, _ZN12_GLOBAL__N_111calc_igammaIfEET_S1_S1_@rel32@hi+12
	s_swappc_b64 s[30:31], s[0:1]
	v_mov_b32_e32 v69, v0
	s_cbranch_execz .LBB33_70
	s_branch .LBB33_71
.LBB33_69:
                                        ; implicit-def: $vgpr69
.LBB33_70:
	s_delay_alu instid0(VALU_DEP_1) | instskip(SKIP_3) | instid1(SALU_CYCLE_1)
	v_dual_mov_b32 v0, v40 :: v_dual_mov_b32 v1, v70
	s_getpc_b64 s[0:1]
	s_add_u32 s0, s0, _ZN12_GLOBAL__N_112calc_igammacIfEET_S1_S1_@rel32@lo+4
	s_addc_u32 s1, s1, _ZN12_GLOBAL__N_112calc_igammacIfEET_S1_S1_@rel32@hi+12
	s_swappc_b64 s[30:31], s[0:1]
	v_mov_b32_e32 v69, v0
.LBB33_71:
	v_bfe_u32 v0, v71, 16, 1
	v_cmp_o_f32_e32 vcc_lo, v71, v71
	v_and_b32_e32 v40, 0xffff0000, v92
	s_delay_alu instid0(VALU_DEP_3) | instskip(NEXT) | instid1(VALU_DEP_1)
	v_add3_u32 v0, v71, v0, 0x7fff
	v_and_b32_e32 v0, 0xffff0000, v0
	s_delay_alu instid0(VALU_DEP_1)
	v_cndmask_b32_e32 v71, 0x7fc00000, v0, vcc_lo
	s_and_b32 vcc_lo, exec_lo, s39
	s_cbranch_vccnz .LBB33_73
; %bb.72:
	s_delay_alu instid0(VALU_DEP_1) | instskip(SKIP_3) | instid1(SALU_CYCLE_1)
	v_dual_mov_b32 v0, v40 :: v_dual_mov_b32 v1, v71
	s_getpc_b64 s[0:1]
	s_add_u32 s0, s0, _ZN12_GLOBAL__N_111calc_igammaIfEET_S1_S1_@rel32@lo+4
	s_addc_u32 s1, s1, _ZN12_GLOBAL__N_111calc_igammaIfEET_S1_S1_@rel32@hi+12
	s_swappc_b64 s[30:31], s[0:1]
	v_mov_b32_e32 v70, v0
	s_cbranch_execz .LBB33_74
	s_branch .LBB33_75
.LBB33_73:
                                        ; implicit-def: $vgpr70
.LBB33_74:
	s_delay_alu instid0(VALU_DEP_1) | instskip(SKIP_3) | instid1(SALU_CYCLE_1)
	v_dual_mov_b32 v0, v40 :: v_dual_mov_b32 v1, v71
	s_getpc_b64 s[0:1]
	s_add_u32 s0, s0, _ZN12_GLOBAL__N_112calc_igammacIfEET_S1_S1_@rel32@lo+4
	s_addc_u32 s1, s1, _ZN12_GLOBAL__N_112calc_igammacIfEET_S1_S1_@rel32@hi+12
	s_swappc_b64 s[30:31], s[0:1]
	v_mov_b32_e32 v70, v0
.LBB33_75:
	v_bfe_u32 v0, v72, 16, 1
	v_cmp_o_f32_e32 vcc_lo, v72, v72
	v_lshlrev_b32_e32 v40, 16, v93
	s_delay_alu instid0(VALU_DEP_3) | instskip(NEXT) | instid1(VALU_DEP_1)
	v_add3_u32 v0, v72, v0, 0x7fff
	v_and_b32_e32 v0, 0xffff0000, v0
	s_delay_alu instid0(VALU_DEP_1)
	v_cndmask_b32_e32 v72, 0x7fc00000, v0, vcc_lo
	s_and_b32 vcc_lo, exec_lo, s39
	s_cbranch_vccnz .LBB33_77
; %bb.76:
	v_mov_b32_e32 v0, v40
	s_delay_alu instid0(VALU_DEP_2) | instskip(SKIP_3) | instid1(SALU_CYCLE_1)
	v_mov_b32_e32 v1, v72
	s_getpc_b64 s[0:1]
	s_add_u32 s0, s0, _ZN12_GLOBAL__N_111calc_igammaIfEET_S1_S1_@rel32@lo+4
	s_addc_u32 s1, s1, _ZN12_GLOBAL__N_111calc_igammaIfEET_S1_S1_@rel32@hi+12
	s_swappc_b64 s[30:31], s[0:1]
	v_mov_b32_e32 v71, v0
	s_cbranch_execz .LBB33_78
	s_branch .LBB33_79
.LBB33_77:
                                        ; implicit-def: $vgpr71
.LBB33_78:
	v_mov_b32_e32 v0, v40
	s_delay_alu instid0(VALU_DEP_2) | instskip(SKIP_3) | instid1(SALU_CYCLE_1)
	v_mov_b32_e32 v1, v72
	s_getpc_b64 s[0:1]
	s_add_u32 s0, s0, _ZN12_GLOBAL__N_112calc_igammacIfEET_S1_S1_@rel32@lo+4
	s_addc_u32 s1, s1, _ZN12_GLOBAL__N_112calc_igammacIfEET_S1_S1_@rel32@hi+12
	s_swappc_b64 s[30:31], s[0:1]
	v_mov_b32_e32 v71, v0
.LBB33_79:
	v_bfe_u32 v0, v73, 16, 1
	v_cmp_o_f32_e32 vcc_lo, v73, v73
	v_and_b32_e32 v40, 0xffff0000, v93
	s_delay_alu instid0(VALU_DEP_3) | instskip(NEXT) | instid1(VALU_DEP_1)
	v_add3_u32 v0, v73, v0, 0x7fff
	v_and_b32_e32 v0, 0xffff0000, v0
	s_delay_alu instid0(VALU_DEP_1)
	v_cndmask_b32_e32 v73, 0x7fc00000, v0, vcc_lo
	s_and_b32 vcc_lo, exec_lo, s39
	s_cbranch_vccnz .LBB33_81
; %bb.80:
	s_delay_alu instid0(VALU_DEP_1) | instskip(SKIP_3) | instid1(SALU_CYCLE_1)
	v_dual_mov_b32 v0, v40 :: v_dual_mov_b32 v1, v73
	s_getpc_b64 s[0:1]
	s_add_u32 s0, s0, _ZN12_GLOBAL__N_111calc_igammaIfEET_S1_S1_@rel32@lo+4
	s_addc_u32 s1, s1, _ZN12_GLOBAL__N_111calc_igammaIfEET_S1_S1_@rel32@hi+12
	s_swappc_b64 s[30:31], s[0:1]
	v_mov_b32_e32 v72, v0
	s_cbranch_execz .LBB33_82
	s_branch .LBB33_83
.LBB33_81:
                                        ; implicit-def: $vgpr72
.LBB33_82:
	s_delay_alu instid0(VALU_DEP_1) | instskip(SKIP_3) | instid1(SALU_CYCLE_1)
	v_dual_mov_b32 v0, v40 :: v_dual_mov_b32 v1, v73
	s_getpc_b64 s[0:1]
	s_add_u32 s0, s0, _ZN12_GLOBAL__N_112calc_igammacIfEET_S1_S1_@rel32@lo+4
	s_addc_u32 s1, s1, _ZN12_GLOBAL__N_112calc_igammacIfEET_S1_S1_@rel32@hi+12
	s_swappc_b64 s[30:31], s[0:1]
	v_mov_b32_e32 v72, v0
.LBB33_83:
	s_waitcnt vmcnt(2)
	v_bfe_u32 v0, v74, 16, 1
	v_cmp_o_f32_e32 vcc_lo, v74, v74
	v_lshlrev_b32_e32 v40, 16, v90
	s_delay_alu instid0(VALU_DEP_3) | instskip(NEXT) | instid1(VALU_DEP_1)
	v_add3_u32 v0, v74, v0, 0x7fff
	v_and_b32_e32 v0, 0xffff0000, v0
	s_delay_alu instid0(VALU_DEP_1)
	v_cndmask_b32_e32 v74, 0x7fc00000, v0, vcc_lo
	s_and_b32 vcc_lo, exec_lo, s39
	s_cbranch_vccnz .LBB33_85
; %bb.84:
	s_delay_alu instid0(VALU_DEP_1) | instskip(SKIP_3) | instid1(SALU_CYCLE_1)
	v_dual_mov_b32 v0, v40 :: v_dual_mov_b32 v1, v74
	s_getpc_b64 s[0:1]
	s_add_u32 s0, s0, _ZN12_GLOBAL__N_111calc_igammaIfEET_S1_S1_@rel32@lo+4
	s_addc_u32 s1, s1, _ZN12_GLOBAL__N_111calc_igammaIfEET_S1_S1_@rel32@hi+12
	s_swappc_b64 s[30:31], s[0:1]
	v_mov_b32_e32 v73, v0
	s_cbranch_execz .LBB33_86
	s_branch .LBB33_87
.LBB33_85:
                                        ; implicit-def: $vgpr73
.LBB33_86:
	s_delay_alu instid0(VALU_DEP_1) | instskip(SKIP_3) | instid1(SALU_CYCLE_1)
	v_dual_mov_b32 v0, v40 :: v_dual_mov_b32 v1, v74
	s_getpc_b64 s[0:1]
	s_add_u32 s0, s0, _ZN12_GLOBAL__N_112calc_igammacIfEET_S1_S1_@rel32@lo+4
	s_addc_u32 s1, s1, _ZN12_GLOBAL__N_112calc_igammacIfEET_S1_S1_@rel32@hi+12
	s_swappc_b64 s[30:31], s[0:1]
	v_mov_b32_e32 v73, v0
.LBB33_87:
	v_bfe_u32 v0, v75, 16, 1
	v_cmp_o_f32_e32 vcc_lo, v75, v75
	v_and_b32_e32 v40, 0xffff0000, v90
	s_delay_alu instid0(VALU_DEP_3) | instskip(NEXT) | instid1(VALU_DEP_1)
	v_add3_u32 v0, v75, v0, 0x7fff
	v_and_b32_e32 v0, 0xffff0000, v0
	s_delay_alu instid0(VALU_DEP_1)
	v_cndmask_b32_e32 v75, 0x7fc00000, v0, vcc_lo
	s_and_b32 vcc_lo, exec_lo, s39
	s_cbranch_vccnz .LBB33_89
; %bb.88:
	s_delay_alu instid0(VALU_DEP_1) | instskip(SKIP_3) | instid1(SALU_CYCLE_1)
	v_dual_mov_b32 v0, v40 :: v_dual_mov_b32 v1, v75
	s_getpc_b64 s[0:1]
	s_add_u32 s0, s0, _ZN12_GLOBAL__N_111calc_igammaIfEET_S1_S1_@rel32@lo+4
	s_addc_u32 s1, s1, _ZN12_GLOBAL__N_111calc_igammaIfEET_S1_S1_@rel32@hi+12
	s_swappc_b64 s[30:31], s[0:1]
	v_mov_b32_e32 v74, v0
	s_cbranch_execz .LBB33_90
	s_branch .LBB33_91
.LBB33_89:
                                        ; implicit-def: $vgpr74
.LBB33_90:
	s_delay_alu instid0(VALU_DEP_1) | instskip(SKIP_3) | instid1(SALU_CYCLE_1)
	v_dual_mov_b32 v0, v40 :: v_dual_mov_b32 v1, v75
	s_getpc_b64 s[0:1]
	s_add_u32 s0, s0, _ZN12_GLOBAL__N_112calc_igammacIfEET_S1_S1_@rel32@lo+4
	s_addc_u32 s1, s1, _ZN12_GLOBAL__N_112calc_igammacIfEET_S1_S1_@rel32@hi+12
	s_swappc_b64 s[30:31], s[0:1]
	v_mov_b32_e32 v74, v0
.LBB33_91:
	v_bfe_u32 v0, v76, 16, 1
	v_cmp_o_f32_e32 vcc_lo, v76, v76
	v_lshlrev_b32_e32 v40, 16, v91
	s_delay_alu instid0(VALU_DEP_3) | instskip(NEXT) | instid1(VALU_DEP_1)
	v_add3_u32 v0, v76, v0, 0x7fff
	v_and_b32_e32 v0, 0xffff0000, v0
	s_delay_alu instid0(VALU_DEP_1)
	v_cndmask_b32_e32 v76, 0x7fc00000, v0, vcc_lo
	s_and_b32 vcc_lo, exec_lo, s39
	s_cbranch_vccnz .LBB33_93
; %bb.92:
	v_mov_b32_e32 v0, v40
	s_delay_alu instid0(VALU_DEP_2) | instskip(SKIP_3) | instid1(SALU_CYCLE_1)
	v_mov_b32_e32 v1, v76
	s_getpc_b64 s[0:1]
	s_add_u32 s0, s0, _ZN12_GLOBAL__N_111calc_igammaIfEET_S1_S1_@rel32@lo+4
	s_addc_u32 s1, s1, _ZN12_GLOBAL__N_111calc_igammaIfEET_S1_S1_@rel32@hi+12
	s_swappc_b64 s[30:31], s[0:1]
	v_mov_b32_e32 v75, v0
	s_cbranch_execz .LBB33_94
	s_branch .LBB33_95
.LBB33_93:
                                        ; implicit-def: $vgpr75
.LBB33_94:
	v_mov_b32_e32 v0, v40
	s_delay_alu instid0(VALU_DEP_2) | instskip(SKIP_3) | instid1(SALU_CYCLE_1)
	v_mov_b32_e32 v1, v76
	s_getpc_b64 s[0:1]
	s_add_u32 s0, s0, _ZN12_GLOBAL__N_112calc_igammacIfEET_S1_S1_@rel32@lo+4
	s_addc_u32 s1, s1, _ZN12_GLOBAL__N_112calc_igammacIfEET_S1_S1_@rel32@hi+12
	s_swappc_b64 s[30:31], s[0:1]
	v_mov_b32_e32 v75, v0
.LBB33_95:
	v_bfe_u32 v0, v77, 16, 1
	v_cmp_o_f32_e32 vcc_lo, v77, v77
	v_and_b32_e32 v40, 0xffff0000, v91
	s_delay_alu instid0(VALU_DEP_3) | instskip(NEXT) | instid1(VALU_DEP_1)
	v_add3_u32 v0, v77, v0, 0x7fff
	v_and_b32_e32 v0, 0xffff0000, v0
	s_delay_alu instid0(VALU_DEP_1)
	v_cndmask_b32_e32 v76, 0x7fc00000, v0, vcc_lo
	s_and_b32 vcc_lo, exec_lo, s39
	s_cbranch_vccnz .LBB33_97
; %bb.96:
	v_mov_b32_e32 v0, v40
	s_delay_alu instid0(VALU_DEP_2) | instskip(SKIP_3) | instid1(SALU_CYCLE_1)
	v_mov_b32_e32 v1, v76
	s_getpc_b64 s[0:1]
	s_add_u32 s0, s0, _ZN12_GLOBAL__N_111calc_igammaIfEET_S1_S1_@rel32@lo+4
	s_addc_u32 s1, s1, _ZN12_GLOBAL__N_111calc_igammaIfEET_S1_S1_@rel32@hi+12
	s_swappc_b64 s[30:31], s[0:1]
	v_mov_b32_e32 v77, v0
	s_cbranch_execz .LBB33_98
	s_branch .LBB33_99
.LBB33_97:
                                        ; implicit-def: $vgpr77
.LBB33_98:
	v_mov_b32_e32 v0, v40
	s_delay_alu instid0(VALU_DEP_2) | instskip(SKIP_3) | instid1(SALU_CYCLE_1)
	v_mov_b32_e32 v1, v76
	s_getpc_b64 s[0:1]
	s_add_u32 s0, s0, _ZN12_GLOBAL__N_112calc_igammacIfEET_S1_S1_@rel32@lo+4
	s_addc_u32 s1, s1, _ZN12_GLOBAL__N_112calc_igammacIfEET_S1_S1_@rel32@hi+12
	s_swappc_b64 s[30:31], s[0:1]
	v_mov_b32_e32 v77, v0
.LBB33_99:
	s_waitcnt vmcnt(1)
	v_bfe_u32 v0, v78, 16, 1
	v_cmp_o_f32_e32 vcc_lo, v78, v78
	v_lshlrev_b32_e32 v40, 16, v88
	s_delay_alu instid0(VALU_DEP_3) | instskip(NEXT) | instid1(VALU_DEP_1)
	v_add3_u32 v0, v78, v0, 0x7fff
	v_and_b32_e32 v0, 0xffff0000, v0
	s_delay_alu instid0(VALU_DEP_1)
	v_cndmask_b32_e32 v78, 0x7fc00000, v0, vcc_lo
	s_and_b32 vcc_lo, exec_lo, s39
	s_cbranch_vccnz .LBB33_101
; %bb.100:
	s_delay_alu instid0(VALU_DEP_1) | instskip(SKIP_3) | instid1(SALU_CYCLE_1)
	v_dual_mov_b32 v0, v40 :: v_dual_mov_b32 v1, v78
	s_getpc_b64 s[0:1]
	s_add_u32 s0, s0, _ZN12_GLOBAL__N_111calc_igammaIfEET_S1_S1_@rel32@lo+4
	s_addc_u32 s1, s1, _ZN12_GLOBAL__N_111calc_igammaIfEET_S1_S1_@rel32@hi+12
	s_swappc_b64 s[30:31], s[0:1]
	v_mov_b32_e32 v76, v0
	s_cbranch_execz .LBB33_102
	s_branch .LBB33_103
.LBB33_101:
                                        ; implicit-def: $vgpr76
.LBB33_102:
	s_delay_alu instid0(VALU_DEP_1) | instskip(SKIP_3) | instid1(SALU_CYCLE_1)
	v_dual_mov_b32 v0, v40 :: v_dual_mov_b32 v1, v78
	s_getpc_b64 s[0:1]
	s_add_u32 s0, s0, _ZN12_GLOBAL__N_112calc_igammacIfEET_S1_S1_@rel32@lo+4
	s_addc_u32 s1, s1, _ZN12_GLOBAL__N_112calc_igammacIfEET_S1_S1_@rel32@hi+12
	s_swappc_b64 s[30:31], s[0:1]
	v_mov_b32_e32 v76, v0
.LBB33_103:
	v_bfe_u32 v0, v79, 16, 1
	v_cmp_o_f32_e32 vcc_lo, v79, v79
	v_and_b32_e32 v40, 0xffff0000, v88
	s_delay_alu instid0(VALU_DEP_3) | instskip(NEXT) | instid1(VALU_DEP_1)
	v_add3_u32 v0, v79, v0, 0x7fff
	v_and_b32_e32 v0, 0xffff0000, v0
	s_delay_alu instid0(VALU_DEP_1)
	v_cndmask_b32_e32 v79, 0x7fc00000, v0, vcc_lo
	s_and_b32 vcc_lo, exec_lo, s39
	s_cbranch_vccnz .LBB33_105
; %bb.104:
	s_delay_alu instid0(VALU_DEP_1) | instskip(SKIP_3) | instid1(SALU_CYCLE_1)
	v_dual_mov_b32 v0, v40 :: v_dual_mov_b32 v1, v79
	s_getpc_b64 s[0:1]
	s_add_u32 s0, s0, _ZN12_GLOBAL__N_111calc_igammaIfEET_S1_S1_@rel32@lo+4
	s_addc_u32 s1, s1, _ZN12_GLOBAL__N_111calc_igammaIfEET_S1_S1_@rel32@hi+12
	s_swappc_b64 s[30:31], s[0:1]
	v_mov_b32_e32 v78, v0
	s_cbranch_execz .LBB33_106
	s_branch .LBB33_107
.LBB33_105:
                                        ; implicit-def: $vgpr78
.LBB33_106:
	s_delay_alu instid0(VALU_DEP_1) | instskip(SKIP_3) | instid1(SALU_CYCLE_1)
	v_dual_mov_b32 v0, v40 :: v_dual_mov_b32 v1, v79
	s_getpc_b64 s[0:1]
	s_add_u32 s0, s0, _ZN12_GLOBAL__N_112calc_igammacIfEET_S1_S1_@rel32@lo+4
	s_addc_u32 s1, s1, _ZN12_GLOBAL__N_112calc_igammacIfEET_S1_S1_@rel32@hi+12
	s_swappc_b64 s[30:31], s[0:1]
	v_mov_b32_e32 v78, v0
.LBB33_107:
	v_bfe_u32 v0, v80, 16, 1
	v_cmp_o_f32_e32 vcc_lo, v80, v80
	v_lshlrev_b32_e32 v40, 16, v89
	s_delay_alu instid0(VALU_DEP_3) | instskip(NEXT) | instid1(VALU_DEP_1)
	v_add3_u32 v0, v80, v0, 0x7fff
	v_and_b32_e32 v0, 0xffff0000, v0
	s_delay_alu instid0(VALU_DEP_1)
	v_cndmask_b32_e32 v80, 0x7fc00000, v0, vcc_lo
	s_and_b32 vcc_lo, exec_lo, s39
	s_cbranch_vccnz .LBB33_109
; %bb.108:
	v_mov_b32_e32 v0, v40
	s_delay_alu instid0(VALU_DEP_2) | instskip(SKIP_3) | instid1(SALU_CYCLE_1)
	v_mov_b32_e32 v1, v80
	s_getpc_b64 s[0:1]
	s_add_u32 s0, s0, _ZN12_GLOBAL__N_111calc_igammaIfEET_S1_S1_@rel32@lo+4
	s_addc_u32 s1, s1, _ZN12_GLOBAL__N_111calc_igammaIfEET_S1_S1_@rel32@hi+12
	s_swappc_b64 s[30:31], s[0:1]
	v_mov_b32_e32 v79, v0
	s_cbranch_execz .LBB33_110
	s_branch .LBB33_111
.LBB33_109:
                                        ; implicit-def: $vgpr79
.LBB33_110:
	v_mov_b32_e32 v0, v40
	s_delay_alu instid0(VALU_DEP_2) | instskip(SKIP_3) | instid1(SALU_CYCLE_1)
	v_mov_b32_e32 v1, v80
	s_getpc_b64 s[0:1]
	s_add_u32 s0, s0, _ZN12_GLOBAL__N_112calc_igammacIfEET_S1_S1_@rel32@lo+4
	s_addc_u32 s1, s1, _ZN12_GLOBAL__N_112calc_igammacIfEET_S1_S1_@rel32@hi+12
	s_swappc_b64 s[30:31], s[0:1]
	v_mov_b32_e32 v79, v0
.LBB33_111:
	v_bfe_u32 v0, v81, 16, 1
	v_cmp_o_f32_e32 vcc_lo, v81, v81
	v_and_b32_e32 v40, 0xffff0000, v89
	s_delay_alu instid0(VALU_DEP_3) | instskip(NEXT) | instid1(VALU_DEP_1)
	v_add3_u32 v0, v81, v0, 0x7fff
	v_and_b32_e32 v0, 0xffff0000, v0
	s_delay_alu instid0(VALU_DEP_1)
	v_cndmask_b32_e32 v81, 0x7fc00000, v0, vcc_lo
	s_and_b32 vcc_lo, exec_lo, s39
	s_cbranch_vccnz .LBB33_113
; %bb.112:
	s_delay_alu instid0(VALU_DEP_1) | instskip(SKIP_3) | instid1(SALU_CYCLE_1)
	v_dual_mov_b32 v0, v40 :: v_dual_mov_b32 v1, v81
	s_getpc_b64 s[0:1]
	s_add_u32 s0, s0, _ZN12_GLOBAL__N_111calc_igammaIfEET_S1_S1_@rel32@lo+4
	s_addc_u32 s1, s1, _ZN12_GLOBAL__N_111calc_igammaIfEET_S1_S1_@rel32@hi+12
	s_swappc_b64 s[30:31], s[0:1]
	v_mov_b32_e32 v80, v0
	s_cbranch_execz .LBB33_114
	s_branch .LBB33_115
.LBB33_113:
                                        ; implicit-def: $vgpr80
.LBB33_114:
	s_delay_alu instid0(VALU_DEP_1) | instskip(SKIP_3) | instid1(SALU_CYCLE_1)
	v_dual_mov_b32 v0, v40 :: v_dual_mov_b32 v1, v81
	s_getpc_b64 s[0:1]
	s_add_u32 s0, s0, _ZN12_GLOBAL__N_112calc_igammacIfEET_S1_S1_@rel32@lo+4
	s_addc_u32 s1, s1, _ZN12_GLOBAL__N_112calc_igammacIfEET_S1_S1_@rel32@hi+12
	s_swappc_b64 s[30:31], s[0:1]
	v_mov_b32_e32 v80, v0
.LBB33_115:
	s_waitcnt vmcnt(0)
	v_bfe_u32 v0, v82, 16, 1
	v_cmp_o_f32_e32 vcc_lo, v82, v82
	v_lshlrev_b32_e32 v40, 16, v86
	s_delay_alu instid0(VALU_DEP_3) | instskip(NEXT) | instid1(VALU_DEP_1)
	v_add3_u32 v0, v82, v0, 0x7fff
	v_and_b32_e32 v0, 0xffff0000, v0
	s_delay_alu instid0(VALU_DEP_1)
	v_cndmask_b32_e32 v82, 0x7fc00000, v0, vcc_lo
	s_and_b32 vcc_lo, exec_lo, s39
	s_cbranch_vccnz .LBB33_117
; %bb.116:
	s_delay_alu instid0(VALU_DEP_1) | instskip(SKIP_3) | instid1(SALU_CYCLE_1)
	v_dual_mov_b32 v0, v40 :: v_dual_mov_b32 v1, v82
	s_getpc_b64 s[0:1]
	s_add_u32 s0, s0, _ZN12_GLOBAL__N_111calc_igammaIfEET_S1_S1_@rel32@lo+4
	s_addc_u32 s1, s1, _ZN12_GLOBAL__N_111calc_igammaIfEET_S1_S1_@rel32@hi+12
	s_swappc_b64 s[30:31], s[0:1]
	v_mov_b32_e32 v81, v0
	s_cbranch_execz .LBB33_118
	s_branch .LBB33_119
.LBB33_117:
                                        ; implicit-def: $vgpr81
.LBB33_118:
	s_delay_alu instid0(VALU_DEP_1) | instskip(SKIP_3) | instid1(SALU_CYCLE_1)
	v_dual_mov_b32 v0, v40 :: v_dual_mov_b32 v1, v82
	s_getpc_b64 s[0:1]
	s_add_u32 s0, s0, _ZN12_GLOBAL__N_112calc_igammacIfEET_S1_S1_@rel32@lo+4
	s_addc_u32 s1, s1, _ZN12_GLOBAL__N_112calc_igammacIfEET_S1_S1_@rel32@hi+12
	s_swappc_b64 s[30:31], s[0:1]
	v_mov_b32_e32 v81, v0
.LBB33_119:
	v_bfe_u32 v0, v83, 16, 1
	v_cmp_o_f32_e32 vcc_lo, v83, v83
	v_and_b32_e32 v40, 0xffff0000, v86
	s_delay_alu instid0(VALU_DEP_3) | instskip(NEXT) | instid1(VALU_DEP_1)
	v_add3_u32 v0, v83, v0, 0x7fff
	v_and_b32_e32 v0, 0xffff0000, v0
	s_delay_alu instid0(VALU_DEP_1)
	v_cndmask_b32_e32 v83, 0x7fc00000, v0, vcc_lo
	s_and_b32 vcc_lo, exec_lo, s39
	s_cbranch_vccnz .LBB33_121
; %bb.120:
	s_delay_alu instid0(VALU_DEP_1) | instskip(SKIP_3) | instid1(SALU_CYCLE_1)
	v_dual_mov_b32 v0, v40 :: v_dual_mov_b32 v1, v83
	s_getpc_b64 s[0:1]
	s_add_u32 s0, s0, _ZN12_GLOBAL__N_111calc_igammaIfEET_S1_S1_@rel32@lo+4
	s_addc_u32 s1, s1, _ZN12_GLOBAL__N_111calc_igammaIfEET_S1_S1_@rel32@hi+12
	s_swappc_b64 s[30:31], s[0:1]
	v_mov_b32_e32 v82, v0
	s_cbranch_execz .LBB33_122
	s_branch .LBB33_123
.LBB33_121:
                                        ; implicit-def: $vgpr82
.LBB33_122:
	s_delay_alu instid0(VALU_DEP_1) | instskip(SKIP_3) | instid1(SALU_CYCLE_1)
	v_dual_mov_b32 v0, v40 :: v_dual_mov_b32 v1, v83
	s_getpc_b64 s[0:1]
	s_add_u32 s0, s0, _ZN12_GLOBAL__N_112calc_igammacIfEET_S1_S1_@rel32@lo+4
	s_addc_u32 s1, s1, _ZN12_GLOBAL__N_112calc_igammacIfEET_S1_S1_@rel32@hi+12
	s_swappc_b64 s[30:31], s[0:1]
	v_mov_b32_e32 v82, v0
.LBB33_123:
	v_bfe_u32 v0, v84, 16, 1
	v_cmp_o_f32_e32 vcc_lo, v84, v84
	v_lshlrev_b32_e32 v40, 16, v87
	s_delay_alu instid0(VALU_DEP_3) | instskip(NEXT) | instid1(VALU_DEP_1)
	v_add3_u32 v0, v84, v0, 0x7fff
	v_and_b32_e32 v0, 0xffff0000, v0
	s_delay_alu instid0(VALU_DEP_1)
	v_cndmask_b32_e32 v84, 0x7fc00000, v0, vcc_lo
	s_and_b32 vcc_lo, exec_lo, s39
	s_cbranch_vccnz .LBB33_125
; %bb.124:
	v_mov_b32_e32 v0, v40
	s_delay_alu instid0(VALU_DEP_2) | instskip(SKIP_3) | instid1(SALU_CYCLE_1)
	v_mov_b32_e32 v1, v84
	s_getpc_b64 s[0:1]
	s_add_u32 s0, s0, _ZN12_GLOBAL__N_111calc_igammaIfEET_S1_S1_@rel32@lo+4
	s_addc_u32 s1, s1, _ZN12_GLOBAL__N_111calc_igammaIfEET_S1_S1_@rel32@hi+12
	s_swappc_b64 s[30:31], s[0:1]
	v_mov_b32_e32 v83, v0
	s_cbranch_execz .LBB33_126
	s_branch .LBB33_127
.LBB33_125:
                                        ; implicit-def: $vgpr83
.LBB33_126:
	v_mov_b32_e32 v0, v40
	s_delay_alu instid0(VALU_DEP_2) | instskip(SKIP_3) | instid1(SALU_CYCLE_1)
	v_mov_b32_e32 v1, v84
	s_getpc_b64 s[0:1]
	s_add_u32 s0, s0, _ZN12_GLOBAL__N_112calc_igammacIfEET_S1_S1_@rel32@lo+4
	s_addc_u32 s1, s1, _ZN12_GLOBAL__N_112calc_igammacIfEET_S1_S1_@rel32@hi+12
	s_swappc_b64 s[30:31], s[0:1]
	v_mov_b32_e32 v83, v0
.LBB33_127:
	v_bfe_u32 v0, v85, 16, 1
	v_cmp_o_f32_e32 vcc_lo, v85, v85
	v_and_b32_e32 v40, 0xffff0000, v87
	s_delay_alu instid0(VALU_DEP_3) | instskip(NEXT) | instid1(VALU_DEP_1)
	v_add3_u32 v0, v85, v0, 0x7fff
	v_and_b32_e32 v0, 0xffff0000, v0
	s_delay_alu instid0(VALU_DEP_1)
	v_cndmask_b32_e32 v84, 0x7fc00000, v0, vcc_lo
	s_and_b32 vcc_lo, exec_lo, s39
	s_cbranch_vccnz .LBB33_129
; %bb.128:
	v_mov_b32_e32 v0, v40
	s_delay_alu instid0(VALU_DEP_2) | instskip(SKIP_3) | instid1(SALU_CYCLE_1)
	v_mov_b32_e32 v1, v84
	s_getpc_b64 s[0:1]
	s_add_u32 s0, s0, _ZN12_GLOBAL__N_111calc_igammaIfEET_S1_S1_@rel32@lo+4
	s_addc_u32 s1, s1, _ZN12_GLOBAL__N_111calc_igammaIfEET_S1_S1_@rel32@hi+12
	s_swappc_b64 s[30:31], s[0:1]
	s_cbranch_execz .LBB33_130
	s_branch .LBB33_131
.LBB33_129:
                                        ; implicit-def: $vgpr0
.LBB33_130:
	v_mov_b32_e32 v0, v40
	s_delay_alu instid0(VALU_DEP_2) | instskip(SKIP_3) | instid1(SALU_CYCLE_1)
	v_mov_b32_e32 v1, v84
	s_getpc_b64 s[0:1]
	s_add_u32 s0, s0, _ZN12_GLOBAL__N_112calc_igammacIfEET_S1_S1_@rel32@lo+4
	s_addc_u32 s1, s1, _ZN12_GLOBAL__N_112calc_igammacIfEET_S1_S1_@rel32@hi+12
	s_swappc_b64 s[30:31], s[0:1]
.LBB33_131:
	v_bfe_u32 v2, v44, 16, 1
	v_bfe_u32 v1, v43, 16, 1
	;; [unrolled: 1-line block ×3, first 2 shown]
	v_cmp_o_f32_e32 vcc_lo, v44, v44
	v_bfe_u32 v3, v45, 16, 1
	v_add3_u32 v2, v44, v2, 0x7fff
	v_add3_u32 v1, v43, v1, 0x7fff
	;; [unrolled: 1-line block ×3, first 2 shown]
	v_bfe_u32 v5, v56, 16, 1
	v_add3_u32 v3, v45, v3, 0x7fff
	v_and_b32_e32 v2, 0xffff0000, v2
	v_lshrrev_b32_e32 v1, 16, v1
	v_and_b32_e32 v4, 0xffff0000, v4
	v_bfe_u32 v6, v47, 16, 1
	v_lshrrev_b32_e32 v3, 16, v3
	v_cndmask_b32_e32 v2, 0x7fc00000, v2, vcc_lo
	v_cmp_o_f32_e32 vcc_lo, v43, v43
	v_bfe_u32 v8, v59, 16, 1
	v_bfe_u32 v7, v57, 16, 1
	;; [unrolled: 1-line block ×4, first 2 shown]
	v_cndmask_b32_e32 v1, 0x7fc0, v1, vcc_lo
	v_cmp_o_f32_e32 vcc_lo, v46, v46
	v_bfe_u32 v11, v66, 16, 1
	v_bfe_u32 v12, v67, 16, 1
	s_add_u32 s0, s40, s46
	v_or_b32_e32 v1, v2, v1
	v_cndmask_b32_e32 v4, 0x7fc00000, v4, vcc_lo
	v_cmp_o_f32_e32 vcc_lo, v45, v45
	v_add3_u32 v12, v67, v12, 0x7fff
	v_add3_u32 v11, v66, v11, 0x7fff
	s_addc_u32 s1, s41, s47
	v_add_co_u32 v23, s3, s0, v102
	v_cndmask_b32_e32 v3, 0x7fc0, v3, vcc_lo
	v_cmp_o_f32_e32 vcc_lo, v56, v56
	v_add_co_ci_u32_e64 v24, null, s1, 0, s3
	v_bfe_u32 v17, v73, 16, 1
	s_delay_alu instid0(VALU_DEP_4)
	v_or3_b32 v2, 0, v3, v4
	v_add3_u32 v3, v56, v5, 0x7fff
	v_add3_u32 v4, v47, v6, 0x7fff
	;; [unrolled: 1-line block ×4, first 2 shown]
	v_bfe_u32 v7, v62, 16, 1
	v_and_b32_e32 v3, 0xffff0000, v3
	v_lshrrev_b32_e32 v4, 16, v4
	v_and_b32_e32 v6, 0xffff0000, v6
	v_lshrrev_b32_e32 v5, 16, v5
	v_bfe_u32 v8, v58, 16, 1
	v_cndmask_b32_e32 v3, 0x7fc00000, v3, vcc_lo
	v_cmp_o_f32_e32 vcc_lo, v47, v47
	v_bfe_u32 v18, v75, 16, 1
	v_bfe_u32 v19, v77, 16, 1
	v_add3_u32 v17, v73, v17, 0x7fff
	v_bfe_u32 v21, v79, 16, 1
	v_cndmask_b32_e32 v4, 0x7fc0, v4, vcc_lo
	v_cmp_o_f32_e32 vcc_lo, v59, v59
	v_add3_u32 v18, v75, v18, 0x7fff
	v_add3_u32 v19, v77, v19, 0x7fff
	v_bfe_u32 v20, v76, 16, 1
	v_or_b32_e32 v3, v3, v4
	v_cndmask_b32_e32 v6, 0x7fc00000, v6, vcc_lo
	v_cmp_o_f32_e32 vcc_lo, v57, v57
	v_bfe_u32 v22, v78, 16, 1
	v_bfe_u32 v26, v0, 16, 1
	v_bfe_u32 v25, v83, 16, 1
	v_or3_b32 v1, v1, 0, 0
	v_cndmask_b32_e32 v5, 0x7fc0, v5, vcc_lo
	v_cmp_o_f32_e32 vcc_lo, v62, v62
	v_add3_u32 v26, v0, v26, 0x7fff
	v_add3_u32 v25, v83, v25, 0x7fff
	v_or3_b32 v3, v3, 0, 0
	v_or3_b32 v4, 0, v5, v6
	v_add3_u32 v5, v62, v7, 0x7fff
	v_add3_u32 v7, v61, v9, 0x7fff
	;; [unrolled: 1-line block ×4, first 2 shown]
	v_bfe_u32 v10, v68, 16, 1
	v_and_b32_e32 v5, 0xffff0000, v5
	v_lshrrev_b32_e32 v7, 16, v7
	v_lshrrev_b32_e32 v6, 16, v6
	v_and_b32_e32 v8, 0xffff0000, v8
	v_add3_u32 v10, v68, v10, 0x7fff
	v_cndmask_b32_e32 v9, 0x7fc00000, v5, vcc_lo
	v_cmp_o_f32_e32 vcc_lo, v61, v61
	v_cndmask_b32_e32 v7, 0x7fc0, v7, vcc_lo
	v_cmp_o_f32_e32 vcc_lo, v60, v60
	;; [unrolled: 2-line block ×3, first 2 shown]
	v_bfe_u32 v8, v63, 16, 1
	v_cndmask_b32_e32 v6, 0x7fc0, v6, vcc_lo
	s_delay_alu instid0(VALU_DEP_2) | instskip(SKIP_1) | instid1(VALU_DEP_3)
	v_add3_u32 v8, v63, v8, 0x7fff
	v_cmp_o_f32_e32 vcc_lo, v68, v68
	v_or_b32_e32 v13, v5, v6
	v_and_b32_e32 v5, 0xffff0000, v10
	s_delay_alu instid0(VALU_DEP_4) | instskip(SKIP_2) | instid1(VALU_DEP_4)
	v_lshrrev_b32_e32 v6, 16, v8
	v_lshrrev_b32_e32 v8, 16, v12
	v_and_b32_e32 v10, 0xffff0000, v11
	v_cndmask_b32_e32 v11, 0x7fc00000, v5, vcc_lo
	v_cmp_o_f32_e32 vcc_lo, v67, v67
	s_delay_alu instid0(VALU_DEP_4)
	v_cndmask_b32_e32 v12, 0x7fc0, v8, vcc_lo
	v_cmp_o_f32_e32 vcc_lo, v66, v66
	v_or3_b32 v8, 0, v7, v9
	v_or3_b32 v7, v13, 0, 0
	v_bfe_u32 v13, v71, 16, 1
	v_cndmask_b32_e32 v10, 0x7fc00000, v10, vcc_lo
	v_cmp_o_f32_e32 vcc_lo, v63, v63
	s_delay_alu instid0(VALU_DEP_3) | instskip(SKIP_3) | instid1(VALU_DEP_3)
	v_add3_u32 v13, v71, v13, 0x7fff
	v_cndmask_b32_e32 v14, 0x7fc0, v6, vcc_lo
	v_add_co_u32 v5, vcc_lo, 0x1000, v23
	v_add_co_ci_u32_e32 v6, vcc_lo, 0, v24, vcc_lo
	v_or_b32_e32 v9, v10, v14
	v_or3_b32 v10, 0, v12, v11
	v_bfe_u32 v12, v70, 16, 1
	v_bfe_u32 v11, v69, 16, 1
	;; [unrolled: 1-line block ×3, first 2 shown]
	v_lshrrev_b32_e32 v13, 16, v13
	v_or3_b32 v9, v9, 0, 0
	v_add3_u32 v16, v70, v12, 0x7fff
	v_add3_u32 v15, v69, v11, 0x7fff
	v_add_co_u32 v11, vcc_lo, 0x3000, v23
	v_add_co_ci_u32_e32 v12, vcc_lo, 0, v24, vcc_lo
	s_delay_alu instid0(VALU_DEP_4) | instskip(SKIP_3) | instid1(VALU_DEP_4)
	v_and_b32_e32 v16, 0xffff0000, v16
	v_cmp_o_f32_e32 vcc_lo, v70, v70
	v_add3_u32 v14, v72, v14, 0x7fff
	v_lshrrev_b32_e32 v15, 16, v15
	v_cndmask_b32_e32 v16, 0x7fc00000, v16, vcc_lo
	v_cmp_o_f32_e32 vcc_lo, v69, v69
	s_delay_alu instid0(VALU_DEP_4) | instskip(NEXT) | instid1(VALU_DEP_4)
	v_and_b32_e32 v14, 0xffff0000, v14
	v_cndmask_b32_e32 v15, 0x7fc0, v15, vcc_lo
	v_cmp_o_f32_e32 vcc_lo, v72, v72
	s_delay_alu instid0(VALU_DEP_2) | instskip(NEXT) | instid1(VALU_DEP_4)
	v_or_b32_e32 v15, v16, v15
	v_cndmask_b32_e32 v14, 0x7fc00000, v14, vcc_lo
	v_cmp_o_f32_e32 vcc_lo, v71, v71
	v_bfe_u32 v16, v74, 16, 1
	v_cndmask_b32_e32 v13, 0x7fc0, v13, vcc_lo
	s_delay_alu instid0(VALU_DEP_2) | instskip(SKIP_1) | instid1(VALU_DEP_3)
	v_add3_u32 v16, v74, v16, 0x7fff
	v_cmp_o_f32_e32 vcc_lo, v74, v74
	v_or3_b32 v14, 0, v13, v14
	v_or3_b32 v13, v15, 0, 0
	s_delay_alu instid0(VALU_DEP_4)
	v_and_b32_e32 v15, 0xffff0000, v16
	v_lshrrev_b32_e32 v16, 16, v17
	v_lshrrev_b32_e32 v17, 16, v18
	v_and_b32_e32 v18, 0xffff0000, v19
	v_bfe_u32 v19, v80, 16, 1
	v_cndmask_b32_e32 v15, 0x7fc00000, v15, vcc_lo
	v_cmp_o_f32_e32 vcc_lo, v73, v73
	v_cndmask_b32_e32 v16, 0x7fc0, v16, vcc_lo
	v_cmp_o_f32_e32 vcc_lo, v77, v77
	s_delay_alu instid0(VALU_DEP_2) | instskip(SKIP_2) | instid1(VALU_DEP_3)
	v_or_b32_e32 v15, v15, v16
	v_cndmask_b32_e32 v18, 0x7fc00000, v18, vcc_lo
	v_cmp_o_f32_e32 vcc_lo, v75, v75
	v_or3_b32 v15, v15, 0, 0
	v_cndmask_b32_e32 v17, 0x7fc0, v17, vcc_lo
	v_cmp_o_f32_e32 vcc_lo, v80, v80
	s_delay_alu instid0(VALU_DEP_2)
	v_or3_b32 v16, 0, v17, v18
	v_add3_u32 v17, v80, v19, 0x7fff
	v_add3_u32 v19, v79, v21, 0x7fff
	;; [unrolled: 1-line block ×4, first 2 shown]
	v_bfe_u32 v22, v82, 16, 1
	v_and_b32_e32 v17, 0xffff0000, v17
	v_lshrrev_b32_e32 v19, 16, v19
	v_lshrrev_b32_e32 v18, 16, v18
	v_and_b32_e32 v20, 0xffff0000, v20
	v_add3_u32 v22, v82, v22, 0x7fff
	v_cndmask_b32_e32 v21, 0x7fc00000, v17, vcc_lo
	v_cmp_o_f32_e32 vcc_lo, v79, v79
	v_cndmask_b32_e32 v19, 0x7fc0, v19, vcc_lo
	v_cmp_o_f32_e32 vcc_lo, v78, v78
	;; [unrolled: 2-line block ×3, first 2 shown]
	v_bfe_u32 v20, v81, 16, 1
	v_cndmask_b32_e32 v18, 0x7fc0, v18, vcc_lo
	s_delay_alu instid0(VALU_DEP_2) | instskip(SKIP_1) | instid1(VALU_DEP_3)
	v_add3_u32 v20, v81, v20, 0x7fff
	v_cmp_o_f32_e32 vcc_lo, v82, v82
	v_or_b32_e32 v27, v17, v18
	v_and_b32_e32 v17, 0xffff0000, v22
	s_delay_alu instid0(VALU_DEP_4) | instskip(SKIP_2) | instid1(VALU_DEP_4)
	v_lshrrev_b32_e32 v18, 16, v20
	v_and_b32_e32 v22, 0xffff0000, v26
	v_lshrrev_b32_e32 v20, 16, v25
	v_cndmask_b32_e32 v17, 0x7fc00000, v17, vcc_lo
	v_cmp_o_f32_e32 vcc_lo, v81, v81
	v_cndmask_b32_e32 v18, 0x7fc0, v18, vcc_lo
	v_cmp_o_f32_e32 vcc_lo, v0, v0
	s_delay_alu instid0(VALU_DEP_2)
	v_or_b32_e32 v25, v17, v18
	v_cndmask_b32_e32 v0, 0x7fc00000, v22, vcc_lo
	v_cmp_o_f32_e32 vcc_lo, v83, v83
	v_cndmask_b32_e32 v22, 0x7fc0, v20, vcc_lo
	v_add_co_u32 v17, vcc_lo, 0x5000, v23
	v_add_co_ci_u32_e32 v18, vcc_lo, 0, v24, vcc_lo
	v_or3_b32 v20, 0, v19, v21
	v_or3_b32 v19, v27, 0, 0
	v_add_co_u32 v23, vcc_lo, 0x7000, v23
	v_or3_b32 v22, 0, v22, v0
	v_or3_b32 v21, v25, 0, 0
	v_add_co_ci_u32_e32 v24, vcc_lo, 0, v24, vcc_lo
	s_clause 0x7
	global_store_b64 v102, v[1:2], s[0:1]
	global_store_b64 v103, v[7:8], s[0:1]
	;; [unrolled: 1-line block ×4, first 2 shown]
	global_store_b64 v[5:6], v[3:4], off
	global_store_b64 v[11:12], v[9:10], off
	;; [unrolled: 1-line block ×4, first 2 shown]
	s_branch .LBB33_2
.LBB33_132:
	s_clause 0x1
	s_load_b32 s6, s[36:37], 0x24
	s_load_b128 s[0:3], s[36:37], 0x28
	v_cndmask_b32_e64 v0, 0, 1, s49
	v_dual_mov_b32 v31, v42 :: v_dual_mov_b32 v2, s41
	v_dual_mov_b32 v1, s40 :: v_dual_mov_b32 v4, s43
	;; [unrolled: 1-line block ×3, first 2 shown]
	v_mov_b32_e32 v5, s44
	v_mov_b32_e32 v7, s48
	s_add_u32 s8, s36, 56
	s_addc_u32 s9, s37, 0
	s_mov_b32 s12, s38
	s_getpc_b64 s[4:5]
	s_add_u32 s4, s4, _ZN2at6native25elementwise_kernel_helperILb1EN12_GLOBAL__N_110CalcIgammaIfEENS0_6memory8policies11unroll_baseILi512ESt5arrayIPcLm3EE23TrivialOffsetCalculatorILi2EjESB_ILi1EjENS5_12LoadWithCastILi2EEENS5_13StoreWithCastILi1EEELi32ELi1EEEEEvT0_T1_@rel32@lo+4
	s_addc_u32 s5, s5, _ZN2at6native25elementwise_kernel_helperILb1EN12_GLOBAL__N_110CalcIgammaIfEENS0_6memory8policies11unroll_baseILi512ESt5arrayIPcLm3EE23TrivialOffsetCalculatorILi2EjESB_ILi1EjENS5_12LoadWithCastILi2EEENS5_13StoreWithCastILi1EEELi32ELi1EEEEEvT0_T1_@rel32@hi+12
	s_waitcnt lgkmcnt(0)
	v_lshrrev_b16 v9, 8, s6
	v_mov_b32_e32 v10, s0
	v_dual_mov_b32 v8, s6 :: v_dual_mov_b32 v11, s1
	v_dual_mov_b32 v12, s2 :: v_dual_mov_b32 v13, s3
	s_swappc_b64 s[30:31], s[4:5]
	s_endpgm
	.section	.rodata,"a",@progbits
	.p2align	6, 0x0
	.amdhsa_kernel _ZN2at6native39vectorized_templated_elementwise_kernelILi4EN12_GLOBAL__N_110CalcIgammaIfEESt5arrayIPcLm3EE23TrivialOffsetCalculatorILi2EjES8_ILi1EjENS0_6memory12LoadWithCastILi2EEENSB_13StoreWithCastILi1EEEN3c108BFloat16EJSH_fEEEviT0_T1_T2_T3_T4_T5_
		.amdhsa_group_segment_fixed_size 0
		.amdhsa_private_segment_fixed_size 448
		.amdhsa_kernarg_size 312
		.amdhsa_user_sgpr_count 15
		.amdhsa_user_sgpr_dispatch_ptr 0
		.amdhsa_user_sgpr_queue_ptr 0
		.amdhsa_user_sgpr_kernarg_segment_ptr 1
		.amdhsa_user_sgpr_dispatch_id 0
		.amdhsa_user_sgpr_private_segment_size 0
		.amdhsa_wavefront_size32 1
		.amdhsa_uses_dynamic_stack 0
		.amdhsa_enable_private_segment 1
		.amdhsa_system_sgpr_workgroup_id_x 1
		.amdhsa_system_sgpr_workgroup_id_y 0
		.amdhsa_system_sgpr_workgroup_id_z 0
		.amdhsa_system_sgpr_workgroup_info 0
		.amdhsa_system_vgpr_workitem_id 0
		.amdhsa_next_free_vgpr 147
		.amdhsa_next_free_sgpr 77
		.amdhsa_reserve_vcc 1
		.amdhsa_float_round_mode_32 0
		.amdhsa_float_round_mode_16_64 0
		.amdhsa_float_denorm_mode_32 3
		.amdhsa_float_denorm_mode_16_64 3
		.amdhsa_dx10_clamp 1
		.amdhsa_ieee_mode 1
		.amdhsa_fp16_overflow 0
		.amdhsa_workgroup_processor_mode 1
		.amdhsa_memory_ordered 1
		.amdhsa_forward_progress 0
		.amdhsa_shared_vgpr_count 0
		.amdhsa_exception_fp_ieee_invalid_op 0
		.amdhsa_exception_fp_denorm_src 0
		.amdhsa_exception_fp_ieee_div_zero 0
		.amdhsa_exception_fp_ieee_overflow 0
		.amdhsa_exception_fp_ieee_underflow 0
		.amdhsa_exception_fp_ieee_inexact 0
		.amdhsa_exception_int_div_zero 0
	.end_amdhsa_kernel
	.section	.text._ZN2at6native39vectorized_templated_elementwise_kernelILi4EN12_GLOBAL__N_110CalcIgammaIfEESt5arrayIPcLm3EE23TrivialOffsetCalculatorILi2EjES8_ILi1EjENS0_6memory12LoadWithCastILi2EEENSB_13StoreWithCastILi1EEEN3c108BFloat16EJSH_fEEEviT0_T1_T2_T3_T4_T5_,"axG",@progbits,_ZN2at6native39vectorized_templated_elementwise_kernelILi4EN12_GLOBAL__N_110CalcIgammaIfEESt5arrayIPcLm3EE23TrivialOffsetCalculatorILi2EjES8_ILi1EjENS0_6memory12LoadWithCastILi2EEENSB_13StoreWithCastILi1EEEN3c108BFloat16EJSH_fEEEviT0_T1_T2_T3_T4_T5_,comdat
.Lfunc_end33:
	.size	_ZN2at6native39vectorized_templated_elementwise_kernelILi4EN12_GLOBAL__N_110CalcIgammaIfEESt5arrayIPcLm3EE23TrivialOffsetCalculatorILi2EjES8_ILi1EjENS0_6memory12LoadWithCastILi2EEENSB_13StoreWithCastILi1EEEN3c108BFloat16EJSH_fEEEviT0_T1_T2_T3_T4_T5_, .Lfunc_end33-_ZN2at6native39vectorized_templated_elementwise_kernelILi4EN12_GLOBAL__N_110CalcIgammaIfEESt5arrayIPcLm3EE23TrivialOffsetCalculatorILi2EjES8_ILi1EjENS0_6memory12LoadWithCastILi2EEENSB_13StoreWithCastILi1EEEN3c108BFloat16EJSH_fEEEviT0_T1_T2_T3_T4_T5_
                                        ; -- End function
	.section	.AMDGPU.csdata,"",@progbits
; Kernel info:
; codeLenInByte = 7096
; NumSgprs: 79
; NumVgprs: 147
; ScratchSize: 448
; MemoryBound: 0
; FloatMode: 240
; IeeeMode: 1
; LDSByteSize: 0 bytes/workgroup (compile time only)
; SGPRBlocks: 9
; VGPRBlocks: 18
; NumSGPRsForWavesPerEU: 79
; NumVGPRsForWavesPerEU: 147
; Occupancy: 9
; WaveLimiterHint : 0
; COMPUTE_PGM_RSRC2:SCRATCH_EN: 1
; COMPUTE_PGM_RSRC2:USER_SGPR: 15
; COMPUTE_PGM_RSRC2:TRAP_HANDLER: 0
; COMPUTE_PGM_RSRC2:TGID_X_EN: 1
; COMPUTE_PGM_RSRC2:TGID_Y_EN: 0
; COMPUTE_PGM_RSRC2:TGID_Z_EN: 0
; COMPUTE_PGM_RSRC2:TIDIG_COMP_CNT: 0
	.section	.text._ZN2at6native39vectorized_templated_elementwise_kernelILi2EN12_GLOBAL__N_110CalcIgammaIfEESt5arrayIPcLm3EE23TrivialOffsetCalculatorILi2EjES8_ILi1EjENS0_6memory12LoadWithCastILi2EEENSB_13StoreWithCastILi1EEEN3c108BFloat16EJSH_fEEEviT0_T1_T2_T3_T4_T5_,"axG",@progbits,_ZN2at6native39vectorized_templated_elementwise_kernelILi2EN12_GLOBAL__N_110CalcIgammaIfEESt5arrayIPcLm3EE23TrivialOffsetCalculatorILi2EjES8_ILi1EjENS0_6memory12LoadWithCastILi2EEENSB_13StoreWithCastILi1EEEN3c108BFloat16EJSH_fEEEviT0_T1_T2_T3_T4_T5_,comdat
	.globl	_ZN2at6native39vectorized_templated_elementwise_kernelILi2EN12_GLOBAL__N_110CalcIgammaIfEESt5arrayIPcLm3EE23TrivialOffsetCalculatorILi2EjES8_ILi1EjENS0_6memory12LoadWithCastILi2EEENSB_13StoreWithCastILi1EEEN3c108BFloat16EJSH_fEEEviT0_T1_T2_T3_T4_T5_ ; -- Begin function _ZN2at6native39vectorized_templated_elementwise_kernelILi2EN12_GLOBAL__N_110CalcIgammaIfEESt5arrayIPcLm3EE23TrivialOffsetCalculatorILi2EjES8_ILi1EjENS0_6memory12LoadWithCastILi2EEENSB_13StoreWithCastILi1EEEN3c108BFloat16EJSH_fEEEviT0_T1_T2_T3_T4_T5_
	.p2align	8
	.type	_ZN2at6native39vectorized_templated_elementwise_kernelILi2EN12_GLOBAL__N_110CalcIgammaIfEESt5arrayIPcLm3EE23TrivialOffsetCalculatorILi2EjES8_ILi1EjENS0_6memory12LoadWithCastILi2EEENSB_13StoreWithCastILi1EEEN3c108BFloat16EJSH_fEEEviT0_T1_T2_T3_T4_T5_,@function
_ZN2at6native39vectorized_templated_elementwise_kernelILi2EN12_GLOBAL__N_110CalcIgammaIfEESt5arrayIPcLm3EE23TrivialOffsetCalculatorILi2EjES8_ILi1EjENS0_6memory12LoadWithCastILi2EEENSB_13StoreWithCastILi1EEEN3c108BFloat16EJSH_fEEEviT0_T1_T2_T3_T4_T5_: ; @_ZN2at6native39vectorized_templated_elementwise_kernelILi2EN12_GLOBAL__N_110CalcIgammaIfEESt5arrayIPcLm3EE23TrivialOffsetCalculatorILi2EjES8_ILi1EjENS0_6memory12LoadWithCastILi2EEENSB_13StoreWithCastILi1EEEN3c108BFloat16EJSH_fEEEviT0_T1_T2_T3_T4_T5_
; %bb.0:
	s_mov_b64 s[36:37], s[0:1]
	s_clause 0x1
	s_load_b64 s[2:3], s[0:1], 0x0
	s_load_b32 s0, s[0:1], 0x38
	s_clause 0x1
	s_load_b64 s[44:45], s[36:37], 0x18
	s_load_b128 s[40:43], s[36:37], 0x8
	v_mov_b32_e32 v42, v0
	s_mov_b32 s38, s15
	s_mov_b32 s32, 0
	s_waitcnt lgkmcnt(0)
	s_bitcmp1_b32 s3, 0
	s_cselect_b32 s49, -1, 0
	s_not_b32 s1, s15
	s_delay_alu instid0(SALU_CYCLE_1) | instskip(NEXT) | instid1(SALU_CYCLE_1)
	s_add_i32 s0, s0, s1
	s_lshl_b32 s0, s0, 14
	s_delay_alu instid0(SALU_CYCLE_1)
	s_sub_i32 s48, s2, s0
	s_mov_b32 s2, -1
	s_cmpk_gt_i32 s48, 0x3fff
	s_cbranch_scc1 .LBB34_3
; %bb.1:
	s_and_b32 vcc_lo, exec_lo, s2
	s_cbranch_vccnz .LBB34_132
.LBB34_2:
	s_endpgm
.LBB34_3:
	s_ashr_i32 s1, s0, 31
	v_lshlrev_b32_e32 v86, 2, v42
	s_lshl_b64 s[46:47], s[0:1], 1
	s_xor_b32 s50, s49, -1
	s_add_u32 s2, s42, s46
	s_addc_u32 s3, s43, s47
	v_add_co_u32 v6, s4, s2, v86
	s_delay_alu instid0(VALU_DEP_1) | instskip(SKIP_1) | instid1(VALU_DEP_3)
	v_add_co_ci_u32_e64 v7, null, s3, 0, s4
	v_or_b32_e32 v8, 0x400, v42
	v_add_co_u32 v0, vcc_lo, 0x1000, v6
	s_delay_alu instid0(VALU_DEP_3)
	v_add_co_ci_u32_e32 v1, vcc_lo, 0, v7, vcc_lo
	v_or_b32_e32 v9, 0x800, v42
	v_add_co_u32 v2, vcc_lo, 0x2000, v6
	v_or_b32_e32 v10, 0xc00, v42
	v_add_co_ci_u32_e32 v3, vcc_lo, 0, v7, vcc_lo
	v_lshlrev_b32_e32 v87, 2, v8
	v_add_co_u32 v4, vcc_lo, 0x3000, v6
	v_lshlrev_b32_e32 v88, 2, v9
	v_add_co_ci_u32_e32 v5, vcc_lo, 0, v7, vcc_lo
	v_lshlrev_b32_e32 v89, 2, v10
	s_clause 0x7
	global_load_b32 v109, v86, s[2:3]
	global_load_b32 v108, v86, s[2:3] offset:2048
	global_load_b32 v107, v87, s[2:3]
	global_load_b32 v106, v[0:1], off offset:2048
	global_load_b32 v105, v88, s[2:3]
	global_load_b32 v104, v[2:3], off offset:2048
	;; [unrolled: 2-line block ×3, first 2 shown]
	v_add_co_u32 v0, vcc_lo, 0x4000, v6
	v_or_b32_e32 v11, 0x1000, v42
	v_add_co_ci_u32_e32 v1, vcc_lo, 0, v7, vcc_lo
	v_lshlrev_b32_e32 v15, 3, v42
	v_add_co_u32 v2, vcc_lo, 0x5000, v6
	s_lshl_b64 s[0:1], s[0:1], 2
	v_or_b32_e32 v12, 0x1400, v42
	v_add_co_ci_u32_e32 v3, vcc_lo, 0, v7, vcc_lo
	s_add_u32 s0, s44, s0
	v_or_b32_e32 v13, 0x1800, v42
	v_add_co_u32 v4, vcc_lo, 0x6000, v6
	v_lshlrev_b32_e32 v90, 2, v11
	v_or_b32_e32 v14, 0x1c00, v42
	s_addc_u32 s1, s45, s1
	v_add_co_u32 v16, s4, s0, v15
	v_add_co_ci_u32_e32 v5, vcc_lo, 0, v7, vcc_lo
	v_lshlrev_b32_e32 v91, 2, v12
	v_add_co_u32 v6, vcc_lo, 0x7000, v6
	v_add_co_ci_u32_e64 v17, null, s1, 0, s4
	v_lshlrev_b32_e32 v93, 2, v13
	v_add_co_ci_u32_e32 v7, vcc_lo, 0, v7, vcc_lo
	v_lshlrev_b32_e32 v92, 2, v14
	s_clause 0x7
	global_load_b32 v101, v90, s[2:3]
	global_load_b32 v100, v[0:1], off offset:2048
	global_load_b32 v99, v91, s[2:3]
	global_load_b32 v98, v[2:3], off offset:2048
	;; [unrolled: 2-line block ×4, first 2 shown]
	v_add_co_u32 v0, vcc_lo, 0x1000, v16
	v_add_co_ci_u32_e32 v1, vcc_lo, 0, v17, vcc_lo
	v_add_co_u32 v2, vcc_lo, 0x3000, v16
	v_add_co_ci_u32_e32 v3, vcc_lo, 0, v17, vcc_lo
	;; [unrolled: 2-line block ×3, first 2 shown]
	v_lshlrev_b32_e32 v8, 3, v8
	v_add_co_u32 v6, vcc_lo, 0x7000, v16
	v_lshlrev_b32_e32 v9, 3, v9
	v_add_co_ci_u32_e32 v7, vcc_lo, 0, v17, vcc_lo
	v_lshlrev_b32_e32 v10, 3, v10
	s_clause 0x7
	global_load_b64 v[44:45], v15, s[0:1]
	global_load_b64 v[46:47], v[0:1], off
	global_load_b64 v[56:57], v8, s[0:1]
	global_load_b64 v[58:59], v[2:3], off
	;; [unrolled: 2-line block ×4, first 2 shown]
	v_add_co_u32 v0, vcc_lo, 0x9000, v16
	v_add_co_ci_u32_e32 v1, vcc_lo, 0, v17, vcc_lo
	v_add_co_u32 v2, vcc_lo, 0xb000, v16
	v_add_co_ci_u32_e32 v3, vcc_lo, 0, v17, vcc_lo
	v_lshlrev_b32_e32 v8, 3, v11
	v_add_co_u32 v4, vcc_lo, 0xd000, v16
	v_lshlrev_b32_e32 v9, 3, v12
	v_add_co_ci_u32_e32 v5, vcc_lo, 0, v17, vcc_lo
	v_add_co_u32 v6, vcc_lo, 0xf000, v16
	v_lshlrev_b32_e32 v10, 3, v13
	v_lshlrev_b32_e32 v11, 3, v14
	v_add_co_ci_u32_e32 v7, vcc_lo, 0, v17, vcc_lo
	s_clause 0x7
	global_load_b64 v[70:71], v8, s[0:1]
	global_load_b64 v[72:73], v[0:1], off
	global_load_b64 v[74:75], v9, s[0:1]
	global_load_b64 v[76:77], v[2:3], off
	;; [unrolled: 2-line block ×4, first 2 shown]
	s_mov_b32 s39, 0
	s_waitcnt vmcnt(31)
	v_lshlrev_b32_e32 v40, 16, v109
	s_waitcnt vmcnt(15)
	v_bfe_u32 v0, v44, 16, 1
	v_cmp_o_f32_e32 vcc_lo, v44, v44
	s_delay_alu instid0(VALU_DEP_2) | instskip(NEXT) | instid1(VALU_DEP_1)
	v_add3_u32 v0, v44, v0, 0x7fff
	v_and_b32_e32 v0, 0xffff0000, v0
	s_delay_alu instid0(VALU_DEP_1)
	v_cndmask_b32_e32 v44, 0x7fc00000, v0, vcc_lo
	s_and_b32 vcc_lo, exec_lo, s50
	s_cbranch_vccz .LBB34_5
; %bb.4:
	v_mov_b32_e32 v0, v40
	s_delay_alu instid0(VALU_DEP_2) | instskip(SKIP_3) | instid1(SALU_CYCLE_1)
	v_mov_b32_e32 v1, v44
	s_getpc_b64 s[0:1]
	s_add_u32 s0, s0, _ZN12_GLOBAL__N_111calc_igammaIfEET_S1_S1_@rel32@lo+4
	s_addc_u32 s1, s1, _ZN12_GLOBAL__N_111calc_igammaIfEET_S1_S1_@rel32@hi+12
	s_swappc_b64 s[30:31], s[0:1]
	v_mov_b32_e32 v43, v0
	s_and_not1_b32 vcc_lo, exec_lo, s39
	s_cbranch_vccz .LBB34_6
	s_branch .LBB34_7
.LBB34_5:
                                        ; implicit-def: $vgpr43
.LBB34_6:
	v_mov_b32_e32 v0, v40
	s_delay_alu instid0(VALU_DEP_2) | instskip(SKIP_3) | instid1(SALU_CYCLE_1)
	v_mov_b32_e32 v1, v44
	s_getpc_b64 s[0:1]
	s_add_u32 s0, s0, _ZN12_GLOBAL__N_112calc_igammacIfEET_S1_S1_@rel32@lo+4
	s_addc_u32 s1, s1, _ZN12_GLOBAL__N_112calc_igammacIfEET_S1_S1_@rel32@hi+12
	s_swappc_b64 s[30:31], s[0:1]
	v_mov_b32_e32 v43, v0
.LBB34_7:
	v_bfe_u32 v0, v45, 16, 1
	v_cndmask_b32_e64 v1, 0, 1, s50
	v_cmp_o_f32_e32 vcc_lo, v45, v45
	v_and_b32_e32 v40, 0xffff0000, v109
	s_delay_alu instid0(VALU_DEP_4) | instskip(NEXT) | instid1(VALU_DEP_4)
	v_add3_u32 v0, v45, v0, 0x7fff
	v_cmp_ne_u32_e64 s39, 1, v1
	s_delay_alu instid0(VALU_DEP_2) | instskip(NEXT) | instid1(VALU_DEP_1)
	v_and_b32_e32 v0, 0xffff0000, v0
	v_cndmask_b32_e32 v45, 0x7fc00000, v0, vcc_lo
	s_and_not1_b32 vcc_lo, exec_lo, s50
	s_cbranch_vccnz .LBB34_9
; %bb.8:
	s_delay_alu instid0(VALU_DEP_1) | instskip(SKIP_3) | instid1(SALU_CYCLE_1)
	v_dual_mov_b32 v0, v40 :: v_dual_mov_b32 v1, v45
	s_getpc_b64 s[0:1]
	s_add_u32 s0, s0, _ZN12_GLOBAL__N_111calc_igammaIfEET_S1_S1_@rel32@lo+4
	s_addc_u32 s1, s1, _ZN12_GLOBAL__N_111calc_igammaIfEET_S1_S1_@rel32@hi+12
	s_swappc_b64 s[30:31], s[0:1]
	v_mov_b32_e32 v44, v0
	s_cbranch_execz .LBB34_10
	s_branch .LBB34_11
.LBB34_9:
                                        ; implicit-def: $vgpr44
.LBB34_10:
	s_delay_alu instid0(VALU_DEP_1) | instskip(SKIP_3) | instid1(SALU_CYCLE_1)
	v_dual_mov_b32 v0, v40 :: v_dual_mov_b32 v1, v45
	s_getpc_b64 s[0:1]
	s_add_u32 s0, s0, _ZN12_GLOBAL__N_112calc_igammacIfEET_S1_S1_@rel32@lo+4
	s_addc_u32 s1, s1, _ZN12_GLOBAL__N_112calc_igammacIfEET_S1_S1_@rel32@hi+12
	s_swappc_b64 s[30:31], s[0:1]
	v_mov_b32_e32 v44, v0
.LBB34_11:
	s_waitcnt vmcnt(14)
	v_bfe_u32 v0, v46, 16, 1
	v_cmp_o_f32_e32 vcc_lo, v46, v46
	v_lshlrev_b32_e32 v40, 16, v108
	s_delay_alu instid0(VALU_DEP_3) | instskip(NEXT) | instid1(VALU_DEP_1)
	v_add3_u32 v0, v46, v0, 0x7fff
	v_and_b32_e32 v0, 0xffff0000, v0
	s_delay_alu instid0(VALU_DEP_1)
	v_cndmask_b32_e32 v46, 0x7fc00000, v0, vcc_lo
	s_and_b32 vcc_lo, exec_lo, s39
	s_cbranch_vccnz .LBB34_13
; %bb.12:
	s_delay_alu instid0(VALU_DEP_1) | instskip(SKIP_3) | instid1(SALU_CYCLE_1)
	v_dual_mov_b32 v0, v40 :: v_dual_mov_b32 v1, v46
	s_getpc_b64 s[0:1]
	s_add_u32 s0, s0, _ZN12_GLOBAL__N_111calc_igammaIfEET_S1_S1_@rel32@lo+4
	s_addc_u32 s1, s1, _ZN12_GLOBAL__N_111calc_igammaIfEET_S1_S1_@rel32@hi+12
	s_swappc_b64 s[30:31], s[0:1]
	v_mov_b32_e32 v45, v0
	s_cbranch_execz .LBB34_14
	s_branch .LBB34_15
.LBB34_13:
                                        ; implicit-def: $vgpr45
.LBB34_14:
	s_delay_alu instid0(VALU_DEP_1) | instskip(SKIP_3) | instid1(SALU_CYCLE_1)
	v_dual_mov_b32 v0, v40 :: v_dual_mov_b32 v1, v46
	s_getpc_b64 s[0:1]
	s_add_u32 s0, s0, _ZN12_GLOBAL__N_112calc_igammacIfEET_S1_S1_@rel32@lo+4
	s_addc_u32 s1, s1, _ZN12_GLOBAL__N_112calc_igammacIfEET_S1_S1_@rel32@hi+12
	s_swappc_b64 s[30:31], s[0:1]
	v_mov_b32_e32 v45, v0
.LBB34_15:
	v_bfe_u32 v0, v47, 16, 1
	v_cmp_o_f32_e32 vcc_lo, v47, v47
	v_and_b32_e32 v40, 0xffff0000, v108
	s_delay_alu instid0(VALU_DEP_3) | instskip(NEXT) | instid1(VALU_DEP_1)
	v_add3_u32 v0, v47, v0, 0x7fff
	v_and_b32_e32 v0, 0xffff0000, v0
	s_delay_alu instid0(VALU_DEP_1)
	v_cndmask_b32_e32 v47, 0x7fc00000, v0, vcc_lo
	s_and_b32 vcc_lo, exec_lo, s39
	s_cbranch_vccnz .LBB34_17
; %bb.16:
	s_delay_alu instid0(VALU_DEP_1) | instskip(SKIP_3) | instid1(SALU_CYCLE_1)
	v_dual_mov_b32 v0, v40 :: v_dual_mov_b32 v1, v47
	s_getpc_b64 s[0:1]
	s_add_u32 s0, s0, _ZN12_GLOBAL__N_111calc_igammaIfEET_S1_S1_@rel32@lo+4
	s_addc_u32 s1, s1, _ZN12_GLOBAL__N_111calc_igammaIfEET_S1_S1_@rel32@hi+12
	s_swappc_b64 s[30:31], s[0:1]
	v_mov_b32_e32 v46, v0
	s_cbranch_execz .LBB34_18
	s_branch .LBB34_19
.LBB34_17:
                                        ; implicit-def: $vgpr46
.LBB34_18:
	s_delay_alu instid0(VALU_DEP_1) | instskip(SKIP_3) | instid1(SALU_CYCLE_1)
	v_dual_mov_b32 v0, v40 :: v_dual_mov_b32 v1, v47
	s_getpc_b64 s[0:1]
	s_add_u32 s0, s0, _ZN12_GLOBAL__N_112calc_igammacIfEET_S1_S1_@rel32@lo+4
	s_addc_u32 s1, s1, _ZN12_GLOBAL__N_112calc_igammacIfEET_S1_S1_@rel32@hi+12
	s_swappc_b64 s[30:31], s[0:1]
	v_mov_b32_e32 v46, v0
.LBB34_19:
	s_waitcnt vmcnt(13)
	v_bfe_u32 v0, v56, 16, 1
	v_cmp_o_f32_e32 vcc_lo, v56, v56
	v_lshlrev_b32_e32 v40, 16, v107
	s_delay_alu instid0(VALU_DEP_3) | instskip(NEXT) | instid1(VALU_DEP_1)
	v_add3_u32 v0, v56, v0, 0x7fff
	v_and_b32_e32 v0, 0xffff0000, v0
	s_delay_alu instid0(VALU_DEP_1)
	v_cndmask_b32_e32 v56, 0x7fc00000, v0, vcc_lo
	s_and_b32 vcc_lo, exec_lo, s39
	s_cbranch_vccnz .LBB34_21
; %bb.20:
	v_mov_b32_e32 v0, v40
	s_delay_alu instid0(VALU_DEP_2) | instskip(SKIP_3) | instid1(SALU_CYCLE_1)
	v_mov_b32_e32 v1, v56
	s_getpc_b64 s[0:1]
	s_add_u32 s0, s0, _ZN12_GLOBAL__N_111calc_igammaIfEET_S1_S1_@rel32@lo+4
	s_addc_u32 s1, s1, _ZN12_GLOBAL__N_111calc_igammaIfEET_S1_S1_@rel32@hi+12
	s_swappc_b64 s[30:31], s[0:1]
	v_mov_b32_e32 v47, v0
	s_cbranch_execz .LBB34_22
	s_branch .LBB34_23
.LBB34_21:
                                        ; implicit-def: $vgpr47
.LBB34_22:
	v_mov_b32_e32 v0, v40
	s_delay_alu instid0(VALU_DEP_2) | instskip(SKIP_3) | instid1(SALU_CYCLE_1)
	v_mov_b32_e32 v1, v56
	s_getpc_b64 s[0:1]
	s_add_u32 s0, s0, _ZN12_GLOBAL__N_112calc_igammacIfEET_S1_S1_@rel32@lo+4
	s_addc_u32 s1, s1, _ZN12_GLOBAL__N_112calc_igammacIfEET_S1_S1_@rel32@hi+12
	s_swappc_b64 s[30:31], s[0:1]
	v_mov_b32_e32 v47, v0
.LBB34_23:
	v_bfe_u32 v0, v57, 16, 1
	v_cmp_o_f32_e32 vcc_lo, v57, v57
	v_and_b32_e32 v40, 0xffff0000, v107
	s_delay_alu instid0(VALU_DEP_3) | instskip(NEXT) | instid1(VALU_DEP_1)
	v_add3_u32 v0, v57, v0, 0x7fff
	v_and_b32_e32 v0, 0xffff0000, v0
	s_delay_alu instid0(VALU_DEP_1)
	v_cndmask_b32_e32 v57, 0x7fc00000, v0, vcc_lo
	s_and_b32 vcc_lo, exec_lo, s39
	s_cbranch_vccnz .LBB34_25
; %bb.24:
	s_delay_alu instid0(VALU_DEP_1) | instskip(SKIP_3) | instid1(SALU_CYCLE_1)
	v_dual_mov_b32 v0, v40 :: v_dual_mov_b32 v1, v57
	s_getpc_b64 s[0:1]
	s_add_u32 s0, s0, _ZN12_GLOBAL__N_111calc_igammaIfEET_S1_S1_@rel32@lo+4
	s_addc_u32 s1, s1, _ZN12_GLOBAL__N_111calc_igammaIfEET_S1_S1_@rel32@hi+12
	s_swappc_b64 s[30:31], s[0:1]
	v_mov_b32_e32 v56, v0
	s_cbranch_execz .LBB34_26
	s_branch .LBB34_27
.LBB34_25:
                                        ; implicit-def: $vgpr56
.LBB34_26:
	s_delay_alu instid0(VALU_DEP_1) | instskip(SKIP_3) | instid1(SALU_CYCLE_1)
	v_dual_mov_b32 v0, v40 :: v_dual_mov_b32 v1, v57
	s_getpc_b64 s[0:1]
	s_add_u32 s0, s0, _ZN12_GLOBAL__N_112calc_igammacIfEET_S1_S1_@rel32@lo+4
	s_addc_u32 s1, s1, _ZN12_GLOBAL__N_112calc_igammacIfEET_S1_S1_@rel32@hi+12
	s_swappc_b64 s[30:31], s[0:1]
	v_mov_b32_e32 v56, v0
.LBB34_27:
	s_waitcnt vmcnt(12)
	v_bfe_u32 v0, v58, 16, 1
	v_cmp_o_f32_e32 vcc_lo, v58, v58
	v_lshlrev_b32_e32 v40, 16, v106
	s_delay_alu instid0(VALU_DEP_3) | instskip(NEXT) | instid1(VALU_DEP_1)
	v_add3_u32 v0, v58, v0, 0x7fff
	v_and_b32_e32 v0, 0xffff0000, v0
	s_delay_alu instid0(VALU_DEP_1)
	v_cndmask_b32_e32 v58, 0x7fc00000, v0, vcc_lo
	s_and_b32 vcc_lo, exec_lo, s39
	s_cbranch_vccnz .LBB34_29
; %bb.28:
	s_delay_alu instid0(VALU_DEP_1) | instskip(SKIP_3) | instid1(SALU_CYCLE_1)
	v_dual_mov_b32 v0, v40 :: v_dual_mov_b32 v1, v58
	s_getpc_b64 s[0:1]
	s_add_u32 s0, s0, _ZN12_GLOBAL__N_111calc_igammaIfEET_S1_S1_@rel32@lo+4
	s_addc_u32 s1, s1, _ZN12_GLOBAL__N_111calc_igammaIfEET_S1_S1_@rel32@hi+12
	s_swappc_b64 s[30:31], s[0:1]
	v_mov_b32_e32 v57, v0
	s_cbranch_execz .LBB34_30
	s_branch .LBB34_31
.LBB34_29:
                                        ; implicit-def: $vgpr57
.LBB34_30:
	s_delay_alu instid0(VALU_DEP_1) | instskip(SKIP_3) | instid1(SALU_CYCLE_1)
	v_dual_mov_b32 v0, v40 :: v_dual_mov_b32 v1, v58
	s_getpc_b64 s[0:1]
	s_add_u32 s0, s0, _ZN12_GLOBAL__N_112calc_igammacIfEET_S1_S1_@rel32@lo+4
	s_addc_u32 s1, s1, _ZN12_GLOBAL__N_112calc_igammacIfEET_S1_S1_@rel32@hi+12
	s_swappc_b64 s[30:31], s[0:1]
	v_mov_b32_e32 v57, v0
.LBB34_31:
	v_bfe_u32 v0, v59, 16, 1
	v_cmp_o_f32_e32 vcc_lo, v59, v59
	v_and_b32_e32 v40, 0xffff0000, v106
	s_delay_alu instid0(VALU_DEP_3) | instskip(NEXT) | instid1(VALU_DEP_1)
	v_add3_u32 v0, v59, v0, 0x7fff
	v_and_b32_e32 v0, 0xffff0000, v0
	s_delay_alu instid0(VALU_DEP_1)
	v_cndmask_b32_e32 v59, 0x7fc00000, v0, vcc_lo
	s_and_b32 vcc_lo, exec_lo, s39
	s_cbranch_vccnz .LBB34_33
; %bb.32:
	s_delay_alu instid0(VALU_DEP_1) | instskip(SKIP_3) | instid1(SALU_CYCLE_1)
	v_dual_mov_b32 v0, v40 :: v_dual_mov_b32 v1, v59
	s_getpc_b64 s[0:1]
	s_add_u32 s0, s0, _ZN12_GLOBAL__N_111calc_igammaIfEET_S1_S1_@rel32@lo+4
	s_addc_u32 s1, s1, _ZN12_GLOBAL__N_111calc_igammaIfEET_S1_S1_@rel32@hi+12
	s_swappc_b64 s[30:31], s[0:1]
	v_mov_b32_e32 v58, v0
	s_cbranch_execz .LBB34_34
	s_branch .LBB34_35
.LBB34_33:
                                        ; implicit-def: $vgpr58
.LBB34_34:
	s_delay_alu instid0(VALU_DEP_1) | instskip(SKIP_3) | instid1(SALU_CYCLE_1)
	v_dual_mov_b32 v0, v40 :: v_dual_mov_b32 v1, v59
	s_getpc_b64 s[0:1]
	s_add_u32 s0, s0, _ZN12_GLOBAL__N_112calc_igammacIfEET_S1_S1_@rel32@lo+4
	s_addc_u32 s1, s1, _ZN12_GLOBAL__N_112calc_igammacIfEET_S1_S1_@rel32@hi+12
	s_swappc_b64 s[30:31], s[0:1]
	v_mov_b32_e32 v58, v0
.LBB34_35:
	s_waitcnt vmcnt(11)
	v_bfe_u32 v0, v60, 16, 1
	v_cmp_o_f32_e32 vcc_lo, v60, v60
	v_lshlrev_b32_e32 v40, 16, v105
	s_delay_alu instid0(VALU_DEP_3) | instskip(NEXT) | instid1(VALU_DEP_1)
	v_add3_u32 v0, v60, v0, 0x7fff
	v_and_b32_e32 v0, 0xffff0000, v0
	s_delay_alu instid0(VALU_DEP_1)
	v_cndmask_b32_e32 v60, 0x7fc00000, v0, vcc_lo
	s_and_b32 vcc_lo, exec_lo, s39
	s_cbranch_vccnz .LBB34_37
; %bb.36:
	v_mov_b32_e32 v0, v40
	s_delay_alu instid0(VALU_DEP_2) | instskip(SKIP_3) | instid1(SALU_CYCLE_1)
	v_mov_b32_e32 v1, v60
	s_getpc_b64 s[0:1]
	s_add_u32 s0, s0, _ZN12_GLOBAL__N_111calc_igammaIfEET_S1_S1_@rel32@lo+4
	s_addc_u32 s1, s1, _ZN12_GLOBAL__N_111calc_igammaIfEET_S1_S1_@rel32@hi+12
	s_swappc_b64 s[30:31], s[0:1]
	v_mov_b32_e32 v59, v0
	s_cbranch_execz .LBB34_38
	s_branch .LBB34_39
.LBB34_37:
                                        ; implicit-def: $vgpr59
.LBB34_38:
	v_mov_b32_e32 v0, v40
	s_delay_alu instid0(VALU_DEP_2) | instskip(SKIP_3) | instid1(SALU_CYCLE_1)
	v_mov_b32_e32 v1, v60
	s_getpc_b64 s[0:1]
	s_add_u32 s0, s0, _ZN12_GLOBAL__N_112calc_igammacIfEET_S1_S1_@rel32@lo+4
	s_addc_u32 s1, s1, _ZN12_GLOBAL__N_112calc_igammacIfEET_S1_S1_@rel32@hi+12
	s_swappc_b64 s[30:31], s[0:1]
	v_mov_b32_e32 v59, v0
.LBB34_39:
	v_bfe_u32 v0, v61, 16, 1
	v_cmp_o_f32_e32 vcc_lo, v61, v61
	v_and_b32_e32 v40, 0xffff0000, v105
	s_delay_alu instid0(VALU_DEP_3) | instskip(NEXT) | instid1(VALU_DEP_1)
	v_add3_u32 v0, v61, v0, 0x7fff
	v_and_b32_e32 v0, 0xffff0000, v0
	s_delay_alu instid0(VALU_DEP_1)
	v_cndmask_b32_e32 v61, 0x7fc00000, v0, vcc_lo
	s_and_b32 vcc_lo, exec_lo, s39
	s_cbranch_vccnz .LBB34_41
; %bb.40:
	s_delay_alu instid0(VALU_DEP_1) | instskip(SKIP_3) | instid1(SALU_CYCLE_1)
	v_dual_mov_b32 v0, v40 :: v_dual_mov_b32 v1, v61
	s_getpc_b64 s[0:1]
	s_add_u32 s0, s0, _ZN12_GLOBAL__N_111calc_igammaIfEET_S1_S1_@rel32@lo+4
	s_addc_u32 s1, s1, _ZN12_GLOBAL__N_111calc_igammaIfEET_S1_S1_@rel32@hi+12
	s_swappc_b64 s[30:31], s[0:1]
	v_mov_b32_e32 v60, v0
	s_cbranch_execz .LBB34_42
	s_branch .LBB34_43
.LBB34_41:
                                        ; implicit-def: $vgpr60
.LBB34_42:
	s_delay_alu instid0(VALU_DEP_1) | instskip(SKIP_3) | instid1(SALU_CYCLE_1)
	v_dual_mov_b32 v0, v40 :: v_dual_mov_b32 v1, v61
	s_getpc_b64 s[0:1]
	s_add_u32 s0, s0, _ZN12_GLOBAL__N_112calc_igammacIfEET_S1_S1_@rel32@lo+4
	s_addc_u32 s1, s1, _ZN12_GLOBAL__N_112calc_igammacIfEET_S1_S1_@rel32@hi+12
	s_swappc_b64 s[30:31], s[0:1]
	v_mov_b32_e32 v60, v0
.LBB34_43:
	s_waitcnt vmcnt(10)
	v_bfe_u32 v0, v62, 16, 1
	v_cmp_o_f32_e32 vcc_lo, v62, v62
	v_lshlrev_b32_e32 v40, 16, v104
	s_delay_alu instid0(VALU_DEP_3) | instskip(NEXT) | instid1(VALU_DEP_1)
	v_add3_u32 v0, v62, v0, 0x7fff
	v_and_b32_e32 v0, 0xffff0000, v0
	s_delay_alu instid0(VALU_DEP_1)
	v_cndmask_b32_e32 v62, 0x7fc00000, v0, vcc_lo
	s_and_b32 vcc_lo, exec_lo, s39
	s_cbranch_vccnz .LBB34_45
; %bb.44:
	s_delay_alu instid0(VALU_DEP_1) | instskip(SKIP_3) | instid1(SALU_CYCLE_1)
	v_dual_mov_b32 v0, v40 :: v_dual_mov_b32 v1, v62
	s_getpc_b64 s[0:1]
	s_add_u32 s0, s0, _ZN12_GLOBAL__N_111calc_igammaIfEET_S1_S1_@rel32@lo+4
	s_addc_u32 s1, s1, _ZN12_GLOBAL__N_111calc_igammaIfEET_S1_S1_@rel32@hi+12
	s_swappc_b64 s[30:31], s[0:1]
	v_mov_b32_e32 v61, v0
	s_cbranch_execz .LBB34_46
	s_branch .LBB34_47
.LBB34_45:
                                        ; implicit-def: $vgpr61
.LBB34_46:
	s_delay_alu instid0(VALU_DEP_1) | instskip(SKIP_3) | instid1(SALU_CYCLE_1)
	v_dual_mov_b32 v0, v40 :: v_dual_mov_b32 v1, v62
	s_getpc_b64 s[0:1]
	s_add_u32 s0, s0, _ZN12_GLOBAL__N_112calc_igammacIfEET_S1_S1_@rel32@lo+4
	s_addc_u32 s1, s1, _ZN12_GLOBAL__N_112calc_igammacIfEET_S1_S1_@rel32@hi+12
	s_swappc_b64 s[30:31], s[0:1]
	v_mov_b32_e32 v61, v0
.LBB34_47:
	v_bfe_u32 v0, v63, 16, 1
	v_cmp_o_f32_e32 vcc_lo, v63, v63
	v_and_b32_e32 v40, 0xffff0000, v104
	s_delay_alu instid0(VALU_DEP_3) | instskip(NEXT) | instid1(VALU_DEP_1)
	v_add3_u32 v0, v63, v0, 0x7fff
	v_and_b32_e32 v0, 0xffff0000, v0
	s_delay_alu instid0(VALU_DEP_1)
	v_cndmask_b32_e32 v63, 0x7fc00000, v0, vcc_lo
	s_and_b32 vcc_lo, exec_lo, s39
	s_cbranch_vccnz .LBB34_49
; %bb.48:
	s_delay_alu instid0(VALU_DEP_1) | instskip(SKIP_3) | instid1(SALU_CYCLE_1)
	v_dual_mov_b32 v0, v40 :: v_dual_mov_b32 v1, v63
	s_getpc_b64 s[0:1]
	s_add_u32 s0, s0, _ZN12_GLOBAL__N_111calc_igammaIfEET_S1_S1_@rel32@lo+4
	s_addc_u32 s1, s1, _ZN12_GLOBAL__N_111calc_igammaIfEET_S1_S1_@rel32@hi+12
	s_swappc_b64 s[30:31], s[0:1]
	v_mov_b32_e32 v62, v0
	s_cbranch_execz .LBB34_50
	s_branch .LBB34_51
.LBB34_49:
                                        ; implicit-def: $vgpr62
.LBB34_50:
	s_delay_alu instid0(VALU_DEP_1) | instskip(SKIP_3) | instid1(SALU_CYCLE_1)
	v_dual_mov_b32 v0, v40 :: v_dual_mov_b32 v1, v63
	s_getpc_b64 s[0:1]
	s_add_u32 s0, s0, _ZN12_GLOBAL__N_112calc_igammacIfEET_S1_S1_@rel32@lo+4
	s_addc_u32 s1, s1, _ZN12_GLOBAL__N_112calc_igammacIfEET_S1_S1_@rel32@hi+12
	s_swappc_b64 s[30:31], s[0:1]
	v_mov_b32_e32 v62, v0
.LBB34_51:
	s_waitcnt vmcnt(9)
	v_bfe_u32 v0, v66, 16, 1
	v_cmp_o_f32_e32 vcc_lo, v66, v66
	v_lshlrev_b32_e32 v40, 16, v103
	s_delay_alu instid0(VALU_DEP_3) | instskip(NEXT) | instid1(VALU_DEP_1)
	v_add3_u32 v0, v66, v0, 0x7fff
	v_and_b32_e32 v0, 0xffff0000, v0
	s_delay_alu instid0(VALU_DEP_1)
	v_cndmask_b32_e32 v66, 0x7fc00000, v0, vcc_lo
	s_and_b32 vcc_lo, exec_lo, s39
	s_cbranch_vccnz .LBB34_53
; %bb.52:
	s_delay_alu instid0(VALU_DEP_1) | instskip(SKIP_3) | instid1(SALU_CYCLE_1)
	v_dual_mov_b32 v0, v40 :: v_dual_mov_b32 v1, v66
	s_getpc_b64 s[0:1]
	s_add_u32 s0, s0, _ZN12_GLOBAL__N_111calc_igammaIfEET_S1_S1_@rel32@lo+4
	s_addc_u32 s1, s1, _ZN12_GLOBAL__N_111calc_igammaIfEET_S1_S1_@rel32@hi+12
	s_swappc_b64 s[30:31], s[0:1]
	v_mov_b32_e32 v63, v0
	s_cbranch_execz .LBB34_54
	s_branch .LBB34_55
.LBB34_53:
                                        ; implicit-def: $vgpr63
.LBB34_54:
	s_delay_alu instid0(VALU_DEP_1) | instskip(SKIP_3) | instid1(SALU_CYCLE_1)
	v_dual_mov_b32 v0, v40 :: v_dual_mov_b32 v1, v66
	s_getpc_b64 s[0:1]
	s_add_u32 s0, s0, _ZN12_GLOBAL__N_112calc_igammacIfEET_S1_S1_@rel32@lo+4
	s_addc_u32 s1, s1, _ZN12_GLOBAL__N_112calc_igammacIfEET_S1_S1_@rel32@hi+12
	s_swappc_b64 s[30:31], s[0:1]
	v_mov_b32_e32 v63, v0
.LBB34_55:
	v_bfe_u32 v0, v67, 16, 1
	v_cmp_o_f32_e32 vcc_lo, v67, v67
	v_and_b32_e32 v40, 0xffff0000, v103
	s_delay_alu instid0(VALU_DEP_3) | instskip(NEXT) | instid1(VALU_DEP_1)
	v_add3_u32 v0, v67, v0, 0x7fff
	v_and_b32_e32 v0, 0xffff0000, v0
	s_delay_alu instid0(VALU_DEP_1)
	v_cndmask_b32_e32 v67, 0x7fc00000, v0, vcc_lo
	s_and_b32 vcc_lo, exec_lo, s39
	s_cbranch_vccnz .LBB34_57
; %bb.56:
	s_delay_alu instid0(VALU_DEP_1) | instskip(SKIP_3) | instid1(SALU_CYCLE_1)
	v_dual_mov_b32 v0, v40 :: v_dual_mov_b32 v1, v67
	s_getpc_b64 s[0:1]
	s_add_u32 s0, s0, _ZN12_GLOBAL__N_111calc_igammaIfEET_S1_S1_@rel32@lo+4
	s_addc_u32 s1, s1, _ZN12_GLOBAL__N_111calc_igammaIfEET_S1_S1_@rel32@hi+12
	s_swappc_b64 s[30:31], s[0:1]
	v_mov_b32_e32 v66, v0
	s_cbranch_execz .LBB34_58
	s_branch .LBB34_59
.LBB34_57:
                                        ; implicit-def: $vgpr66
.LBB34_58:
	s_delay_alu instid0(VALU_DEP_1) | instskip(SKIP_3) | instid1(SALU_CYCLE_1)
	v_dual_mov_b32 v0, v40 :: v_dual_mov_b32 v1, v67
	s_getpc_b64 s[0:1]
	s_add_u32 s0, s0, _ZN12_GLOBAL__N_112calc_igammacIfEET_S1_S1_@rel32@lo+4
	s_addc_u32 s1, s1, _ZN12_GLOBAL__N_112calc_igammacIfEET_S1_S1_@rel32@hi+12
	s_swappc_b64 s[30:31], s[0:1]
	v_mov_b32_e32 v66, v0
.LBB34_59:
	s_waitcnt vmcnt(8)
	v_bfe_u32 v0, v68, 16, 1
	v_cmp_o_f32_e32 vcc_lo, v68, v68
	v_lshlrev_b32_e32 v40, 16, v102
	s_delay_alu instid0(VALU_DEP_3) | instskip(NEXT) | instid1(VALU_DEP_1)
	v_add3_u32 v0, v68, v0, 0x7fff
	v_and_b32_e32 v0, 0xffff0000, v0
	s_delay_alu instid0(VALU_DEP_1)
	v_cndmask_b32_e32 v68, 0x7fc00000, v0, vcc_lo
	s_and_b32 vcc_lo, exec_lo, s39
	s_cbranch_vccnz .LBB34_61
; %bb.60:
	v_mov_b32_e32 v0, v40
	s_delay_alu instid0(VALU_DEP_2) | instskip(SKIP_3) | instid1(SALU_CYCLE_1)
	v_mov_b32_e32 v1, v68
	s_getpc_b64 s[0:1]
	s_add_u32 s0, s0, _ZN12_GLOBAL__N_111calc_igammaIfEET_S1_S1_@rel32@lo+4
	s_addc_u32 s1, s1, _ZN12_GLOBAL__N_111calc_igammaIfEET_S1_S1_@rel32@hi+12
	s_swappc_b64 s[30:31], s[0:1]
	v_mov_b32_e32 v67, v0
	s_cbranch_execz .LBB34_62
	s_branch .LBB34_63
.LBB34_61:
                                        ; implicit-def: $vgpr67
.LBB34_62:
	v_mov_b32_e32 v0, v40
	s_delay_alu instid0(VALU_DEP_2) | instskip(SKIP_3) | instid1(SALU_CYCLE_1)
	v_mov_b32_e32 v1, v68
	s_getpc_b64 s[0:1]
	s_add_u32 s0, s0, _ZN12_GLOBAL__N_112calc_igammacIfEET_S1_S1_@rel32@lo+4
	s_addc_u32 s1, s1, _ZN12_GLOBAL__N_112calc_igammacIfEET_S1_S1_@rel32@hi+12
	s_swappc_b64 s[30:31], s[0:1]
	v_mov_b32_e32 v67, v0
.LBB34_63:
	v_bfe_u32 v0, v69, 16, 1
	v_cmp_o_f32_e32 vcc_lo, v69, v69
	v_and_b32_e32 v40, 0xffff0000, v102
	s_delay_alu instid0(VALU_DEP_3) | instskip(NEXT) | instid1(VALU_DEP_1)
	v_add3_u32 v0, v69, v0, 0x7fff
	v_and_b32_e32 v0, 0xffff0000, v0
	s_delay_alu instid0(VALU_DEP_1)
	v_cndmask_b32_e32 v69, 0x7fc00000, v0, vcc_lo
	s_and_b32 vcc_lo, exec_lo, s39
	s_cbranch_vccnz .LBB34_65
; %bb.64:
	s_delay_alu instid0(VALU_DEP_1) | instskip(SKIP_3) | instid1(SALU_CYCLE_1)
	v_dual_mov_b32 v0, v40 :: v_dual_mov_b32 v1, v69
	s_getpc_b64 s[0:1]
	s_add_u32 s0, s0, _ZN12_GLOBAL__N_111calc_igammaIfEET_S1_S1_@rel32@lo+4
	s_addc_u32 s1, s1, _ZN12_GLOBAL__N_111calc_igammaIfEET_S1_S1_@rel32@hi+12
	s_swappc_b64 s[30:31], s[0:1]
	v_mov_b32_e32 v68, v0
	s_cbranch_execz .LBB34_66
	s_branch .LBB34_67
.LBB34_65:
                                        ; implicit-def: $vgpr68
.LBB34_66:
	s_delay_alu instid0(VALU_DEP_1) | instskip(SKIP_3) | instid1(SALU_CYCLE_1)
	v_dual_mov_b32 v0, v40 :: v_dual_mov_b32 v1, v69
	s_getpc_b64 s[0:1]
	s_add_u32 s0, s0, _ZN12_GLOBAL__N_112calc_igammacIfEET_S1_S1_@rel32@lo+4
	s_addc_u32 s1, s1, _ZN12_GLOBAL__N_112calc_igammacIfEET_S1_S1_@rel32@hi+12
	s_swappc_b64 s[30:31], s[0:1]
	v_mov_b32_e32 v68, v0
.LBB34_67:
	s_waitcnt vmcnt(7)
	v_bfe_u32 v0, v70, 16, 1
	v_cmp_o_f32_e32 vcc_lo, v70, v70
	v_lshlrev_b32_e32 v40, 16, v101
	s_delay_alu instid0(VALU_DEP_3) | instskip(NEXT) | instid1(VALU_DEP_1)
	v_add3_u32 v0, v70, v0, 0x7fff
	v_and_b32_e32 v0, 0xffff0000, v0
	s_delay_alu instid0(VALU_DEP_1)
	v_cndmask_b32_e32 v70, 0x7fc00000, v0, vcc_lo
	s_and_b32 vcc_lo, exec_lo, s39
	s_cbranch_vccnz .LBB34_69
; %bb.68:
	s_delay_alu instid0(VALU_DEP_1) | instskip(SKIP_3) | instid1(SALU_CYCLE_1)
	v_dual_mov_b32 v0, v40 :: v_dual_mov_b32 v1, v70
	s_getpc_b64 s[0:1]
	s_add_u32 s0, s0, _ZN12_GLOBAL__N_111calc_igammaIfEET_S1_S1_@rel32@lo+4
	s_addc_u32 s1, s1, _ZN12_GLOBAL__N_111calc_igammaIfEET_S1_S1_@rel32@hi+12
	s_swappc_b64 s[30:31], s[0:1]
	v_mov_b32_e32 v69, v0
	s_cbranch_execz .LBB34_70
	s_branch .LBB34_71
.LBB34_69:
                                        ; implicit-def: $vgpr69
.LBB34_70:
	s_delay_alu instid0(VALU_DEP_1) | instskip(SKIP_3) | instid1(SALU_CYCLE_1)
	v_dual_mov_b32 v0, v40 :: v_dual_mov_b32 v1, v70
	s_getpc_b64 s[0:1]
	s_add_u32 s0, s0, _ZN12_GLOBAL__N_112calc_igammacIfEET_S1_S1_@rel32@lo+4
	s_addc_u32 s1, s1, _ZN12_GLOBAL__N_112calc_igammacIfEET_S1_S1_@rel32@hi+12
	s_swappc_b64 s[30:31], s[0:1]
	v_mov_b32_e32 v69, v0
.LBB34_71:
	v_bfe_u32 v0, v71, 16, 1
	v_cmp_o_f32_e32 vcc_lo, v71, v71
	v_and_b32_e32 v40, 0xffff0000, v101
	s_delay_alu instid0(VALU_DEP_3) | instskip(NEXT) | instid1(VALU_DEP_1)
	v_add3_u32 v0, v71, v0, 0x7fff
	v_and_b32_e32 v0, 0xffff0000, v0
	s_delay_alu instid0(VALU_DEP_1)
	v_cndmask_b32_e32 v71, 0x7fc00000, v0, vcc_lo
	s_and_b32 vcc_lo, exec_lo, s39
	s_cbranch_vccnz .LBB34_73
; %bb.72:
	s_delay_alu instid0(VALU_DEP_1) | instskip(SKIP_3) | instid1(SALU_CYCLE_1)
	v_dual_mov_b32 v0, v40 :: v_dual_mov_b32 v1, v71
	s_getpc_b64 s[0:1]
	s_add_u32 s0, s0, _ZN12_GLOBAL__N_111calc_igammaIfEET_S1_S1_@rel32@lo+4
	s_addc_u32 s1, s1, _ZN12_GLOBAL__N_111calc_igammaIfEET_S1_S1_@rel32@hi+12
	s_swappc_b64 s[30:31], s[0:1]
	v_mov_b32_e32 v70, v0
	s_cbranch_execz .LBB34_74
	s_branch .LBB34_75
.LBB34_73:
                                        ; implicit-def: $vgpr70
.LBB34_74:
	s_delay_alu instid0(VALU_DEP_1) | instskip(SKIP_3) | instid1(SALU_CYCLE_1)
	v_dual_mov_b32 v0, v40 :: v_dual_mov_b32 v1, v71
	s_getpc_b64 s[0:1]
	s_add_u32 s0, s0, _ZN12_GLOBAL__N_112calc_igammacIfEET_S1_S1_@rel32@lo+4
	s_addc_u32 s1, s1, _ZN12_GLOBAL__N_112calc_igammacIfEET_S1_S1_@rel32@hi+12
	s_swappc_b64 s[30:31], s[0:1]
	v_mov_b32_e32 v70, v0
.LBB34_75:
	s_waitcnt vmcnt(6)
	v_bfe_u32 v0, v72, 16, 1
	v_cmp_o_f32_e32 vcc_lo, v72, v72
	v_lshlrev_b32_e32 v40, 16, v100
	s_delay_alu instid0(VALU_DEP_3) | instskip(NEXT) | instid1(VALU_DEP_1)
	v_add3_u32 v0, v72, v0, 0x7fff
	v_and_b32_e32 v0, 0xffff0000, v0
	s_delay_alu instid0(VALU_DEP_1)
	v_cndmask_b32_e32 v72, 0x7fc00000, v0, vcc_lo
	s_and_b32 vcc_lo, exec_lo, s39
	s_cbranch_vccnz .LBB34_77
; %bb.76:
	v_mov_b32_e32 v0, v40
	s_delay_alu instid0(VALU_DEP_2) | instskip(SKIP_3) | instid1(SALU_CYCLE_1)
	v_mov_b32_e32 v1, v72
	s_getpc_b64 s[0:1]
	s_add_u32 s0, s0, _ZN12_GLOBAL__N_111calc_igammaIfEET_S1_S1_@rel32@lo+4
	s_addc_u32 s1, s1, _ZN12_GLOBAL__N_111calc_igammaIfEET_S1_S1_@rel32@hi+12
	s_swappc_b64 s[30:31], s[0:1]
	v_mov_b32_e32 v71, v0
	s_cbranch_execz .LBB34_78
	s_branch .LBB34_79
.LBB34_77:
                                        ; implicit-def: $vgpr71
.LBB34_78:
	v_mov_b32_e32 v0, v40
	s_delay_alu instid0(VALU_DEP_2) | instskip(SKIP_3) | instid1(SALU_CYCLE_1)
	v_mov_b32_e32 v1, v72
	s_getpc_b64 s[0:1]
	s_add_u32 s0, s0, _ZN12_GLOBAL__N_112calc_igammacIfEET_S1_S1_@rel32@lo+4
	s_addc_u32 s1, s1, _ZN12_GLOBAL__N_112calc_igammacIfEET_S1_S1_@rel32@hi+12
	s_swappc_b64 s[30:31], s[0:1]
	v_mov_b32_e32 v71, v0
.LBB34_79:
	v_bfe_u32 v0, v73, 16, 1
	v_cmp_o_f32_e32 vcc_lo, v73, v73
	v_and_b32_e32 v40, 0xffff0000, v100
	s_delay_alu instid0(VALU_DEP_3) | instskip(NEXT) | instid1(VALU_DEP_1)
	v_add3_u32 v0, v73, v0, 0x7fff
	v_and_b32_e32 v0, 0xffff0000, v0
	s_delay_alu instid0(VALU_DEP_1)
	v_cndmask_b32_e32 v73, 0x7fc00000, v0, vcc_lo
	s_and_b32 vcc_lo, exec_lo, s39
	s_cbranch_vccnz .LBB34_81
; %bb.80:
	s_delay_alu instid0(VALU_DEP_1) | instskip(SKIP_3) | instid1(SALU_CYCLE_1)
	v_dual_mov_b32 v0, v40 :: v_dual_mov_b32 v1, v73
	s_getpc_b64 s[0:1]
	s_add_u32 s0, s0, _ZN12_GLOBAL__N_111calc_igammaIfEET_S1_S1_@rel32@lo+4
	s_addc_u32 s1, s1, _ZN12_GLOBAL__N_111calc_igammaIfEET_S1_S1_@rel32@hi+12
	s_swappc_b64 s[30:31], s[0:1]
	v_mov_b32_e32 v72, v0
	s_cbranch_execz .LBB34_82
	s_branch .LBB34_83
.LBB34_81:
                                        ; implicit-def: $vgpr72
.LBB34_82:
	s_delay_alu instid0(VALU_DEP_1) | instskip(SKIP_3) | instid1(SALU_CYCLE_1)
	v_dual_mov_b32 v0, v40 :: v_dual_mov_b32 v1, v73
	s_getpc_b64 s[0:1]
	s_add_u32 s0, s0, _ZN12_GLOBAL__N_112calc_igammacIfEET_S1_S1_@rel32@lo+4
	s_addc_u32 s1, s1, _ZN12_GLOBAL__N_112calc_igammacIfEET_S1_S1_@rel32@hi+12
	s_swappc_b64 s[30:31], s[0:1]
	v_mov_b32_e32 v72, v0
.LBB34_83:
	s_waitcnt vmcnt(5)
	v_bfe_u32 v0, v74, 16, 1
	v_cmp_o_f32_e32 vcc_lo, v74, v74
	v_lshlrev_b32_e32 v40, 16, v99
	s_delay_alu instid0(VALU_DEP_3) | instskip(NEXT) | instid1(VALU_DEP_1)
	v_add3_u32 v0, v74, v0, 0x7fff
	v_and_b32_e32 v0, 0xffff0000, v0
	s_delay_alu instid0(VALU_DEP_1)
	v_cndmask_b32_e32 v74, 0x7fc00000, v0, vcc_lo
	s_and_b32 vcc_lo, exec_lo, s39
	s_cbranch_vccnz .LBB34_85
; %bb.84:
	s_delay_alu instid0(VALU_DEP_1) | instskip(SKIP_3) | instid1(SALU_CYCLE_1)
	v_dual_mov_b32 v0, v40 :: v_dual_mov_b32 v1, v74
	s_getpc_b64 s[0:1]
	s_add_u32 s0, s0, _ZN12_GLOBAL__N_111calc_igammaIfEET_S1_S1_@rel32@lo+4
	s_addc_u32 s1, s1, _ZN12_GLOBAL__N_111calc_igammaIfEET_S1_S1_@rel32@hi+12
	s_swappc_b64 s[30:31], s[0:1]
	v_mov_b32_e32 v73, v0
	s_cbranch_execz .LBB34_86
	s_branch .LBB34_87
.LBB34_85:
                                        ; implicit-def: $vgpr73
.LBB34_86:
	s_delay_alu instid0(VALU_DEP_1) | instskip(SKIP_3) | instid1(SALU_CYCLE_1)
	v_dual_mov_b32 v0, v40 :: v_dual_mov_b32 v1, v74
	s_getpc_b64 s[0:1]
	s_add_u32 s0, s0, _ZN12_GLOBAL__N_112calc_igammacIfEET_S1_S1_@rel32@lo+4
	s_addc_u32 s1, s1, _ZN12_GLOBAL__N_112calc_igammacIfEET_S1_S1_@rel32@hi+12
	s_swappc_b64 s[30:31], s[0:1]
	v_mov_b32_e32 v73, v0
.LBB34_87:
	v_bfe_u32 v0, v75, 16, 1
	v_cmp_o_f32_e32 vcc_lo, v75, v75
	v_and_b32_e32 v40, 0xffff0000, v99
	s_delay_alu instid0(VALU_DEP_3) | instskip(NEXT) | instid1(VALU_DEP_1)
	v_add3_u32 v0, v75, v0, 0x7fff
	v_and_b32_e32 v0, 0xffff0000, v0
	s_delay_alu instid0(VALU_DEP_1)
	v_cndmask_b32_e32 v75, 0x7fc00000, v0, vcc_lo
	s_and_b32 vcc_lo, exec_lo, s39
	s_cbranch_vccnz .LBB34_89
; %bb.88:
	s_delay_alu instid0(VALU_DEP_1) | instskip(SKIP_3) | instid1(SALU_CYCLE_1)
	v_dual_mov_b32 v0, v40 :: v_dual_mov_b32 v1, v75
	s_getpc_b64 s[0:1]
	s_add_u32 s0, s0, _ZN12_GLOBAL__N_111calc_igammaIfEET_S1_S1_@rel32@lo+4
	s_addc_u32 s1, s1, _ZN12_GLOBAL__N_111calc_igammaIfEET_S1_S1_@rel32@hi+12
	s_swappc_b64 s[30:31], s[0:1]
	v_mov_b32_e32 v74, v0
	s_cbranch_execz .LBB34_90
	s_branch .LBB34_91
.LBB34_89:
                                        ; implicit-def: $vgpr74
.LBB34_90:
	s_delay_alu instid0(VALU_DEP_1) | instskip(SKIP_3) | instid1(SALU_CYCLE_1)
	v_dual_mov_b32 v0, v40 :: v_dual_mov_b32 v1, v75
	s_getpc_b64 s[0:1]
	s_add_u32 s0, s0, _ZN12_GLOBAL__N_112calc_igammacIfEET_S1_S1_@rel32@lo+4
	s_addc_u32 s1, s1, _ZN12_GLOBAL__N_112calc_igammacIfEET_S1_S1_@rel32@hi+12
	s_swappc_b64 s[30:31], s[0:1]
	v_mov_b32_e32 v74, v0
.LBB34_91:
	s_waitcnt vmcnt(4)
	v_bfe_u32 v0, v76, 16, 1
	v_cmp_o_f32_e32 vcc_lo, v76, v76
	v_lshlrev_b32_e32 v40, 16, v98
	s_delay_alu instid0(VALU_DEP_3) | instskip(NEXT) | instid1(VALU_DEP_1)
	v_add3_u32 v0, v76, v0, 0x7fff
	v_and_b32_e32 v0, 0xffff0000, v0
	s_delay_alu instid0(VALU_DEP_1)
	v_cndmask_b32_e32 v76, 0x7fc00000, v0, vcc_lo
	s_and_b32 vcc_lo, exec_lo, s39
	s_cbranch_vccnz .LBB34_93
; %bb.92:
	v_mov_b32_e32 v0, v40
	s_delay_alu instid0(VALU_DEP_2) | instskip(SKIP_3) | instid1(SALU_CYCLE_1)
	v_mov_b32_e32 v1, v76
	s_getpc_b64 s[0:1]
	s_add_u32 s0, s0, _ZN12_GLOBAL__N_111calc_igammaIfEET_S1_S1_@rel32@lo+4
	s_addc_u32 s1, s1, _ZN12_GLOBAL__N_111calc_igammaIfEET_S1_S1_@rel32@hi+12
	s_swappc_b64 s[30:31], s[0:1]
	v_mov_b32_e32 v75, v0
	s_cbranch_execz .LBB34_94
	s_branch .LBB34_95
.LBB34_93:
                                        ; implicit-def: $vgpr75
.LBB34_94:
	v_mov_b32_e32 v0, v40
	s_delay_alu instid0(VALU_DEP_2) | instskip(SKIP_3) | instid1(SALU_CYCLE_1)
	v_mov_b32_e32 v1, v76
	s_getpc_b64 s[0:1]
	s_add_u32 s0, s0, _ZN12_GLOBAL__N_112calc_igammacIfEET_S1_S1_@rel32@lo+4
	s_addc_u32 s1, s1, _ZN12_GLOBAL__N_112calc_igammacIfEET_S1_S1_@rel32@hi+12
	s_swappc_b64 s[30:31], s[0:1]
	v_mov_b32_e32 v75, v0
.LBB34_95:
	v_bfe_u32 v0, v77, 16, 1
	v_cmp_o_f32_e32 vcc_lo, v77, v77
	v_and_b32_e32 v40, 0xffff0000, v98
	s_delay_alu instid0(VALU_DEP_3) | instskip(NEXT) | instid1(VALU_DEP_1)
	v_add3_u32 v0, v77, v0, 0x7fff
	v_and_b32_e32 v0, 0xffff0000, v0
	s_delay_alu instid0(VALU_DEP_1)
	v_cndmask_b32_e32 v77, 0x7fc00000, v0, vcc_lo
	s_and_b32 vcc_lo, exec_lo, s39
	s_cbranch_vccnz .LBB34_97
; %bb.96:
	s_delay_alu instid0(VALU_DEP_1) | instskip(SKIP_3) | instid1(SALU_CYCLE_1)
	v_dual_mov_b32 v0, v40 :: v_dual_mov_b32 v1, v77
	s_getpc_b64 s[0:1]
	s_add_u32 s0, s0, _ZN12_GLOBAL__N_111calc_igammaIfEET_S1_S1_@rel32@lo+4
	s_addc_u32 s1, s1, _ZN12_GLOBAL__N_111calc_igammaIfEET_S1_S1_@rel32@hi+12
	s_swappc_b64 s[30:31], s[0:1]
	v_mov_b32_e32 v76, v0
	s_cbranch_execz .LBB34_98
	s_branch .LBB34_99
.LBB34_97:
                                        ; implicit-def: $vgpr76
.LBB34_98:
	s_delay_alu instid0(VALU_DEP_1) | instskip(SKIP_3) | instid1(SALU_CYCLE_1)
	v_dual_mov_b32 v0, v40 :: v_dual_mov_b32 v1, v77
	s_getpc_b64 s[0:1]
	s_add_u32 s0, s0, _ZN12_GLOBAL__N_112calc_igammacIfEET_S1_S1_@rel32@lo+4
	s_addc_u32 s1, s1, _ZN12_GLOBAL__N_112calc_igammacIfEET_S1_S1_@rel32@hi+12
	s_swappc_b64 s[30:31], s[0:1]
	v_mov_b32_e32 v76, v0
.LBB34_99:
	s_waitcnt vmcnt(3)
	v_bfe_u32 v0, v78, 16, 1
	v_cmp_o_f32_e32 vcc_lo, v78, v78
	v_lshlrev_b32_e32 v40, 16, v97
	s_delay_alu instid0(VALU_DEP_3) | instskip(NEXT) | instid1(VALU_DEP_1)
	v_add3_u32 v0, v78, v0, 0x7fff
	v_and_b32_e32 v0, 0xffff0000, v0
	s_delay_alu instid0(VALU_DEP_1)
	v_cndmask_b32_e32 v78, 0x7fc00000, v0, vcc_lo
	s_and_b32 vcc_lo, exec_lo, s39
	s_cbranch_vccnz .LBB34_101
; %bb.100:
	s_delay_alu instid0(VALU_DEP_1) | instskip(SKIP_3) | instid1(SALU_CYCLE_1)
	v_dual_mov_b32 v0, v40 :: v_dual_mov_b32 v1, v78
	s_getpc_b64 s[0:1]
	s_add_u32 s0, s0, _ZN12_GLOBAL__N_111calc_igammaIfEET_S1_S1_@rel32@lo+4
	s_addc_u32 s1, s1, _ZN12_GLOBAL__N_111calc_igammaIfEET_S1_S1_@rel32@hi+12
	s_swappc_b64 s[30:31], s[0:1]
	v_mov_b32_e32 v77, v0
	s_cbranch_execz .LBB34_102
	s_branch .LBB34_103
.LBB34_101:
                                        ; implicit-def: $vgpr77
.LBB34_102:
	s_delay_alu instid0(VALU_DEP_1) | instskip(SKIP_3) | instid1(SALU_CYCLE_1)
	v_dual_mov_b32 v0, v40 :: v_dual_mov_b32 v1, v78
	s_getpc_b64 s[0:1]
	s_add_u32 s0, s0, _ZN12_GLOBAL__N_112calc_igammacIfEET_S1_S1_@rel32@lo+4
	s_addc_u32 s1, s1, _ZN12_GLOBAL__N_112calc_igammacIfEET_S1_S1_@rel32@hi+12
	s_swappc_b64 s[30:31], s[0:1]
	v_mov_b32_e32 v77, v0
.LBB34_103:
	v_bfe_u32 v0, v79, 16, 1
	v_cmp_o_f32_e32 vcc_lo, v79, v79
	v_and_b32_e32 v40, 0xffff0000, v97
	s_delay_alu instid0(VALU_DEP_3) | instskip(NEXT) | instid1(VALU_DEP_1)
	v_add3_u32 v0, v79, v0, 0x7fff
	v_and_b32_e32 v0, 0xffff0000, v0
	s_delay_alu instid0(VALU_DEP_1)
	v_cndmask_b32_e32 v79, 0x7fc00000, v0, vcc_lo
	s_and_b32 vcc_lo, exec_lo, s39
	s_cbranch_vccnz .LBB34_105
; %bb.104:
	s_delay_alu instid0(VALU_DEP_1) | instskip(SKIP_3) | instid1(SALU_CYCLE_1)
	v_dual_mov_b32 v0, v40 :: v_dual_mov_b32 v1, v79
	s_getpc_b64 s[0:1]
	s_add_u32 s0, s0, _ZN12_GLOBAL__N_111calc_igammaIfEET_S1_S1_@rel32@lo+4
	s_addc_u32 s1, s1, _ZN12_GLOBAL__N_111calc_igammaIfEET_S1_S1_@rel32@hi+12
	s_swappc_b64 s[30:31], s[0:1]
	v_mov_b32_e32 v78, v0
	s_cbranch_execz .LBB34_106
	s_branch .LBB34_107
.LBB34_105:
                                        ; implicit-def: $vgpr78
.LBB34_106:
	s_delay_alu instid0(VALU_DEP_1) | instskip(SKIP_3) | instid1(SALU_CYCLE_1)
	v_dual_mov_b32 v0, v40 :: v_dual_mov_b32 v1, v79
	s_getpc_b64 s[0:1]
	s_add_u32 s0, s0, _ZN12_GLOBAL__N_112calc_igammacIfEET_S1_S1_@rel32@lo+4
	s_addc_u32 s1, s1, _ZN12_GLOBAL__N_112calc_igammacIfEET_S1_S1_@rel32@hi+12
	s_swappc_b64 s[30:31], s[0:1]
	v_mov_b32_e32 v78, v0
.LBB34_107:
	s_waitcnt vmcnt(2)
	v_bfe_u32 v0, v80, 16, 1
	v_cmp_o_f32_e32 vcc_lo, v80, v80
	v_lshlrev_b32_e32 v40, 16, v96
	s_delay_alu instid0(VALU_DEP_3) | instskip(NEXT) | instid1(VALU_DEP_1)
	v_add3_u32 v0, v80, v0, 0x7fff
	v_and_b32_e32 v0, 0xffff0000, v0
	s_delay_alu instid0(VALU_DEP_1)
	v_cndmask_b32_e32 v80, 0x7fc00000, v0, vcc_lo
	s_and_b32 vcc_lo, exec_lo, s39
	s_cbranch_vccnz .LBB34_109
; %bb.108:
	v_mov_b32_e32 v0, v40
	s_delay_alu instid0(VALU_DEP_2) | instskip(SKIP_3) | instid1(SALU_CYCLE_1)
	v_mov_b32_e32 v1, v80
	s_getpc_b64 s[0:1]
	s_add_u32 s0, s0, _ZN12_GLOBAL__N_111calc_igammaIfEET_S1_S1_@rel32@lo+4
	s_addc_u32 s1, s1, _ZN12_GLOBAL__N_111calc_igammaIfEET_S1_S1_@rel32@hi+12
	s_swappc_b64 s[30:31], s[0:1]
	v_mov_b32_e32 v79, v0
	s_cbranch_execz .LBB34_110
	s_branch .LBB34_111
.LBB34_109:
                                        ; implicit-def: $vgpr79
.LBB34_110:
	v_mov_b32_e32 v0, v40
	s_delay_alu instid0(VALU_DEP_2) | instskip(SKIP_3) | instid1(SALU_CYCLE_1)
	v_mov_b32_e32 v1, v80
	s_getpc_b64 s[0:1]
	s_add_u32 s0, s0, _ZN12_GLOBAL__N_112calc_igammacIfEET_S1_S1_@rel32@lo+4
	s_addc_u32 s1, s1, _ZN12_GLOBAL__N_112calc_igammacIfEET_S1_S1_@rel32@hi+12
	s_swappc_b64 s[30:31], s[0:1]
	v_mov_b32_e32 v79, v0
.LBB34_111:
	v_bfe_u32 v0, v81, 16, 1
	v_cmp_o_f32_e32 vcc_lo, v81, v81
	v_and_b32_e32 v40, 0xffff0000, v96
	s_delay_alu instid0(VALU_DEP_3) | instskip(NEXT) | instid1(VALU_DEP_1)
	v_add3_u32 v0, v81, v0, 0x7fff
	v_and_b32_e32 v0, 0xffff0000, v0
	s_delay_alu instid0(VALU_DEP_1)
	v_cndmask_b32_e32 v81, 0x7fc00000, v0, vcc_lo
	s_and_b32 vcc_lo, exec_lo, s39
	s_cbranch_vccnz .LBB34_113
; %bb.112:
	s_delay_alu instid0(VALU_DEP_1) | instskip(SKIP_3) | instid1(SALU_CYCLE_1)
	v_dual_mov_b32 v0, v40 :: v_dual_mov_b32 v1, v81
	s_getpc_b64 s[0:1]
	s_add_u32 s0, s0, _ZN12_GLOBAL__N_111calc_igammaIfEET_S1_S1_@rel32@lo+4
	s_addc_u32 s1, s1, _ZN12_GLOBAL__N_111calc_igammaIfEET_S1_S1_@rel32@hi+12
	s_swappc_b64 s[30:31], s[0:1]
	v_mov_b32_e32 v80, v0
	s_cbranch_execz .LBB34_114
	s_branch .LBB34_115
.LBB34_113:
                                        ; implicit-def: $vgpr80
.LBB34_114:
	s_delay_alu instid0(VALU_DEP_1) | instskip(SKIP_3) | instid1(SALU_CYCLE_1)
	v_dual_mov_b32 v0, v40 :: v_dual_mov_b32 v1, v81
	s_getpc_b64 s[0:1]
	s_add_u32 s0, s0, _ZN12_GLOBAL__N_112calc_igammacIfEET_S1_S1_@rel32@lo+4
	s_addc_u32 s1, s1, _ZN12_GLOBAL__N_112calc_igammacIfEET_S1_S1_@rel32@hi+12
	s_swappc_b64 s[30:31], s[0:1]
	v_mov_b32_e32 v80, v0
.LBB34_115:
	s_waitcnt vmcnt(1)
	v_bfe_u32 v0, v82, 16, 1
	v_cmp_o_f32_e32 vcc_lo, v82, v82
	v_lshlrev_b32_e32 v40, 16, v95
	s_delay_alu instid0(VALU_DEP_3) | instskip(NEXT) | instid1(VALU_DEP_1)
	v_add3_u32 v0, v82, v0, 0x7fff
	v_and_b32_e32 v0, 0xffff0000, v0
	s_delay_alu instid0(VALU_DEP_1)
	v_cndmask_b32_e32 v82, 0x7fc00000, v0, vcc_lo
	s_and_b32 vcc_lo, exec_lo, s39
	s_cbranch_vccnz .LBB34_117
; %bb.116:
	s_delay_alu instid0(VALU_DEP_1) | instskip(SKIP_3) | instid1(SALU_CYCLE_1)
	v_dual_mov_b32 v0, v40 :: v_dual_mov_b32 v1, v82
	s_getpc_b64 s[0:1]
	s_add_u32 s0, s0, _ZN12_GLOBAL__N_111calc_igammaIfEET_S1_S1_@rel32@lo+4
	s_addc_u32 s1, s1, _ZN12_GLOBAL__N_111calc_igammaIfEET_S1_S1_@rel32@hi+12
	s_swappc_b64 s[30:31], s[0:1]
	v_mov_b32_e32 v81, v0
	s_cbranch_execz .LBB34_118
	s_branch .LBB34_119
.LBB34_117:
                                        ; implicit-def: $vgpr81
.LBB34_118:
	s_delay_alu instid0(VALU_DEP_1) | instskip(SKIP_3) | instid1(SALU_CYCLE_1)
	v_dual_mov_b32 v0, v40 :: v_dual_mov_b32 v1, v82
	s_getpc_b64 s[0:1]
	s_add_u32 s0, s0, _ZN12_GLOBAL__N_112calc_igammacIfEET_S1_S1_@rel32@lo+4
	s_addc_u32 s1, s1, _ZN12_GLOBAL__N_112calc_igammacIfEET_S1_S1_@rel32@hi+12
	s_swappc_b64 s[30:31], s[0:1]
	v_mov_b32_e32 v81, v0
.LBB34_119:
	v_bfe_u32 v0, v83, 16, 1
	v_cmp_o_f32_e32 vcc_lo, v83, v83
	v_and_b32_e32 v40, 0xffff0000, v95
	s_delay_alu instid0(VALU_DEP_3) | instskip(NEXT) | instid1(VALU_DEP_1)
	v_add3_u32 v0, v83, v0, 0x7fff
	v_and_b32_e32 v0, 0xffff0000, v0
	s_delay_alu instid0(VALU_DEP_1)
	v_cndmask_b32_e32 v83, 0x7fc00000, v0, vcc_lo
	s_and_b32 vcc_lo, exec_lo, s39
	s_cbranch_vccnz .LBB34_121
; %bb.120:
	s_delay_alu instid0(VALU_DEP_1) | instskip(SKIP_3) | instid1(SALU_CYCLE_1)
	v_dual_mov_b32 v0, v40 :: v_dual_mov_b32 v1, v83
	s_getpc_b64 s[0:1]
	s_add_u32 s0, s0, _ZN12_GLOBAL__N_111calc_igammaIfEET_S1_S1_@rel32@lo+4
	s_addc_u32 s1, s1, _ZN12_GLOBAL__N_111calc_igammaIfEET_S1_S1_@rel32@hi+12
	s_swappc_b64 s[30:31], s[0:1]
	v_mov_b32_e32 v82, v0
	s_cbranch_execz .LBB34_122
	s_branch .LBB34_123
.LBB34_121:
                                        ; implicit-def: $vgpr82
.LBB34_122:
	s_delay_alu instid0(VALU_DEP_1) | instskip(SKIP_3) | instid1(SALU_CYCLE_1)
	v_dual_mov_b32 v0, v40 :: v_dual_mov_b32 v1, v83
	s_getpc_b64 s[0:1]
	s_add_u32 s0, s0, _ZN12_GLOBAL__N_112calc_igammacIfEET_S1_S1_@rel32@lo+4
	s_addc_u32 s1, s1, _ZN12_GLOBAL__N_112calc_igammacIfEET_S1_S1_@rel32@hi+12
	s_swappc_b64 s[30:31], s[0:1]
	v_mov_b32_e32 v82, v0
.LBB34_123:
	s_waitcnt vmcnt(0)
	v_bfe_u32 v0, v84, 16, 1
	v_cmp_o_f32_e32 vcc_lo, v84, v84
	v_lshlrev_b32_e32 v40, 16, v94
	s_delay_alu instid0(VALU_DEP_3) | instskip(NEXT) | instid1(VALU_DEP_1)
	v_add3_u32 v0, v84, v0, 0x7fff
	v_and_b32_e32 v0, 0xffff0000, v0
	s_delay_alu instid0(VALU_DEP_1)
	v_cndmask_b32_e32 v84, 0x7fc00000, v0, vcc_lo
	s_and_b32 vcc_lo, exec_lo, s39
	s_cbranch_vccnz .LBB34_125
; %bb.124:
	v_mov_b32_e32 v0, v40
	s_delay_alu instid0(VALU_DEP_2) | instskip(SKIP_3) | instid1(SALU_CYCLE_1)
	v_mov_b32_e32 v1, v84
	s_getpc_b64 s[0:1]
	s_add_u32 s0, s0, _ZN12_GLOBAL__N_111calc_igammaIfEET_S1_S1_@rel32@lo+4
	s_addc_u32 s1, s1, _ZN12_GLOBAL__N_111calc_igammaIfEET_S1_S1_@rel32@hi+12
	s_swappc_b64 s[30:31], s[0:1]
	v_mov_b32_e32 v83, v0
	s_cbranch_execz .LBB34_126
	s_branch .LBB34_127
.LBB34_125:
                                        ; implicit-def: $vgpr83
.LBB34_126:
	v_mov_b32_e32 v0, v40
	s_delay_alu instid0(VALU_DEP_2) | instskip(SKIP_3) | instid1(SALU_CYCLE_1)
	v_mov_b32_e32 v1, v84
	s_getpc_b64 s[0:1]
	s_add_u32 s0, s0, _ZN12_GLOBAL__N_112calc_igammacIfEET_S1_S1_@rel32@lo+4
	s_addc_u32 s1, s1, _ZN12_GLOBAL__N_112calc_igammacIfEET_S1_S1_@rel32@hi+12
	s_swappc_b64 s[30:31], s[0:1]
	v_mov_b32_e32 v83, v0
.LBB34_127:
	v_bfe_u32 v0, v85, 16, 1
	v_cmp_o_f32_e32 vcc_lo, v85, v85
	v_and_b32_e32 v40, 0xffff0000, v94
	s_delay_alu instid0(VALU_DEP_3) | instskip(NEXT) | instid1(VALU_DEP_1)
	v_add3_u32 v0, v85, v0, 0x7fff
	v_and_b32_e32 v0, 0xffff0000, v0
	s_delay_alu instid0(VALU_DEP_1)
	v_cndmask_b32_e32 v84, 0x7fc00000, v0, vcc_lo
	s_and_b32 vcc_lo, exec_lo, s39
	s_cbranch_vccnz .LBB34_129
; %bb.128:
	v_mov_b32_e32 v0, v40
	s_delay_alu instid0(VALU_DEP_2) | instskip(SKIP_3) | instid1(SALU_CYCLE_1)
	v_mov_b32_e32 v1, v84
	s_getpc_b64 s[0:1]
	s_add_u32 s0, s0, _ZN12_GLOBAL__N_111calc_igammaIfEET_S1_S1_@rel32@lo+4
	s_addc_u32 s1, s1, _ZN12_GLOBAL__N_111calc_igammaIfEET_S1_S1_@rel32@hi+12
	s_swappc_b64 s[30:31], s[0:1]
	s_cbranch_execz .LBB34_130
	s_branch .LBB34_131
.LBB34_129:
                                        ; implicit-def: $vgpr0
.LBB34_130:
	v_mov_b32_e32 v0, v40
	s_delay_alu instid0(VALU_DEP_2) | instskip(SKIP_3) | instid1(SALU_CYCLE_1)
	v_mov_b32_e32 v1, v84
	s_getpc_b64 s[0:1]
	s_add_u32 s0, s0, _ZN12_GLOBAL__N_112calc_igammacIfEET_S1_S1_@rel32@lo+4
	s_addc_u32 s1, s1, _ZN12_GLOBAL__N_112calc_igammacIfEET_S1_S1_@rel32@hi+12
	s_swappc_b64 s[30:31], s[0:1]
.LBB34_131:
	v_bfe_u32 v1, v44, 16, 1
	v_bfe_u32 v2, v43, 16, 1
	v_cmp_o_f32_e32 vcc_lo, v44, v44
	v_bfe_u32 v3, v46, 16, 1
	v_bfe_u32 v4, v45, 16, 1
	v_add3_u32 v1, v44, v1, 0x7fff
	v_add3_u32 v2, v43, v2, 0x7fff
	v_bfe_u32 v6, v58, 16, 1
	v_add3_u32 v3, v46, v3, 0x7fff
	v_add3_u32 v4, v45, v4, 0x7fff
	v_and_b32_e32 v1, 0xffff0000, v1
	v_lshrrev_b32_e32 v2, 16, v2
	v_bfe_u32 v5, v57, 16, 1
	v_add3_u32 v6, v58, v6, 0x7fff
	v_lshrrev_b32_e32 v4, 16, v4
	v_cndmask_b32_e32 v1, 0x7fc00000, v1, vcc_lo
	v_cmp_o_f32_e32 vcc_lo, v43, v43
	v_add3_u32 v5, v57, v5, 0x7fff
	v_and_b32_e32 v6, 0xffff0000, v6
	v_bfe_u32 v8, v60, 16, 1
	v_bfe_u32 v7, v59, 16, 1
	v_cndmask_b32_e32 v2, 0x7fc0, v2, vcc_lo
	v_cmp_o_f32_e32 vcc_lo, v46, v46
	v_lshrrev_b32_e32 v5, 16, v5
	v_add3_u32 v8, v60, v8, 0x7fff
	v_add3_u32 v7, v59, v7, 0x7fff
	v_or_b32_e32 v11, v1, v2
	v_and_b32_e32 v1, 0xffff0000, v3
	v_bfe_u32 v3, v56, 16, 1
	v_bfe_u32 v2, v47, 16, 1
	s_add_u32 s0, s40, s46
	s_addc_u32 s1, s41, s47
	v_cndmask_b32_e32 v1, 0x7fc00000, v1, vcc_lo
	v_add3_u32 v3, v56, v3, 0x7fff
	v_cmp_o_f32_e32 vcc_lo, v45, v45
	v_add3_u32 v2, v47, v2, 0x7fff
	v_add_co_u32 v13, s3, s0, v86
	s_delay_alu instid0(VALU_DEP_4) | instskip(SKIP_4) | instid1(VALU_DEP_4)
	v_and_b32_e32 v3, 0xffff0000, v3
	v_cndmask_b32_e32 v4, 0x7fc0, v4, vcc_lo
	v_cmp_o_f32_e32 vcc_lo, v56, v56
	v_lshrrev_b32_e32 v2, 16, v2
	v_add_co_ci_u32_e64 v14, null, s1, 0, s3
	v_or_b32_e32 v12, v1, v4
	v_cndmask_b32_e32 v3, 0x7fc00000, v3, vcc_lo
	v_cmp_o_f32_e32 vcc_lo, v47, v47
	v_and_b32_e32 v1, 0xffff0000, v8
	v_bfe_u32 v4, v62, 16, 1
	v_bfe_u32 v8, v68, 16, 1
	;; [unrolled: 1-line block ×3, first 2 shown]
	v_cndmask_b32_e32 v2, 0x7fc0, v2, vcc_lo
	v_cmp_o_f32_e32 vcc_lo, v58, v58
	v_add3_u32 v4, v62, v4, 0x7fff
	v_bfe_u32 v23, v75, 16, 1
	v_bfe_u32 v26, v78, 16, 1
	v_or_b32_e32 v15, v3, v2
	v_cndmask_b32_e32 v6, 0x7fc00000, v6, vcc_lo
	v_cmp_o_f32_e32 vcc_lo, v57, v57
	v_lshrrev_b32_e32 v2, 16, v7
	v_bfe_u32 v3, v61, 16, 1
	v_and_b32_e32 v4, 0xffff0000, v4
	v_bfe_u32 v7, v67, 16, 1
	v_cndmask_b32_e32 v5, 0x7fc0, v5, vcc_lo
	v_cmp_o_f32_e32 vcc_lo, v60, v60
	v_add3_u32 v3, v61, v3, 0x7fff
	v_bfe_u32 v25, v77, 16, 1
	v_add3_u32 v26, v78, v26, 0x7fff
	v_or_b32_e32 v16, v6, v5
	v_cndmask_b32_e32 v5, 0x7fc00000, v1, vcc_lo
	v_cmp_o_f32_e32 vcc_lo, v59, v59
	v_lshrrev_b32_e32 v3, 16, v3
	v_add3_u32 v25, v77, v25, 0x7fff
	v_and_b32_e32 v26, 0xffff0000, v26
	v_bfe_u32 v28, v80, 16, 1
	v_cndmask_b32_e32 v6, 0x7fc0, v2, vcc_lo
	v_add_co_u32 v1, vcc_lo, 0x1000, v13
	v_add_co_ci_u32_e32 v2, vcc_lo, 0, v14, vcc_lo
	v_cmp_o_f32_e32 vcc_lo, v62, v62
	s_delay_alu instid0(VALU_DEP_4)
	v_or_b32_e32 v17, v5, v6
	v_bfe_u32 v6, v66, 16, 1
	v_bfe_u32 v5, v63, 16, 1
	v_lshrrev_b32_e32 v25, 16, v25
	v_cndmask_b32_e32 v4, 0x7fc00000, v4, vcc_lo
	v_cmp_o_f32_e32 vcc_lo, v61, v61
	v_add3_u32 v6, v66, v6, 0x7fff
	v_add3_u32 v5, v63, v5, 0x7fff
	v_bfe_u32 v27, v79, 16, 1
	v_add3_u32 v28, v80, v28, 0x7fff
	v_cndmask_b32_e32 v3, 0x7fc0, v3, vcc_lo
	v_cmp_o_f32_e32 vcc_lo, v66, v66
	v_bfe_u32 v29, v81, 16, 1
	v_add3_u32 v27, v79, v27, 0x7fff
	v_bfe_u32 v30, v82, 16, 1
	v_or_b32_e32 v18, v4, v3
	v_and_b32_e32 v3, 0xffff0000, v6
	v_lshrrev_b32_e32 v4, 16, v5
	v_add3_u32 v5, v67, v7, 0x7fff
	v_add3_u32 v6, v68, v8, 0x7fff
	v_lshrrev_b32_e32 v27, 16, v27
	v_cndmask_b32_e32 v7, 0x7fc00000, v3, vcc_lo
	v_cmp_o_f32_e32 vcc_lo, v63, v63
	v_bfe_u32 v31, v0, 16, 1
	v_and_b32_e32 v3, 0xffff0000, v6
	v_bfe_u32 v6, v70, 16, 1
	v_cndmask_b32_e32 v8, 0x7fc0, v4, vcc_lo
	v_cmp_o_f32_e32 vcc_lo, v68, v68
	v_lshrrev_b32_e32 v4, 16, v5
	v_bfe_u32 v5, v69, 16, 1
	v_add3_u32 v6, v70, v6, 0x7fff
	v_or_b32_e32 v19, v7, v8
	v_cndmask_b32_e32 v9, 0x7fc00000, v3, vcc_lo
	v_cmp_o_f32_e32 vcc_lo, v67, v67
	v_add3_u32 v5, v69, v5, 0x7fff
	v_and_b32_e32 v6, 0xffff0000, v6
	v_bfe_u32 v8, v72, 16, 1
	v_bfe_u32 v7, v71, 16, 1
	v_cndmask_b32_e32 v10, 0x7fc0, v4, vcc_lo
	v_add_co_u32 v3, vcc_lo, 0x2000, v13
	v_add_co_ci_u32_e32 v4, vcc_lo, 0, v14, vcc_lo
	v_cmp_o_f32_e32 vcc_lo, v70, v70
	s_delay_alu instid0(VALU_DEP_4)
	v_or_b32_e32 v20, v9, v10
	v_lshrrev_b32_e32 v5, 16, v5
	v_add3_u32 v8, v72, v8, 0x7fff
	v_add3_u32 v7, v71, v7, 0x7fff
	v_cndmask_b32_e32 v9, 0x7fc00000, v6, vcc_lo
	v_cmp_o_f32_e32 vcc_lo, v69, v69
	v_add3_u32 v31, v0, v31, 0x7fff
	v_and_b32_e32 v8, 0xffff0000, v8
	v_lshrrev_b32_e32 v7, 16, v7
	v_cndmask_b32_e32 v10, 0x7fc0, v5, vcc_lo
	v_add_co_u32 v5, vcc_lo, 0x3000, v13
	v_add_co_ci_u32_e32 v6, vcc_lo, 0, v14, vcc_lo
	v_cmp_o_f32_e32 vcc_lo, v72, v72
	s_delay_alu instid0(VALU_DEP_4) | instskip(SKIP_4) | instid1(VALU_DEP_4)
	v_or_b32_e32 v21, v9, v10
	v_bfe_u32 v9, v74, 16, 1
	v_bfe_u32 v10, v73, 16, 1
	v_cndmask_b32_e32 v8, 0x7fc00000, v8, vcc_lo
	v_cmp_o_f32_e32 vcc_lo, v71, v71
	v_add3_u32 v9, v74, v9, 0x7fff
	s_delay_alu instid0(VALU_DEP_4) | instskip(SKIP_2) | instid1(VALU_DEP_3)
	v_add3_u32 v10, v73, v10, 0x7fff
	v_cndmask_b32_e32 v7, 0x7fc0, v7, vcc_lo
	v_cmp_o_f32_e32 vcc_lo, v74, v74
	v_lshrrev_b32_e32 v10, 16, v10
	s_delay_alu instid0(VALU_DEP_3) | instskip(SKIP_3) | instid1(VALU_DEP_3)
	v_or_b32_e32 v24, v8, v7
	v_and_b32_e32 v7, 0xffff0000, v9
	v_add3_u32 v8, v76, v22, 0x7fff
	v_add3_u32 v9, v75, v23, 0x7fff
	v_cndmask_b32_e32 v22, 0x7fc00000, v7, vcc_lo
	v_cmp_o_f32_e32 vcc_lo, v73, v73
	s_delay_alu instid0(VALU_DEP_4) | instskip(NEXT) | instid1(VALU_DEP_4)
	v_and_b32_e32 v7, 0xffff0000, v8
	v_lshrrev_b32_e32 v8, 16, v9
	v_cndmask_b32_e32 v9, 0x7fc0, v10, vcc_lo
	v_cmp_o_f32_e32 vcc_lo, v76, v76
	s_delay_alu instid0(VALU_DEP_2)
	v_or_b32_e32 v22, v22, v9
	v_cndmask_b32_e32 v10, 0x7fc00000, v7, vcc_lo
	v_cmp_o_f32_e32 vcc_lo, v75, v75
	v_cndmask_b32_e32 v23, 0x7fc0, v8, vcc_lo
	v_add_co_u32 v7, vcc_lo, 0x4000, v13
	v_add_co_ci_u32_e32 v8, vcc_lo, 0, v14, vcc_lo
	v_add_co_u32 v9, vcc_lo, 0x5000, v13
	s_delay_alu instid0(VALU_DEP_4)
	v_or_b32_e32 v23, v10, v23
	v_add_co_ci_u32_e32 v10, vcc_lo, 0, v14, vcc_lo
	v_cmp_o_f32_e32 vcc_lo, v78, v78
	v_cndmask_b32_e32 v26, 0x7fc00000, v26, vcc_lo
	v_cmp_o_f32_e32 vcc_lo, v77, v77
	v_cndmask_b32_e32 v25, 0x7fc0, v25, vcc_lo
	v_cmp_o_f32_e32 vcc_lo, v80, v80
	s_delay_alu instid0(VALU_DEP_2)
	v_or_b32_e32 v25, v26, v25
	v_and_b32_e32 v26, 0xffff0000, v28
	v_add3_u32 v28, v81, v29, 0x7fff
	v_add3_u32 v29, v82, v30, 0x7fff
	v_bfe_u32 v30, v83, 16, 1
	s_clause 0x7
	global_store_b32 v86, v11, s[0:1]
	global_store_b32 v86, v12, s[0:1] offset:2048
	global_store_b32 v87, v15, s[0:1]
	global_store_b32 v88, v17, s[0:1]
	;; [unrolled: 1-line block ×6, first 2 shown]
	v_cndmask_b32_e32 v26, 0x7fc00000, v26, vcc_lo
	v_cmp_o_f32_e32 vcc_lo, v79, v79
	v_and_b32_e32 v29, 0xffff0000, v29
	v_lshrrev_b32_e32 v28, 16, v28
	v_add3_u32 v30, v83, v30, 0x7fff
	v_and_b32_e32 v11, 0xffff0000, v31
	v_cndmask_b32_e32 v27, 0x7fc0, v27, vcc_lo
	v_cmp_o_f32_e32 vcc_lo, v82, v82
	s_delay_alu instid0(VALU_DEP_4) | instskip(NEXT) | instid1(VALU_DEP_3)
	v_lshrrev_b32_e32 v12, 16, v30
	v_or_b32_e32 v15, v26, v27
	v_cndmask_b32_e32 v29, 0x7fc00000, v29, vcc_lo
	v_cmp_o_f32_e32 vcc_lo, v81, v81
	v_cndmask_b32_e32 v28, 0x7fc0, v28, vcc_lo
	v_cmp_o_f32_e32 vcc_lo, v0, v0
	s_delay_alu instid0(VALU_DEP_2)
	v_or_b32_e32 v17, v29, v28
	v_cndmask_b32_e32 v0, 0x7fc00000, v11, vcc_lo
	v_cmp_o_f32_e32 vcc_lo, v83, v83
	global_store_b32 v92, v17, s[0:1]
	v_cndmask_b32_e32 v19, 0x7fc0, v12, vcc_lo
	v_add_co_u32 v11, vcc_lo, 0x6000, v13
	v_add_co_ci_u32_e32 v12, vcc_lo, 0, v14, vcc_lo
	v_add_co_u32 v13, vcc_lo, 0x7000, v13
	s_delay_alu instid0(VALU_DEP_4)
	v_or_b32_e32 v0, v0, v19
	v_add_co_ci_u32_e32 v14, vcc_lo, 0, v14, vcc_lo
	s_clause 0x6
	global_store_b32 v[1:2], v16, off offset:2048
	global_store_b32 v[3:4], v18, off offset:2048
	;; [unrolled: 1-line block ×7, first 2 shown]
	s_branch .LBB34_2
.LBB34_132:
	s_clause 0x1
	s_load_b32 s6, s[36:37], 0x24
	s_load_b128 s[0:3], s[36:37], 0x28
	v_cndmask_b32_e64 v0, 0, 1, s49
	v_dual_mov_b32 v31, v42 :: v_dual_mov_b32 v2, s41
	v_dual_mov_b32 v1, s40 :: v_dual_mov_b32 v4, s43
	;; [unrolled: 1-line block ×3, first 2 shown]
	v_mov_b32_e32 v5, s44
	v_mov_b32_e32 v7, s48
	s_add_u32 s8, s36, 56
	s_addc_u32 s9, s37, 0
	s_mov_b32 s12, s38
	s_getpc_b64 s[4:5]
	s_add_u32 s4, s4, _ZN2at6native25elementwise_kernel_helperILb1EN12_GLOBAL__N_110CalcIgammaIfEENS0_6memory8policies11unroll_baseILi512ESt5arrayIPcLm3EE23TrivialOffsetCalculatorILi2EjESB_ILi1EjENS5_12LoadWithCastILi2EEENS5_13StoreWithCastILi1EEELi32ELi1EEEEEvT0_T1_@rel32@lo+4
	s_addc_u32 s5, s5, _ZN2at6native25elementwise_kernel_helperILb1EN12_GLOBAL__N_110CalcIgammaIfEENS0_6memory8policies11unroll_baseILi512ESt5arrayIPcLm3EE23TrivialOffsetCalculatorILi2EjESB_ILi1EjENS5_12LoadWithCastILi2EEENS5_13StoreWithCastILi1EEELi32ELi1EEEEEvT0_T1_@rel32@hi+12
	s_waitcnt lgkmcnt(0)
	v_lshrrev_b16 v9, 8, s6
	v_mov_b32_e32 v10, s0
	v_dual_mov_b32 v8, s6 :: v_dual_mov_b32 v11, s1
	v_dual_mov_b32 v12, s2 :: v_dual_mov_b32 v13, s3
	s_swappc_b64 s[30:31], s[4:5]
	s_endpgm
	.section	.rodata,"a",@progbits
	.p2align	6, 0x0
	.amdhsa_kernel _ZN2at6native39vectorized_templated_elementwise_kernelILi2EN12_GLOBAL__N_110CalcIgammaIfEESt5arrayIPcLm3EE23TrivialOffsetCalculatorILi2EjES8_ILi1EjENS0_6memory12LoadWithCastILi2EEENSB_13StoreWithCastILi1EEEN3c108BFloat16EJSH_fEEEviT0_T1_T2_T3_T4_T5_
		.amdhsa_group_segment_fixed_size 0
		.amdhsa_private_segment_fixed_size 448
		.amdhsa_kernarg_size 312
		.amdhsa_user_sgpr_count 15
		.amdhsa_user_sgpr_dispatch_ptr 0
		.amdhsa_user_sgpr_queue_ptr 0
		.amdhsa_user_sgpr_kernarg_segment_ptr 1
		.amdhsa_user_sgpr_dispatch_id 0
		.amdhsa_user_sgpr_private_segment_size 0
		.amdhsa_wavefront_size32 1
		.amdhsa_uses_dynamic_stack 0
		.amdhsa_enable_private_segment 1
		.amdhsa_system_sgpr_workgroup_id_x 1
		.amdhsa_system_sgpr_workgroup_id_y 0
		.amdhsa_system_sgpr_workgroup_id_z 0
		.amdhsa_system_sgpr_workgroup_info 0
		.amdhsa_system_vgpr_workitem_id 0
		.amdhsa_next_free_vgpr 147
		.amdhsa_next_free_sgpr 77
		.amdhsa_reserve_vcc 1
		.amdhsa_float_round_mode_32 0
		.amdhsa_float_round_mode_16_64 0
		.amdhsa_float_denorm_mode_32 3
		.amdhsa_float_denorm_mode_16_64 3
		.amdhsa_dx10_clamp 1
		.amdhsa_ieee_mode 1
		.amdhsa_fp16_overflow 0
		.amdhsa_workgroup_processor_mode 1
		.amdhsa_memory_ordered 1
		.amdhsa_forward_progress 0
		.amdhsa_shared_vgpr_count 0
		.amdhsa_exception_fp_ieee_invalid_op 0
		.amdhsa_exception_fp_denorm_src 0
		.amdhsa_exception_fp_ieee_div_zero 0
		.amdhsa_exception_fp_ieee_overflow 0
		.amdhsa_exception_fp_ieee_underflow 0
		.amdhsa_exception_fp_ieee_inexact 0
		.amdhsa_exception_int_div_zero 0
	.end_amdhsa_kernel
	.section	.text._ZN2at6native39vectorized_templated_elementwise_kernelILi2EN12_GLOBAL__N_110CalcIgammaIfEESt5arrayIPcLm3EE23TrivialOffsetCalculatorILi2EjES8_ILi1EjENS0_6memory12LoadWithCastILi2EEENSB_13StoreWithCastILi1EEEN3c108BFloat16EJSH_fEEEviT0_T1_T2_T3_T4_T5_,"axG",@progbits,_ZN2at6native39vectorized_templated_elementwise_kernelILi2EN12_GLOBAL__N_110CalcIgammaIfEESt5arrayIPcLm3EE23TrivialOffsetCalculatorILi2EjES8_ILi1EjENS0_6memory12LoadWithCastILi2EEENSB_13StoreWithCastILi1EEEN3c108BFloat16EJSH_fEEEviT0_T1_T2_T3_T4_T5_,comdat
.Lfunc_end34:
	.size	_ZN2at6native39vectorized_templated_elementwise_kernelILi2EN12_GLOBAL__N_110CalcIgammaIfEESt5arrayIPcLm3EE23TrivialOffsetCalculatorILi2EjES8_ILi1EjENS0_6memory12LoadWithCastILi2EEENSB_13StoreWithCastILi1EEEN3c108BFloat16EJSH_fEEEviT0_T1_T2_T3_T4_T5_, .Lfunc_end34-_ZN2at6native39vectorized_templated_elementwise_kernelILi2EN12_GLOBAL__N_110CalcIgammaIfEESt5arrayIPcLm3EE23TrivialOffsetCalculatorILi2EjES8_ILi1EjENS0_6memory12LoadWithCastILi2EEENSB_13StoreWithCastILi1EEEN3c108BFloat16EJSH_fEEEviT0_T1_T2_T3_T4_T5_
                                        ; -- End function
	.section	.AMDGPU.csdata,"",@progbits
; Kernel info:
; codeLenInByte = 7444
; NumSgprs: 79
; NumVgprs: 147
; ScratchSize: 448
; MemoryBound: 0
; FloatMode: 240
; IeeeMode: 1
; LDSByteSize: 0 bytes/workgroup (compile time only)
; SGPRBlocks: 9
; VGPRBlocks: 18
; NumSGPRsForWavesPerEU: 79
; NumVGPRsForWavesPerEU: 147
; Occupancy: 9
; WaveLimiterHint : 0
; COMPUTE_PGM_RSRC2:SCRATCH_EN: 1
; COMPUTE_PGM_RSRC2:USER_SGPR: 15
; COMPUTE_PGM_RSRC2:TRAP_HANDLER: 0
; COMPUTE_PGM_RSRC2:TGID_X_EN: 1
; COMPUTE_PGM_RSRC2:TGID_Y_EN: 0
; COMPUTE_PGM_RSRC2:TGID_Z_EN: 0
; COMPUTE_PGM_RSRC2:TIDIG_COMP_CNT: 0
	.section	.text._ZN2at6native39vectorized_templated_elementwise_kernelILi8EN12_GLOBAL__N_110CalcIgammaIfEESt5arrayIPcLm3EE23TrivialOffsetCalculatorILi2EjES8_ILi1EjENS0_6memory12LoadWithCastILi2EEENSB_13StoreWithCastILi1EEEfJfN3c104HalfEEEEviT0_T1_T2_T3_T4_T5_,"axG",@progbits,_ZN2at6native39vectorized_templated_elementwise_kernelILi8EN12_GLOBAL__N_110CalcIgammaIfEESt5arrayIPcLm3EE23TrivialOffsetCalculatorILi2EjES8_ILi1EjENS0_6memory12LoadWithCastILi2EEENSB_13StoreWithCastILi1EEEfJfN3c104HalfEEEEviT0_T1_T2_T3_T4_T5_,comdat
	.globl	_ZN2at6native39vectorized_templated_elementwise_kernelILi8EN12_GLOBAL__N_110CalcIgammaIfEESt5arrayIPcLm3EE23TrivialOffsetCalculatorILi2EjES8_ILi1EjENS0_6memory12LoadWithCastILi2EEENSB_13StoreWithCastILi1EEEfJfN3c104HalfEEEEviT0_T1_T2_T3_T4_T5_ ; -- Begin function _ZN2at6native39vectorized_templated_elementwise_kernelILi8EN12_GLOBAL__N_110CalcIgammaIfEESt5arrayIPcLm3EE23TrivialOffsetCalculatorILi2EjES8_ILi1EjENS0_6memory12LoadWithCastILi2EEENSB_13StoreWithCastILi1EEEfJfN3c104HalfEEEEviT0_T1_T2_T3_T4_T5_
	.p2align	8
	.type	_ZN2at6native39vectorized_templated_elementwise_kernelILi8EN12_GLOBAL__N_110CalcIgammaIfEESt5arrayIPcLm3EE23TrivialOffsetCalculatorILi2EjES8_ILi1EjENS0_6memory12LoadWithCastILi2EEENSB_13StoreWithCastILi1EEEfJfN3c104HalfEEEEviT0_T1_T2_T3_T4_T5_,@function
_ZN2at6native39vectorized_templated_elementwise_kernelILi8EN12_GLOBAL__N_110CalcIgammaIfEESt5arrayIPcLm3EE23TrivialOffsetCalculatorILi2EjES8_ILi1EjENS0_6memory12LoadWithCastILi2EEENSB_13StoreWithCastILi1EEEfJfN3c104HalfEEEEviT0_T1_T2_T3_T4_T5_: ; @_ZN2at6native39vectorized_templated_elementwise_kernelILi8EN12_GLOBAL__N_110CalcIgammaIfEESt5arrayIPcLm3EE23TrivialOffsetCalculatorILi2EjES8_ILi1EjENS0_6memory12LoadWithCastILi2EEENSB_13StoreWithCastILi1EEEfJfN3c104HalfEEEEviT0_T1_T2_T3_T4_T5_
; %bb.0:
	s_mov_b64 s[36:37], s[0:1]
	s_clause 0x1
	s_load_b64 s[2:3], s[0:1], 0x0
	s_load_b32 s0, s[0:1], 0x38
	s_clause 0x1
	s_load_b64 s[44:45], s[36:37], 0x18
	s_load_b128 s[40:43], s[36:37], 0x8
	v_mov_b32_e32 v46, v0
	s_mov_b32 s38, s15
	s_mov_b32 s32, 0
	s_waitcnt lgkmcnt(0)
	s_bitcmp1_b32 s3, 0
	s_cselect_b32 s49, -1, 0
	s_not_b32 s1, s15
	s_delay_alu instid0(SALU_CYCLE_1) | instskip(SKIP_2) | instid1(SALU_CYCLE_1)
	s_add_i32 s0, s0, s1
	s_mov_b32 s1, -1
	s_lshl_b32 s0, s0, 14
	s_sub_i32 s48, s2, s0
	s_delay_alu instid0(SALU_CYCLE_1)
	s_cmpk_gt_i32 s48, 0x3fff
	s_cbranch_scc1 .LBB35_3
; %bb.1:
	s_and_b32 vcc_lo, exec_lo, s1
	s_cbranch_vccnz .LBB35_132
.LBB35_2:
	s_endpgm
.LBB35_3:
	s_ashr_i32 s1, s0, 31
	v_lshlrev_b32_e32 v107, 5, v46
	s_lshl_b64 s[46:47], s[0:1], 2
	s_xor_b32 s50, s49, -1
	s_add_u32 s2, s42, s46
	s_addc_u32 s3, s43, s47
	v_add_co_u32 v2, s4, s2, v107
	s_delay_alu instid0(VALU_DEP_1) | instskip(SKIP_1) | instid1(VALU_DEP_3)
	v_add_co_ci_u32_e64 v3, null, s3, 0, s4
	v_or_b32_e32 v4, 0x400, v46
	v_add_co_u32 v0, vcc_lo, 0x4000, v2
	v_lshlrev_b32_e32 v5, 4, v46
	s_lshl_b64 s[0:1], s[0:1], 1
	v_add_co_ci_u32_e32 v1, vcc_lo, 0, v3, vcc_lo
	s_add_u32 s0, s44, s0
	v_lshlrev_b32_e32 v47, 5, v4
	s_clause 0x5
	global_load_b128 v[74:77], v107, s[2:3] offset:16
	global_load_b128 v[66:69], v107, s[2:3]
	global_load_b128 v[87:90], v[0:1], off
	global_load_b128 v[83:86], v[0:1], off offset:16
	global_load_b128 v[70:73], v47, s[2:3] offset:16
	global_load_b128 v[78:81], v47, s[2:3]
	s_addc_u32 s1, s45, s1
	v_add_co_u32 v6, s2, s0, v5
	v_add_co_u32 v0, vcc_lo, 0xc000, v2
	v_add_co_ci_u32_e64 v7, null, s1, 0, s2
	v_add_co_ci_u32_e32 v1, vcc_lo, 0, v3, vcc_lo
	s_delay_alu instid0(VALU_DEP_4) | instskip(NEXT) | instid1(VALU_DEP_3)
	v_add_co_u32 v2, vcc_lo, 0x2000, v6
	v_add_co_ci_u32_e32 v3, vcc_lo, 0, v7, vcc_lo
	v_lshlrev_b32_e32 v8, 4, v4
	v_add_co_u32 v4, vcc_lo, 0x6000, v6
	global_load_b128 v[103:106], v5, s[0:1]
	v_add_co_ci_u32_e32 v5, vcc_lo, 0, v7, vcc_lo
	s_clause 0x1
	global_load_b128 v[60:63], v[0:1], off
	global_load_b128 v[42:45], v[0:1], off offset:16
	s_clause 0x2
	global_load_b128 v[99:102], v[2:3], off
	global_load_b128 v[95:98], v8, s[0:1]
	global_load_b128 v[91:94], v[4:5], off
	s_and_b32 vcc_lo, exec_lo, s50
	s_mov_b32 s39, 0
	s_waitcnt vmcnt(5)
	v_cvt_f32_f16_e32 v40, v103
	s_cbranch_vccz .LBB35_5
; %bb.4:
	s_delay_alu instid0(VALU_DEP_1) | instskip(SKIP_3) | instid1(SALU_CYCLE_1)
	v_dual_mov_b32 v0, v66 :: v_dual_mov_b32 v1, v40
	s_getpc_b64 s[0:1]
	s_add_u32 s0, s0, _ZN12_GLOBAL__N_111calc_igammaIfEET_S1_S1_@rel32@lo+4
	s_addc_u32 s1, s1, _ZN12_GLOBAL__N_111calc_igammaIfEET_S1_S1_@rel32@hi+12
	s_swappc_b64 s[30:31], s[0:1]
	v_mov_b32_e32 v56, v0
	s_and_not1_b32 vcc_lo, exec_lo, s39
	s_cbranch_vccz .LBB35_6
	s_branch .LBB35_7
.LBB35_5:
                                        ; implicit-def: $vgpr56
.LBB35_6:
	s_delay_alu instid0(VALU_DEP_1) | instskip(SKIP_3) | instid1(SALU_CYCLE_1)
	v_dual_mov_b32 v0, v66 :: v_dual_mov_b32 v1, v40
	s_getpc_b64 s[0:1]
	s_add_u32 s0, s0, _ZN12_GLOBAL__N_112calc_igammacIfEET_S1_S1_@rel32@lo+4
	s_addc_u32 s1, s1, _ZN12_GLOBAL__N_112calc_igammacIfEET_S1_S1_@rel32@hi+12
	s_swappc_b64 s[30:31], s[0:1]
	v_mov_b32_e32 v56, v0
.LBB35_7:
	v_cndmask_b32_e64 v0, 0, 1, s50
	v_lshrrev_b32_e32 v1, 16, v103
	s_and_not1_b32 vcc_lo, exec_lo, s50
	s_delay_alu instid0(VALU_DEP_2) | instskip(NEXT) | instid1(VALU_DEP_2)
	v_cmp_ne_u32_e64 s39, 1, v0
	v_cvt_f32_f16_e32 v40, v1
	s_cbranch_vccnz .LBB35_9
; %bb.8:
	s_delay_alu instid0(VALU_DEP_1) | instskip(SKIP_3) | instid1(SALU_CYCLE_1)
	v_dual_mov_b32 v0, v67 :: v_dual_mov_b32 v1, v40
	s_getpc_b64 s[0:1]
	s_add_u32 s0, s0, _ZN12_GLOBAL__N_111calc_igammaIfEET_S1_S1_@rel32@lo+4
	s_addc_u32 s1, s1, _ZN12_GLOBAL__N_111calc_igammaIfEET_S1_S1_@rel32@hi+12
	s_swappc_b64 s[30:31], s[0:1]
	v_mov_b32_e32 v57, v0
	s_cbranch_execz .LBB35_10
	s_branch .LBB35_11
.LBB35_9:
.LBB35_10:
	s_delay_alu instid0(VALU_DEP_1) | instskip(SKIP_3) | instid1(SALU_CYCLE_1)
	v_dual_mov_b32 v0, v67 :: v_dual_mov_b32 v1, v40
	s_getpc_b64 s[0:1]
	s_add_u32 s0, s0, _ZN12_GLOBAL__N_112calc_igammacIfEET_S1_S1_@rel32@lo+4
	s_addc_u32 s1, s1, _ZN12_GLOBAL__N_112calc_igammacIfEET_S1_S1_@rel32@hi+12
	s_swappc_b64 s[30:31], s[0:1]
	v_mov_b32_e32 v57, v0
.LBB35_11:
	v_cvt_f32_f16_e32 v40, v104
	s_and_b32 vcc_lo, exec_lo, s39
	s_cbranch_vccnz .LBB35_13
; %bb.12:
	v_mov_b32_e32 v0, v68
	s_delay_alu instid0(VALU_DEP_2) | instskip(SKIP_3) | instid1(SALU_CYCLE_1)
	v_mov_b32_e32 v1, v40
	s_getpc_b64 s[0:1]
	s_add_u32 s0, s0, _ZN12_GLOBAL__N_111calc_igammaIfEET_S1_S1_@rel32@lo+4
	s_addc_u32 s1, s1, _ZN12_GLOBAL__N_111calc_igammaIfEET_S1_S1_@rel32@hi+12
	s_swappc_b64 s[30:31], s[0:1]
	v_mov_b32_e32 v58, v0
	s_cbranch_execz .LBB35_14
	s_branch .LBB35_15
.LBB35_13:
.LBB35_14:
	v_mov_b32_e32 v0, v68
	s_delay_alu instid0(VALU_DEP_2) | instskip(SKIP_3) | instid1(SALU_CYCLE_1)
	v_mov_b32_e32 v1, v40
	s_getpc_b64 s[0:1]
	s_add_u32 s0, s0, _ZN12_GLOBAL__N_112calc_igammacIfEET_S1_S1_@rel32@lo+4
	s_addc_u32 s1, s1, _ZN12_GLOBAL__N_112calc_igammacIfEET_S1_S1_@rel32@hi+12
	s_swappc_b64 s[30:31], s[0:1]
	v_mov_b32_e32 v58, v0
.LBB35_15:
	v_lshrrev_b32_e32 v0, 16, v104
	s_and_b32 vcc_lo, exec_lo, s39
	s_delay_alu instid0(VALU_DEP_1)
	v_cvt_f32_f16_e32 v40, v0
	s_cbranch_vccnz .LBB35_17
; %bb.16:
	s_delay_alu instid0(VALU_DEP_1) | instskip(SKIP_3) | instid1(SALU_CYCLE_1)
	v_dual_mov_b32 v0, v69 :: v_dual_mov_b32 v1, v40
	s_getpc_b64 s[0:1]
	s_add_u32 s0, s0, _ZN12_GLOBAL__N_111calc_igammaIfEET_S1_S1_@rel32@lo+4
	s_addc_u32 s1, s1, _ZN12_GLOBAL__N_111calc_igammaIfEET_S1_S1_@rel32@hi+12
	s_swappc_b64 s[30:31], s[0:1]
	v_mov_b32_e32 v59, v0
	s_cbranch_execz .LBB35_18
	s_branch .LBB35_19
.LBB35_17:
.LBB35_18:
	s_delay_alu instid0(VALU_DEP_1) | instskip(SKIP_3) | instid1(SALU_CYCLE_1)
	v_dual_mov_b32 v0, v69 :: v_dual_mov_b32 v1, v40
	s_getpc_b64 s[0:1]
	s_add_u32 s0, s0, _ZN12_GLOBAL__N_112calc_igammacIfEET_S1_S1_@rel32@lo+4
	s_addc_u32 s1, s1, _ZN12_GLOBAL__N_112calc_igammacIfEET_S1_S1_@rel32@hi+12
	s_swappc_b64 s[30:31], s[0:1]
	v_mov_b32_e32 v59, v0
.LBB35_19:
	v_cvt_f32_f16_e32 v40, v105
	s_and_b32 vcc_lo, exec_lo, s39
	s_cbranch_vccnz .LBB35_21
; %bb.20:
	s_delay_alu instid0(VALU_DEP_1) | instskip(SKIP_3) | instid1(SALU_CYCLE_1)
	v_dual_mov_b32 v0, v74 :: v_dual_mov_b32 v1, v40
	s_getpc_b64 s[0:1]
	s_add_u32 s0, s0, _ZN12_GLOBAL__N_111calc_igammaIfEET_S1_S1_@rel32@lo+4
	s_addc_u32 s1, s1, _ZN12_GLOBAL__N_111calc_igammaIfEET_S1_S1_@rel32@hi+12
	s_swappc_b64 s[30:31], s[0:1]
	v_mov_b32_e32 v66, v0
	s_cbranch_execz .LBB35_22
	s_branch .LBB35_23
.LBB35_21:
                                        ; implicit-def: $vgpr66
.LBB35_22:
	s_delay_alu instid0(VALU_DEP_1) | instskip(SKIP_3) | instid1(SALU_CYCLE_1)
	v_dual_mov_b32 v0, v74 :: v_dual_mov_b32 v1, v40
	s_getpc_b64 s[0:1]
	s_add_u32 s0, s0, _ZN12_GLOBAL__N_112calc_igammacIfEET_S1_S1_@rel32@lo+4
	s_addc_u32 s1, s1, _ZN12_GLOBAL__N_112calc_igammacIfEET_S1_S1_@rel32@hi+12
	s_swappc_b64 s[30:31], s[0:1]
	v_mov_b32_e32 v66, v0
.LBB35_23:
	v_lshrrev_b32_e32 v0, 16, v105
	s_and_b32 vcc_lo, exec_lo, s39
	s_delay_alu instid0(VALU_DEP_1)
	v_cvt_f32_f16_e32 v40, v0
	s_cbranch_vccnz .LBB35_25
; %bb.24:
	s_delay_alu instid0(VALU_DEP_1) | instskip(SKIP_3) | instid1(SALU_CYCLE_1)
	v_dual_mov_b32 v0, v75 :: v_dual_mov_b32 v1, v40
	s_getpc_b64 s[0:1]
	s_add_u32 s0, s0, _ZN12_GLOBAL__N_111calc_igammaIfEET_S1_S1_@rel32@lo+4
	s_addc_u32 s1, s1, _ZN12_GLOBAL__N_111calc_igammaIfEET_S1_S1_@rel32@hi+12
	s_swappc_b64 s[30:31], s[0:1]
	v_mov_b32_e32 v67, v0
	s_cbranch_execz .LBB35_26
	s_branch .LBB35_27
.LBB35_25:
.LBB35_26:
	s_delay_alu instid0(VALU_DEP_1) | instskip(SKIP_3) | instid1(SALU_CYCLE_1)
	v_dual_mov_b32 v0, v75 :: v_dual_mov_b32 v1, v40
	s_getpc_b64 s[0:1]
	s_add_u32 s0, s0, _ZN12_GLOBAL__N_112calc_igammacIfEET_S1_S1_@rel32@lo+4
	s_addc_u32 s1, s1, _ZN12_GLOBAL__N_112calc_igammacIfEET_S1_S1_@rel32@hi+12
	s_swappc_b64 s[30:31], s[0:1]
	v_mov_b32_e32 v67, v0
.LBB35_27:
	v_cvt_f32_f16_e32 v40, v106
	s_and_b32 vcc_lo, exec_lo, s39
	s_cbranch_vccnz .LBB35_29
; %bb.28:
	v_mov_b32_e32 v0, v76
	s_delay_alu instid0(VALU_DEP_2) | instskip(SKIP_3) | instid1(SALU_CYCLE_1)
	v_mov_b32_e32 v1, v40
	s_getpc_b64 s[0:1]
	s_add_u32 s0, s0, _ZN12_GLOBAL__N_111calc_igammaIfEET_S1_S1_@rel32@lo+4
	s_addc_u32 s1, s1, _ZN12_GLOBAL__N_111calc_igammaIfEET_S1_S1_@rel32@hi+12
	s_swappc_b64 s[30:31], s[0:1]
	v_mov_b32_e32 v68, v0
	s_cbranch_execz .LBB35_30
	s_branch .LBB35_31
.LBB35_29:
.LBB35_30:
	v_mov_b32_e32 v0, v76
	s_delay_alu instid0(VALU_DEP_2) | instskip(SKIP_3) | instid1(SALU_CYCLE_1)
	v_mov_b32_e32 v1, v40
	s_getpc_b64 s[0:1]
	s_add_u32 s0, s0, _ZN12_GLOBAL__N_112calc_igammacIfEET_S1_S1_@rel32@lo+4
	s_addc_u32 s1, s1, _ZN12_GLOBAL__N_112calc_igammacIfEET_S1_S1_@rel32@hi+12
	s_swappc_b64 s[30:31], s[0:1]
	v_mov_b32_e32 v68, v0
.LBB35_31:
	v_lshrrev_b32_e32 v0, 16, v106
	s_and_b32 vcc_lo, exec_lo, s39
	s_delay_alu instid0(VALU_DEP_1)
	v_cvt_f32_f16_e32 v40, v0
	s_cbranch_vccnz .LBB35_33
; %bb.32:
	s_delay_alu instid0(VALU_DEP_1) | instskip(SKIP_3) | instid1(SALU_CYCLE_1)
	v_dual_mov_b32 v0, v77 :: v_dual_mov_b32 v1, v40
	s_getpc_b64 s[0:1]
	s_add_u32 s0, s0, _ZN12_GLOBAL__N_111calc_igammaIfEET_S1_S1_@rel32@lo+4
	s_addc_u32 s1, s1, _ZN12_GLOBAL__N_111calc_igammaIfEET_S1_S1_@rel32@hi+12
	s_swappc_b64 s[30:31], s[0:1]
	v_mov_b32_e32 v69, v0
	s_cbranch_execz .LBB35_34
	s_branch .LBB35_35
.LBB35_33:
.LBB35_34:
	s_delay_alu instid0(VALU_DEP_1) | instskip(SKIP_3) | instid1(SALU_CYCLE_1)
	v_dual_mov_b32 v0, v77 :: v_dual_mov_b32 v1, v40
	s_getpc_b64 s[0:1]
	s_add_u32 s0, s0, _ZN12_GLOBAL__N_112calc_igammacIfEET_S1_S1_@rel32@lo+4
	s_addc_u32 s1, s1, _ZN12_GLOBAL__N_112calc_igammacIfEET_S1_S1_@rel32@hi+12
	s_swappc_b64 s[30:31], s[0:1]
	v_mov_b32_e32 v69, v0
.LBB35_35:
	s_waitcnt vmcnt(2)
	v_cvt_f32_f16_e32 v40, v99
	s_and_b32 vcc_lo, exec_lo, s39
	s_cbranch_vccnz .LBB35_37
; %bb.36:
	s_delay_alu instid0(VALU_DEP_1) | instskip(SKIP_3) | instid1(SALU_CYCLE_1)
	v_dual_mov_b32 v0, v87 :: v_dual_mov_b32 v1, v40
	s_getpc_b64 s[0:1]
	s_add_u32 s0, s0, _ZN12_GLOBAL__N_111calc_igammaIfEET_S1_S1_@rel32@lo+4
	s_addc_u32 s1, s1, _ZN12_GLOBAL__N_111calc_igammaIfEET_S1_S1_@rel32@hi+12
	s_swappc_b64 s[30:31], s[0:1]
	v_mov_b32_e32 v74, v0
	s_cbranch_execz .LBB35_38
	s_branch .LBB35_39
.LBB35_37:
                                        ; implicit-def: $vgpr74
.LBB35_38:
	s_delay_alu instid0(VALU_DEP_1) | instskip(SKIP_3) | instid1(SALU_CYCLE_1)
	v_dual_mov_b32 v0, v87 :: v_dual_mov_b32 v1, v40
	s_getpc_b64 s[0:1]
	s_add_u32 s0, s0, _ZN12_GLOBAL__N_112calc_igammacIfEET_S1_S1_@rel32@lo+4
	s_addc_u32 s1, s1, _ZN12_GLOBAL__N_112calc_igammacIfEET_S1_S1_@rel32@hi+12
	s_swappc_b64 s[30:31], s[0:1]
	v_mov_b32_e32 v74, v0
.LBB35_39:
	v_lshrrev_b32_e32 v0, 16, v99
	s_and_b32 vcc_lo, exec_lo, s39
	s_delay_alu instid0(VALU_DEP_1)
	v_cvt_f32_f16_e32 v40, v0
	s_cbranch_vccnz .LBB35_41
; %bb.40:
	v_mov_b32_e32 v0, v88
	s_delay_alu instid0(VALU_DEP_2) | instskip(SKIP_3) | instid1(SALU_CYCLE_1)
	v_mov_b32_e32 v1, v40
	s_getpc_b64 s[0:1]
	s_add_u32 s0, s0, _ZN12_GLOBAL__N_111calc_igammaIfEET_S1_S1_@rel32@lo+4
	s_addc_u32 s1, s1, _ZN12_GLOBAL__N_111calc_igammaIfEET_S1_S1_@rel32@hi+12
	s_swappc_b64 s[30:31], s[0:1]
	v_mov_b32_e32 v75, v0
	s_cbranch_execz .LBB35_42
	s_branch .LBB35_43
.LBB35_41:
.LBB35_42:
	v_mov_b32_e32 v0, v88
	s_delay_alu instid0(VALU_DEP_2) | instskip(SKIP_3) | instid1(SALU_CYCLE_1)
	v_mov_b32_e32 v1, v40
	s_getpc_b64 s[0:1]
	s_add_u32 s0, s0, _ZN12_GLOBAL__N_112calc_igammacIfEET_S1_S1_@rel32@lo+4
	s_addc_u32 s1, s1, _ZN12_GLOBAL__N_112calc_igammacIfEET_S1_S1_@rel32@hi+12
	s_swappc_b64 s[30:31], s[0:1]
	v_mov_b32_e32 v75, v0
.LBB35_43:
	v_cvt_f32_f16_e32 v40, v100
	s_and_b32 vcc_lo, exec_lo, s39
	s_cbranch_vccnz .LBB35_45
; %bb.44:
	s_delay_alu instid0(VALU_DEP_1) | instskip(SKIP_3) | instid1(SALU_CYCLE_1)
	v_dual_mov_b32 v0, v89 :: v_dual_mov_b32 v1, v40
	s_getpc_b64 s[0:1]
	s_add_u32 s0, s0, _ZN12_GLOBAL__N_111calc_igammaIfEET_S1_S1_@rel32@lo+4
	s_addc_u32 s1, s1, _ZN12_GLOBAL__N_111calc_igammaIfEET_S1_S1_@rel32@hi+12
	s_swappc_b64 s[30:31], s[0:1]
	v_mov_b32_e32 v76, v0
	s_cbranch_execz .LBB35_46
	s_branch .LBB35_47
.LBB35_45:
.LBB35_46:
	s_delay_alu instid0(VALU_DEP_1) | instskip(SKIP_3) | instid1(SALU_CYCLE_1)
	v_dual_mov_b32 v0, v89 :: v_dual_mov_b32 v1, v40
	s_getpc_b64 s[0:1]
	s_add_u32 s0, s0, _ZN12_GLOBAL__N_112calc_igammacIfEET_S1_S1_@rel32@lo+4
	s_addc_u32 s1, s1, _ZN12_GLOBAL__N_112calc_igammacIfEET_S1_S1_@rel32@hi+12
	s_swappc_b64 s[30:31], s[0:1]
	v_mov_b32_e32 v76, v0
.LBB35_47:
	v_lshrrev_b32_e32 v0, 16, v100
	s_and_b32 vcc_lo, exec_lo, s39
	s_delay_alu instid0(VALU_DEP_1)
	v_cvt_f32_f16_e32 v40, v0
	s_cbranch_vccnz .LBB35_49
; %bb.48:
	s_delay_alu instid0(VALU_DEP_1) | instskip(SKIP_3) | instid1(SALU_CYCLE_1)
	v_dual_mov_b32 v0, v90 :: v_dual_mov_b32 v1, v40
	s_getpc_b64 s[0:1]
	s_add_u32 s0, s0, _ZN12_GLOBAL__N_111calc_igammaIfEET_S1_S1_@rel32@lo+4
	s_addc_u32 s1, s1, _ZN12_GLOBAL__N_111calc_igammaIfEET_S1_S1_@rel32@hi+12
	s_swappc_b64 s[30:31], s[0:1]
	v_mov_b32_e32 v77, v0
	s_cbranch_execz .LBB35_50
	s_branch .LBB35_51
.LBB35_49:
.LBB35_50:
	s_delay_alu instid0(VALU_DEP_1) | instskip(SKIP_3) | instid1(SALU_CYCLE_1)
	v_dual_mov_b32 v0, v90 :: v_dual_mov_b32 v1, v40
	s_getpc_b64 s[0:1]
	s_add_u32 s0, s0, _ZN12_GLOBAL__N_112calc_igammacIfEET_S1_S1_@rel32@lo+4
	s_addc_u32 s1, s1, _ZN12_GLOBAL__N_112calc_igammacIfEET_S1_S1_@rel32@hi+12
	s_swappc_b64 s[30:31], s[0:1]
	v_mov_b32_e32 v77, v0
.LBB35_51:
	v_cvt_f32_f16_e32 v40, v101
	s_and_b32 vcc_lo, exec_lo, s39
	s_cbranch_vccnz .LBB35_53
; %bb.52:
	s_delay_alu instid0(VALU_DEP_1) | instskip(SKIP_3) | instid1(SALU_CYCLE_1)
	v_dual_mov_b32 v0, v83 :: v_dual_mov_b32 v1, v40
	s_getpc_b64 s[0:1]
	s_add_u32 s0, s0, _ZN12_GLOBAL__N_111calc_igammaIfEET_S1_S1_@rel32@lo+4
	s_addc_u32 s1, s1, _ZN12_GLOBAL__N_111calc_igammaIfEET_S1_S1_@rel32@hi+12
	s_swappc_b64 s[30:31], s[0:1]
	v_mov_b32_e32 v82, v0
	s_cbranch_execz .LBB35_54
	s_branch .LBB35_55
.LBB35_53:
                                        ; implicit-def: $vgpr82
.LBB35_54:
	s_delay_alu instid0(VALU_DEP_1) | instskip(SKIP_3) | instid1(SALU_CYCLE_1)
	v_dual_mov_b32 v0, v83 :: v_dual_mov_b32 v1, v40
	s_getpc_b64 s[0:1]
	s_add_u32 s0, s0, _ZN12_GLOBAL__N_112calc_igammacIfEET_S1_S1_@rel32@lo+4
	s_addc_u32 s1, s1, _ZN12_GLOBAL__N_112calc_igammacIfEET_S1_S1_@rel32@hi+12
	s_swappc_b64 s[30:31], s[0:1]
	v_mov_b32_e32 v82, v0
.LBB35_55:
	v_lshrrev_b32_e32 v0, 16, v101
	s_and_b32 vcc_lo, exec_lo, s39
	s_delay_alu instid0(VALU_DEP_1)
	v_cvt_f32_f16_e32 v40, v0
	s_cbranch_vccnz .LBB35_57
; %bb.56:
	v_mov_b32_e32 v0, v84
	s_delay_alu instid0(VALU_DEP_2) | instskip(SKIP_3) | instid1(SALU_CYCLE_1)
	v_mov_b32_e32 v1, v40
	s_getpc_b64 s[0:1]
	s_add_u32 s0, s0, _ZN12_GLOBAL__N_111calc_igammaIfEET_S1_S1_@rel32@lo+4
	s_addc_u32 s1, s1, _ZN12_GLOBAL__N_111calc_igammaIfEET_S1_S1_@rel32@hi+12
	s_swappc_b64 s[30:31], s[0:1]
	v_mov_b32_e32 v83, v0
	s_cbranch_execz .LBB35_58
	s_branch .LBB35_59
.LBB35_57:
.LBB35_58:
	v_mov_b32_e32 v0, v84
	s_delay_alu instid0(VALU_DEP_2) | instskip(SKIP_3) | instid1(SALU_CYCLE_1)
	v_mov_b32_e32 v1, v40
	s_getpc_b64 s[0:1]
	s_add_u32 s0, s0, _ZN12_GLOBAL__N_112calc_igammacIfEET_S1_S1_@rel32@lo+4
	s_addc_u32 s1, s1, _ZN12_GLOBAL__N_112calc_igammacIfEET_S1_S1_@rel32@hi+12
	s_swappc_b64 s[30:31], s[0:1]
	v_mov_b32_e32 v83, v0
.LBB35_59:
	v_cvt_f32_f16_e32 v40, v102
	s_and_b32 vcc_lo, exec_lo, s39
	s_cbranch_vccnz .LBB35_61
; %bb.60:
	s_delay_alu instid0(VALU_DEP_1) | instskip(SKIP_3) | instid1(SALU_CYCLE_1)
	v_dual_mov_b32 v0, v85 :: v_dual_mov_b32 v1, v40
	s_getpc_b64 s[0:1]
	s_add_u32 s0, s0, _ZN12_GLOBAL__N_111calc_igammaIfEET_S1_S1_@rel32@lo+4
	s_addc_u32 s1, s1, _ZN12_GLOBAL__N_111calc_igammaIfEET_S1_S1_@rel32@hi+12
	s_swappc_b64 s[30:31], s[0:1]
	v_mov_b32_e32 v84, v0
	s_cbranch_execz .LBB35_62
	s_branch .LBB35_63
.LBB35_61:
.LBB35_62:
	s_delay_alu instid0(VALU_DEP_1) | instskip(SKIP_3) | instid1(SALU_CYCLE_1)
	v_dual_mov_b32 v0, v85 :: v_dual_mov_b32 v1, v40
	s_getpc_b64 s[0:1]
	s_add_u32 s0, s0, _ZN12_GLOBAL__N_112calc_igammacIfEET_S1_S1_@rel32@lo+4
	s_addc_u32 s1, s1, _ZN12_GLOBAL__N_112calc_igammacIfEET_S1_S1_@rel32@hi+12
	s_swappc_b64 s[30:31], s[0:1]
	v_mov_b32_e32 v84, v0
.LBB35_63:
	v_lshrrev_b32_e32 v0, 16, v102
	s_and_b32 vcc_lo, exec_lo, s39
	s_delay_alu instid0(VALU_DEP_1)
	v_cvt_f32_f16_e32 v40, v0
	s_cbranch_vccnz .LBB35_65
; %bb.64:
	s_delay_alu instid0(VALU_DEP_1) | instskip(SKIP_3) | instid1(SALU_CYCLE_1)
	v_dual_mov_b32 v0, v86 :: v_dual_mov_b32 v1, v40
	s_getpc_b64 s[0:1]
	s_add_u32 s0, s0, _ZN12_GLOBAL__N_111calc_igammaIfEET_S1_S1_@rel32@lo+4
	s_addc_u32 s1, s1, _ZN12_GLOBAL__N_111calc_igammaIfEET_S1_S1_@rel32@hi+12
	s_swappc_b64 s[30:31], s[0:1]
	v_mov_b32_e32 v85, v0
	s_cbranch_execz .LBB35_66
	s_branch .LBB35_67
.LBB35_65:
.LBB35_66:
	s_delay_alu instid0(VALU_DEP_1) | instskip(SKIP_3) | instid1(SALU_CYCLE_1)
	v_dual_mov_b32 v0, v86 :: v_dual_mov_b32 v1, v40
	s_getpc_b64 s[0:1]
	s_add_u32 s0, s0, _ZN12_GLOBAL__N_112calc_igammacIfEET_S1_S1_@rel32@lo+4
	s_addc_u32 s1, s1, _ZN12_GLOBAL__N_112calc_igammacIfEET_S1_S1_@rel32@hi+12
	s_swappc_b64 s[30:31], s[0:1]
	v_mov_b32_e32 v85, v0
.LBB35_67:
	s_waitcnt vmcnt(1)
	v_cvt_f32_f16_e32 v40, v95
	s_and_b32 vcc_lo, exec_lo, s39
	s_cbranch_vccnz .LBB35_69
; %bb.68:
	s_delay_alu instid0(VALU_DEP_1) | instskip(SKIP_3) | instid1(SALU_CYCLE_1)
	v_dual_mov_b32 v0, v78 :: v_dual_mov_b32 v1, v40
	s_getpc_b64 s[0:1]
	s_add_u32 s0, s0, _ZN12_GLOBAL__N_111calc_igammaIfEET_S1_S1_@rel32@lo+4
	s_addc_u32 s1, s1, _ZN12_GLOBAL__N_111calc_igammaIfEET_S1_S1_@rel32@hi+12
	s_swappc_b64 s[30:31], s[0:1]
	v_mov_b32_e32 v86, v0
	s_cbranch_execz .LBB35_70
	s_branch .LBB35_71
.LBB35_69:
                                        ; implicit-def: $vgpr86
.LBB35_70:
	s_delay_alu instid0(VALU_DEP_1) | instskip(SKIP_3) | instid1(SALU_CYCLE_1)
	v_dual_mov_b32 v0, v78 :: v_dual_mov_b32 v1, v40
	s_getpc_b64 s[0:1]
	s_add_u32 s0, s0, _ZN12_GLOBAL__N_112calc_igammacIfEET_S1_S1_@rel32@lo+4
	s_addc_u32 s1, s1, _ZN12_GLOBAL__N_112calc_igammacIfEET_S1_S1_@rel32@hi+12
	s_swappc_b64 s[30:31], s[0:1]
	v_mov_b32_e32 v86, v0
.LBB35_71:
	v_lshrrev_b32_e32 v0, 16, v95
	s_and_b32 vcc_lo, exec_lo, s39
	s_delay_alu instid0(VALU_DEP_1)
	v_cvt_f32_f16_e32 v40, v0
	s_cbranch_vccnz .LBB35_73
; %bb.72:
	s_delay_alu instid0(VALU_DEP_1) | instskip(SKIP_3) | instid1(SALU_CYCLE_1)
	v_dual_mov_b32 v0, v79 :: v_dual_mov_b32 v1, v40
	s_getpc_b64 s[0:1]
	s_add_u32 s0, s0, _ZN12_GLOBAL__N_111calc_igammaIfEET_S1_S1_@rel32@lo+4
	s_addc_u32 s1, s1, _ZN12_GLOBAL__N_111calc_igammaIfEET_S1_S1_@rel32@hi+12
	s_swappc_b64 s[30:31], s[0:1]
	v_mov_b32_e32 v87, v0
	s_cbranch_execz .LBB35_74
	s_branch .LBB35_75
.LBB35_73:
.LBB35_74:
	s_delay_alu instid0(VALU_DEP_1) | instskip(SKIP_3) | instid1(SALU_CYCLE_1)
	v_dual_mov_b32 v0, v79 :: v_dual_mov_b32 v1, v40
	s_getpc_b64 s[0:1]
	s_add_u32 s0, s0, _ZN12_GLOBAL__N_112calc_igammacIfEET_S1_S1_@rel32@lo+4
	s_addc_u32 s1, s1, _ZN12_GLOBAL__N_112calc_igammacIfEET_S1_S1_@rel32@hi+12
	s_swappc_b64 s[30:31], s[0:1]
	v_mov_b32_e32 v87, v0
.LBB35_75:
	v_cvt_f32_f16_e32 v40, v96
	s_and_b32 vcc_lo, exec_lo, s39
	s_cbranch_vccnz .LBB35_77
; %bb.76:
	v_mov_b32_e32 v0, v80
	s_delay_alu instid0(VALU_DEP_2) | instskip(SKIP_3) | instid1(SALU_CYCLE_1)
	v_mov_b32_e32 v1, v40
	s_getpc_b64 s[0:1]
	s_add_u32 s0, s0, _ZN12_GLOBAL__N_111calc_igammaIfEET_S1_S1_@rel32@lo+4
	s_addc_u32 s1, s1, _ZN12_GLOBAL__N_111calc_igammaIfEET_S1_S1_@rel32@hi+12
	s_swappc_b64 s[30:31], s[0:1]
	v_mov_b32_e32 v88, v0
	s_cbranch_execz .LBB35_78
	s_branch .LBB35_79
.LBB35_77:
.LBB35_78:
	v_mov_b32_e32 v0, v80
	s_delay_alu instid0(VALU_DEP_2) | instskip(SKIP_3) | instid1(SALU_CYCLE_1)
	v_mov_b32_e32 v1, v40
	s_getpc_b64 s[0:1]
	s_add_u32 s0, s0, _ZN12_GLOBAL__N_112calc_igammacIfEET_S1_S1_@rel32@lo+4
	s_addc_u32 s1, s1, _ZN12_GLOBAL__N_112calc_igammacIfEET_S1_S1_@rel32@hi+12
	s_swappc_b64 s[30:31], s[0:1]
	v_mov_b32_e32 v88, v0
.LBB35_79:
	v_lshrrev_b32_e32 v0, 16, v96
	s_and_b32 vcc_lo, exec_lo, s39
	s_delay_alu instid0(VALU_DEP_1)
	v_cvt_f32_f16_e32 v40, v0
	s_cbranch_vccnz .LBB35_81
; %bb.80:
	s_delay_alu instid0(VALU_DEP_1) | instskip(SKIP_3) | instid1(SALU_CYCLE_1)
	v_dual_mov_b32 v0, v81 :: v_dual_mov_b32 v1, v40
	s_getpc_b64 s[0:1]
	s_add_u32 s0, s0, _ZN12_GLOBAL__N_111calc_igammaIfEET_S1_S1_@rel32@lo+4
	s_addc_u32 s1, s1, _ZN12_GLOBAL__N_111calc_igammaIfEET_S1_S1_@rel32@hi+12
	s_swappc_b64 s[30:31], s[0:1]
	v_mov_b32_e32 v89, v0
	s_cbranch_execz .LBB35_82
	s_branch .LBB35_83
.LBB35_81:
.LBB35_82:
	s_delay_alu instid0(VALU_DEP_1) | instskip(SKIP_3) | instid1(SALU_CYCLE_1)
	v_dual_mov_b32 v0, v81 :: v_dual_mov_b32 v1, v40
	s_getpc_b64 s[0:1]
	s_add_u32 s0, s0, _ZN12_GLOBAL__N_112calc_igammacIfEET_S1_S1_@rel32@lo+4
	s_addc_u32 s1, s1, _ZN12_GLOBAL__N_112calc_igammacIfEET_S1_S1_@rel32@hi+12
	s_swappc_b64 s[30:31], s[0:1]
	v_mov_b32_e32 v89, v0
.LBB35_83:
	v_cvt_f32_f16_e32 v40, v97
	s_and_b32 vcc_lo, exec_lo, s39
	s_cbranch_vccnz .LBB35_85
; %bb.84:
	s_delay_alu instid0(VALU_DEP_1) | instskip(SKIP_3) | instid1(SALU_CYCLE_1)
	v_dual_mov_b32 v0, v70 :: v_dual_mov_b32 v1, v40
	s_getpc_b64 s[0:1]
	s_add_u32 s0, s0, _ZN12_GLOBAL__N_111calc_igammaIfEET_S1_S1_@rel32@lo+4
	s_addc_u32 s1, s1, _ZN12_GLOBAL__N_111calc_igammaIfEET_S1_S1_@rel32@hi+12
	s_swappc_b64 s[30:31], s[0:1]
	v_mov_b32_e32 v78, v0
	s_cbranch_execz .LBB35_86
	s_branch .LBB35_87
.LBB35_85:
                                        ; implicit-def: $vgpr78
.LBB35_86:
	s_delay_alu instid0(VALU_DEP_1) | instskip(SKIP_3) | instid1(SALU_CYCLE_1)
	v_dual_mov_b32 v0, v70 :: v_dual_mov_b32 v1, v40
	s_getpc_b64 s[0:1]
	s_add_u32 s0, s0, _ZN12_GLOBAL__N_112calc_igammacIfEET_S1_S1_@rel32@lo+4
	s_addc_u32 s1, s1, _ZN12_GLOBAL__N_112calc_igammacIfEET_S1_S1_@rel32@hi+12
	s_swappc_b64 s[30:31], s[0:1]
	v_mov_b32_e32 v78, v0
.LBB35_87:
	v_lshrrev_b32_e32 v0, 16, v97
	s_and_b32 vcc_lo, exec_lo, s39
	s_delay_alu instid0(VALU_DEP_1)
	v_cvt_f32_f16_e32 v40, v0
	s_cbranch_vccnz .LBB35_89
; %bb.88:
	s_delay_alu instid0(VALU_DEP_1) | instskip(SKIP_3) | instid1(SALU_CYCLE_1)
	v_dual_mov_b32 v0, v71 :: v_dual_mov_b32 v1, v40
	s_getpc_b64 s[0:1]
	s_add_u32 s0, s0, _ZN12_GLOBAL__N_111calc_igammaIfEET_S1_S1_@rel32@lo+4
	s_addc_u32 s1, s1, _ZN12_GLOBAL__N_111calc_igammaIfEET_S1_S1_@rel32@hi+12
	s_swappc_b64 s[30:31], s[0:1]
	v_mov_b32_e32 v79, v0
	s_cbranch_execz .LBB35_90
	s_branch .LBB35_91
.LBB35_89:
.LBB35_90:
	s_delay_alu instid0(VALU_DEP_1) | instskip(SKIP_3) | instid1(SALU_CYCLE_1)
	v_dual_mov_b32 v0, v71 :: v_dual_mov_b32 v1, v40
	s_getpc_b64 s[0:1]
	s_add_u32 s0, s0, _ZN12_GLOBAL__N_112calc_igammacIfEET_S1_S1_@rel32@lo+4
	s_addc_u32 s1, s1, _ZN12_GLOBAL__N_112calc_igammacIfEET_S1_S1_@rel32@hi+12
	s_swappc_b64 s[30:31], s[0:1]
	v_mov_b32_e32 v79, v0
.LBB35_91:
	v_cvt_f32_f16_e32 v40, v98
	s_and_b32 vcc_lo, exec_lo, s39
	s_cbranch_vccnz .LBB35_93
; %bb.92:
	v_mov_b32_e32 v0, v72
	s_delay_alu instid0(VALU_DEP_2) | instskip(SKIP_3) | instid1(SALU_CYCLE_1)
	v_mov_b32_e32 v1, v40
	s_getpc_b64 s[0:1]
	s_add_u32 s0, s0, _ZN12_GLOBAL__N_111calc_igammaIfEET_S1_S1_@rel32@lo+4
	s_addc_u32 s1, s1, _ZN12_GLOBAL__N_111calc_igammaIfEET_S1_S1_@rel32@hi+12
	s_swappc_b64 s[30:31], s[0:1]
	v_mov_b32_e32 v80, v0
	s_cbranch_execz .LBB35_94
	s_branch .LBB35_95
.LBB35_93:
.LBB35_94:
	v_mov_b32_e32 v0, v72
	s_delay_alu instid0(VALU_DEP_2) | instskip(SKIP_3) | instid1(SALU_CYCLE_1)
	v_mov_b32_e32 v1, v40
	s_getpc_b64 s[0:1]
	s_add_u32 s0, s0, _ZN12_GLOBAL__N_112calc_igammacIfEET_S1_S1_@rel32@lo+4
	s_addc_u32 s1, s1, _ZN12_GLOBAL__N_112calc_igammacIfEET_S1_S1_@rel32@hi+12
	s_swappc_b64 s[30:31], s[0:1]
	v_mov_b32_e32 v80, v0
.LBB35_95:
	v_lshrrev_b32_e32 v0, 16, v98
	s_and_b32 vcc_lo, exec_lo, s39
	s_delay_alu instid0(VALU_DEP_1)
	v_cvt_f32_f16_e32 v40, v0
	s_cbranch_vccnz .LBB35_97
; %bb.96:
	s_delay_alu instid0(VALU_DEP_1) | instskip(SKIP_3) | instid1(SALU_CYCLE_1)
	v_dual_mov_b32 v0, v73 :: v_dual_mov_b32 v1, v40
	s_getpc_b64 s[0:1]
	s_add_u32 s0, s0, _ZN12_GLOBAL__N_111calc_igammaIfEET_S1_S1_@rel32@lo+4
	s_addc_u32 s1, s1, _ZN12_GLOBAL__N_111calc_igammaIfEET_S1_S1_@rel32@hi+12
	s_swappc_b64 s[30:31], s[0:1]
	v_mov_b32_e32 v81, v0
	s_cbranch_execz .LBB35_98
	s_branch .LBB35_99
.LBB35_97:
.LBB35_98:
	s_delay_alu instid0(VALU_DEP_1) | instskip(SKIP_3) | instid1(SALU_CYCLE_1)
	v_dual_mov_b32 v0, v73 :: v_dual_mov_b32 v1, v40
	s_getpc_b64 s[0:1]
	s_add_u32 s0, s0, _ZN12_GLOBAL__N_112calc_igammacIfEET_S1_S1_@rel32@lo+4
	s_addc_u32 s1, s1, _ZN12_GLOBAL__N_112calc_igammacIfEET_S1_S1_@rel32@hi+12
	s_swappc_b64 s[30:31], s[0:1]
	v_mov_b32_e32 v81, v0
.LBB35_99:
	s_waitcnt vmcnt(0)
	v_cvt_f32_f16_e32 v40, v91
	s_and_b32 vcc_lo, exec_lo, s39
	s_cbranch_vccnz .LBB35_101
; %bb.100:
	v_mov_b32_e32 v0, v60
	s_delay_alu instid0(VALU_DEP_2) | instskip(SKIP_3) | instid1(SALU_CYCLE_1)
	v_mov_b32_e32 v1, v40
	s_getpc_b64 s[0:1]
	s_add_u32 s0, s0, _ZN12_GLOBAL__N_111calc_igammaIfEET_S1_S1_@rel32@lo+4
	s_addc_u32 s1, s1, _ZN12_GLOBAL__N_111calc_igammaIfEET_S1_S1_@rel32@hi+12
	s_swappc_b64 s[30:31], s[0:1]
	v_mov_b32_e32 v70, v0
	s_cbranch_execz .LBB35_102
	s_branch .LBB35_103
.LBB35_101:
                                        ; implicit-def: $vgpr70
.LBB35_102:
	v_mov_b32_e32 v0, v60
	s_delay_alu instid0(VALU_DEP_2) | instskip(SKIP_3) | instid1(SALU_CYCLE_1)
	v_mov_b32_e32 v1, v40
	s_getpc_b64 s[0:1]
	s_add_u32 s0, s0, _ZN12_GLOBAL__N_112calc_igammacIfEET_S1_S1_@rel32@lo+4
	s_addc_u32 s1, s1, _ZN12_GLOBAL__N_112calc_igammacIfEET_S1_S1_@rel32@hi+12
	s_swappc_b64 s[30:31], s[0:1]
	v_mov_b32_e32 v70, v0
.LBB35_103:
	v_lshrrev_b32_e32 v0, 16, v91
	s_and_b32 vcc_lo, exec_lo, s39
	s_delay_alu instid0(VALU_DEP_1)
	v_cvt_f32_f16_e32 v40, v0
	s_cbranch_vccnz .LBB35_105
; %bb.104:
	s_delay_alu instid0(VALU_DEP_1) | instskip(SKIP_3) | instid1(SALU_CYCLE_1)
	v_dual_mov_b32 v0, v61 :: v_dual_mov_b32 v1, v40
	s_getpc_b64 s[0:1]
	s_add_u32 s0, s0, _ZN12_GLOBAL__N_111calc_igammaIfEET_S1_S1_@rel32@lo+4
	s_addc_u32 s1, s1, _ZN12_GLOBAL__N_111calc_igammaIfEET_S1_S1_@rel32@hi+12
	s_swappc_b64 s[30:31], s[0:1]
	v_mov_b32_e32 v71, v0
	s_cbranch_execz .LBB35_106
	s_branch .LBB35_107
.LBB35_105:
.LBB35_106:
	s_delay_alu instid0(VALU_DEP_1) | instskip(SKIP_3) | instid1(SALU_CYCLE_1)
	v_dual_mov_b32 v0, v61 :: v_dual_mov_b32 v1, v40
	s_getpc_b64 s[0:1]
	s_add_u32 s0, s0, _ZN12_GLOBAL__N_112calc_igammacIfEET_S1_S1_@rel32@lo+4
	s_addc_u32 s1, s1, _ZN12_GLOBAL__N_112calc_igammacIfEET_S1_S1_@rel32@hi+12
	s_swappc_b64 s[30:31], s[0:1]
	v_mov_b32_e32 v71, v0
.LBB35_107:
	v_cvt_f32_f16_e32 v40, v92
	s_and_b32 vcc_lo, exec_lo, s39
	s_cbranch_vccnz .LBB35_109
; %bb.108:
	s_delay_alu instid0(VALU_DEP_1) | instskip(SKIP_3) | instid1(SALU_CYCLE_1)
	v_dual_mov_b32 v0, v62 :: v_dual_mov_b32 v1, v40
	s_getpc_b64 s[0:1]
	s_add_u32 s0, s0, _ZN12_GLOBAL__N_111calc_igammaIfEET_S1_S1_@rel32@lo+4
	s_addc_u32 s1, s1, _ZN12_GLOBAL__N_111calc_igammaIfEET_S1_S1_@rel32@hi+12
	s_swappc_b64 s[30:31], s[0:1]
	v_mov_b32_e32 v72, v0
	s_cbranch_execz .LBB35_110
	s_branch .LBB35_111
.LBB35_109:
.LBB35_110:
	s_delay_alu instid0(VALU_DEP_1) | instskip(SKIP_3) | instid1(SALU_CYCLE_1)
	v_dual_mov_b32 v0, v62 :: v_dual_mov_b32 v1, v40
	s_getpc_b64 s[0:1]
	s_add_u32 s0, s0, _ZN12_GLOBAL__N_112calc_igammacIfEET_S1_S1_@rel32@lo+4
	s_addc_u32 s1, s1, _ZN12_GLOBAL__N_112calc_igammacIfEET_S1_S1_@rel32@hi+12
	s_swappc_b64 s[30:31], s[0:1]
	v_mov_b32_e32 v72, v0
.LBB35_111:
	v_lshrrev_b32_e32 v0, 16, v92
	s_and_b32 vcc_lo, exec_lo, s39
	s_delay_alu instid0(VALU_DEP_1)
	v_cvt_f32_f16_e32 v40, v0
	s_cbranch_vccnz .LBB35_113
; %bb.112:
	s_delay_alu instid0(VALU_DEP_1) | instskip(SKIP_3) | instid1(SALU_CYCLE_1)
	v_dual_mov_b32 v0, v63 :: v_dual_mov_b32 v1, v40
	s_getpc_b64 s[0:1]
	s_add_u32 s0, s0, _ZN12_GLOBAL__N_111calc_igammaIfEET_S1_S1_@rel32@lo+4
	s_addc_u32 s1, s1, _ZN12_GLOBAL__N_111calc_igammaIfEET_S1_S1_@rel32@hi+12
	s_swappc_b64 s[30:31], s[0:1]
	v_mov_b32_e32 v73, v0
	s_cbranch_execz .LBB35_114
	s_branch .LBB35_115
.LBB35_113:
.LBB35_114:
	s_delay_alu instid0(VALU_DEP_1) | instskip(SKIP_3) | instid1(SALU_CYCLE_1)
	v_dual_mov_b32 v0, v63 :: v_dual_mov_b32 v1, v40
	s_getpc_b64 s[0:1]
	s_add_u32 s0, s0, _ZN12_GLOBAL__N_112calc_igammacIfEET_S1_S1_@rel32@lo+4
	s_addc_u32 s1, s1, _ZN12_GLOBAL__N_112calc_igammacIfEET_S1_S1_@rel32@hi+12
	s_swappc_b64 s[30:31], s[0:1]
	v_mov_b32_e32 v73, v0
.LBB35_115:
	v_cvt_f32_f16_e32 v40, v93
	s_and_b32 vcc_lo, exec_lo, s39
	s_cbranch_vccnz .LBB35_117
; %bb.116:
	s_delay_alu instid0(VALU_DEP_1) | instskip(SKIP_3) | instid1(SALU_CYCLE_1)
	v_dual_mov_b32 v0, v42 :: v_dual_mov_b32 v1, v40
	s_getpc_b64 s[0:1]
	s_add_u32 s0, s0, _ZN12_GLOBAL__N_111calc_igammaIfEET_S1_S1_@rel32@lo+4
	s_addc_u32 s1, s1, _ZN12_GLOBAL__N_111calc_igammaIfEET_S1_S1_@rel32@hi+12
	s_swappc_b64 s[30:31], s[0:1]
	v_mov_b32_e32 v60, v0
	s_cbranch_execz .LBB35_118
	s_branch .LBB35_119
.LBB35_117:
                                        ; implicit-def: $vgpr60
.LBB35_118:
	s_delay_alu instid0(VALU_DEP_1) | instskip(SKIP_3) | instid1(SALU_CYCLE_1)
	v_dual_mov_b32 v0, v42 :: v_dual_mov_b32 v1, v40
	s_getpc_b64 s[0:1]
	s_add_u32 s0, s0, _ZN12_GLOBAL__N_112calc_igammacIfEET_S1_S1_@rel32@lo+4
	s_addc_u32 s1, s1, _ZN12_GLOBAL__N_112calc_igammacIfEET_S1_S1_@rel32@hi+12
	s_swappc_b64 s[30:31], s[0:1]
	v_mov_b32_e32 v60, v0
.LBB35_119:
	v_lshrrev_b32_e32 v0, 16, v93
	s_and_b32 vcc_lo, exec_lo, s39
	s_delay_alu instid0(VALU_DEP_1)
	v_cvt_f32_f16_e32 v40, v0
	s_cbranch_vccnz .LBB35_121
; %bb.120:
	s_delay_alu instid0(VALU_DEP_1) | instskip(SKIP_3) | instid1(SALU_CYCLE_1)
	v_dual_mov_b32 v0, v43 :: v_dual_mov_b32 v1, v40
	s_getpc_b64 s[0:1]
	s_add_u32 s0, s0, _ZN12_GLOBAL__N_111calc_igammaIfEET_S1_S1_@rel32@lo+4
	s_addc_u32 s1, s1, _ZN12_GLOBAL__N_111calc_igammaIfEET_S1_S1_@rel32@hi+12
	s_swappc_b64 s[30:31], s[0:1]
	v_mov_b32_e32 v61, v0
	s_cbranch_execz .LBB35_122
	s_branch .LBB35_123
.LBB35_121:
.LBB35_122:
	s_delay_alu instid0(VALU_DEP_1) | instskip(SKIP_3) | instid1(SALU_CYCLE_1)
	v_dual_mov_b32 v0, v43 :: v_dual_mov_b32 v1, v40
	s_getpc_b64 s[0:1]
	s_add_u32 s0, s0, _ZN12_GLOBAL__N_112calc_igammacIfEET_S1_S1_@rel32@lo+4
	s_addc_u32 s1, s1, _ZN12_GLOBAL__N_112calc_igammacIfEET_S1_S1_@rel32@hi+12
	s_swappc_b64 s[30:31], s[0:1]
	v_mov_b32_e32 v61, v0
.LBB35_123:
	v_cvt_f32_f16_e32 v40, v94
	s_and_b32 vcc_lo, exec_lo, s39
	s_cbranch_vccnz .LBB35_125
; %bb.124:
	v_mov_b32_e32 v0, v44
	s_delay_alu instid0(VALU_DEP_2) | instskip(SKIP_3) | instid1(SALU_CYCLE_1)
	v_mov_b32_e32 v1, v40
	s_getpc_b64 s[0:1]
	s_add_u32 s0, s0, _ZN12_GLOBAL__N_111calc_igammaIfEET_S1_S1_@rel32@lo+4
	s_addc_u32 s1, s1, _ZN12_GLOBAL__N_111calc_igammaIfEET_S1_S1_@rel32@hi+12
	s_swappc_b64 s[30:31], s[0:1]
	v_mov_b32_e32 v62, v0
	s_cbranch_execz .LBB35_126
	s_branch .LBB35_127
.LBB35_125:
.LBB35_126:
	v_mov_b32_e32 v0, v44
	s_delay_alu instid0(VALU_DEP_2) | instskip(SKIP_3) | instid1(SALU_CYCLE_1)
	v_mov_b32_e32 v1, v40
	s_getpc_b64 s[0:1]
	s_add_u32 s0, s0, _ZN12_GLOBAL__N_112calc_igammacIfEET_S1_S1_@rel32@lo+4
	s_addc_u32 s1, s1, _ZN12_GLOBAL__N_112calc_igammacIfEET_S1_S1_@rel32@hi+12
	s_swappc_b64 s[30:31], s[0:1]
	v_mov_b32_e32 v62, v0
.LBB35_127:
	v_lshrrev_b32_e32 v0, 16, v94
	s_and_b32 vcc_lo, exec_lo, s39
	s_delay_alu instid0(VALU_DEP_1)
	v_cvt_f32_f16_e32 v40, v0
	s_cbranch_vccnz .LBB35_129
; %bb.128:
	s_delay_alu instid0(VALU_DEP_1) | instskip(SKIP_3) | instid1(SALU_CYCLE_1)
	v_dual_mov_b32 v0, v45 :: v_dual_mov_b32 v1, v40
	s_getpc_b64 s[0:1]
	s_add_u32 s0, s0, _ZN12_GLOBAL__N_111calc_igammaIfEET_S1_S1_@rel32@lo+4
	s_addc_u32 s1, s1, _ZN12_GLOBAL__N_111calc_igammaIfEET_S1_S1_@rel32@hi+12
	s_swappc_b64 s[30:31], s[0:1]
	v_mov_b32_e32 v63, v0
	s_cbranch_execz .LBB35_130
	s_branch .LBB35_131
.LBB35_129:
.LBB35_130:
	s_delay_alu instid0(VALU_DEP_1) | instskip(SKIP_3) | instid1(SALU_CYCLE_1)
	v_dual_mov_b32 v0, v45 :: v_dual_mov_b32 v1, v40
	s_getpc_b64 s[0:1]
	s_add_u32 s0, s0, _ZN12_GLOBAL__N_112calc_igammacIfEET_S1_S1_@rel32@lo+4
	s_addc_u32 s1, s1, _ZN12_GLOBAL__N_112calc_igammacIfEET_S1_S1_@rel32@hi+12
	s_swappc_b64 s[30:31], s[0:1]
	v_mov_b32_e32 v63, v0
.LBB35_131:
	s_add_u32 s2, s40, s46
	s_addc_u32 s3, s41, s47
	v_add_co_u32 v2, s0, s2, v107
	s_delay_alu instid0(VALU_DEP_1) | instskip(NEXT) | instid1(VALU_DEP_2)
	v_add_co_ci_u32_e64 v3, null, s3, 0, s0
	v_add_co_u32 v0, vcc_lo, 0x4000, v2
	s_delay_alu instid0(VALU_DEP_2)
	v_add_co_ci_u32_e32 v1, vcc_lo, 0, v3, vcc_lo
	v_add_co_u32 v2, vcc_lo, 0xc000, v2
	v_add_co_ci_u32_e32 v3, vcc_lo, 0, v3, vcc_lo
	s_clause 0x7
	global_store_b128 v107, v[56:59], s[2:3]
	global_store_b128 v107, v[66:69], s[2:3] offset:16
	global_store_b128 v[0:1], v[74:77], off
	global_store_b128 v[0:1], v[82:85], off offset:16
	global_store_b128 v47, v[86:89], s[2:3]
	global_store_b128 v47, v[78:81], s[2:3] offset:16
	global_store_b128 v[2:3], v[70:73], off
	global_store_b128 v[2:3], v[60:63], off offset:16
	s_branch .LBB35_2
.LBB35_132:
	s_clause 0x1
	s_load_b32 s6, s[36:37], 0x24
	s_load_b128 s[0:3], s[36:37], 0x28
	v_cndmask_b32_e64 v0, 0, 1, s49
	v_dual_mov_b32 v31, v46 :: v_dual_mov_b32 v2, s41
	v_dual_mov_b32 v1, s40 :: v_dual_mov_b32 v4, s43
	;; [unrolled: 1-line block ×3, first 2 shown]
	v_mov_b32_e32 v5, s44
	v_mov_b32_e32 v7, s48
	s_add_u32 s8, s36, 56
	s_addc_u32 s9, s37, 0
	s_mov_b32 s12, s38
	s_getpc_b64 s[4:5]
	s_add_u32 s4, s4, _ZN2at6native25elementwise_kernel_helperILb1EN12_GLOBAL__N_110CalcIgammaIfEENS0_6memory8policies11unroll_baseILi512ESt5arrayIPcLm3EE23TrivialOffsetCalculatorILi2EjESB_ILi1EjENS5_12LoadWithCastILi2EEENS5_13StoreWithCastILi1EEELi32ELi1EEEEEvT0_T1_@rel32@lo+4
	s_addc_u32 s5, s5, _ZN2at6native25elementwise_kernel_helperILb1EN12_GLOBAL__N_110CalcIgammaIfEENS0_6memory8policies11unroll_baseILi512ESt5arrayIPcLm3EE23TrivialOffsetCalculatorILi2EjESB_ILi1EjENS5_12LoadWithCastILi2EEENS5_13StoreWithCastILi1EEELi32ELi1EEEEEvT0_T1_@rel32@hi+12
	s_waitcnt lgkmcnt(0)
	v_lshrrev_b16 v9, 8, s6
	v_mov_b32_e32 v10, s0
	v_dual_mov_b32 v8, s6 :: v_dual_mov_b32 v11, s1
	v_dual_mov_b32 v12, s2 :: v_dual_mov_b32 v13, s3
	s_swappc_b64 s[30:31], s[4:5]
	s_endpgm
	.section	.rodata,"a",@progbits
	.p2align	6, 0x0
	.amdhsa_kernel _ZN2at6native39vectorized_templated_elementwise_kernelILi8EN12_GLOBAL__N_110CalcIgammaIfEESt5arrayIPcLm3EE23TrivialOffsetCalculatorILi2EjES8_ILi1EjENS0_6memory12LoadWithCastILi2EEENSB_13StoreWithCastILi1EEEfJfN3c104HalfEEEEviT0_T1_T2_T3_T4_T5_
		.amdhsa_group_segment_fixed_size 0
		.amdhsa_private_segment_fixed_size 448
		.amdhsa_kernarg_size 312
		.amdhsa_user_sgpr_count 15
		.amdhsa_user_sgpr_dispatch_ptr 0
		.amdhsa_user_sgpr_queue_ptr 0
		.amdhsa_user_sgpr_kernarg_segment_ptr 1
		.amdhsa_user_sgpr_dispatch_id 0
		.amdhsa_user_sgpr_private_segment_size 0
		.amdhsa_wavefront_size32 1
		.amdhsa_uses_dynamic_stack 0
		.amdhsa_enable_private_segment 1
		.amdhsa_system_sgpr_workgroup_id_x 1
		.amdhsa_system_sgpr_workgroup_id_y 0
		.amdhsa_system_sgpr_workgroup_id_z 0
		.amdhsa_system_sgpr_workgroup_info 0
		.amdhsa_system_vgpr_workitem_id 0
		.amdhsa_next_free_vgpr 147
		.amdhsa_next_free_sgpr 77
		.amdhsa_reserve_vcc 1
		.amdhsa_float_round_mode_32 0
		.amdhsa_float_round_mode_16_64 0
		.amdhsa_float_denorm_mode_32 3
		.amdhsa_float_denorm_mode_16_64 3
		.amdhsa_dx10_clamp 1
		.amdhsa_ieee_mode 1
		.amdhsa_fp16_overflow 0
		.amdhsa_workgroup_processor_mode 1
		.amdhsa_memory_ordered 1
		.amdhsa_forward_progress 0
		.amdhsa_shared_vgpr_count 0
		.amdhsa_exception_fp_ieee_invalid_op 0
		.amdhsa_exception_fp_denorm_src 0
		.amdhsa_exception_fp_ieee_div_zero 0
		.amdhsa_exception_fp_ieee_overflow 0
		.amdhsa_exception_fp_ieee_underflow 0
		.amdhsa_exception_fp_ieee_inexact 0
		.amdhsa_exception_int_div_zero 0
	.end_amdhsa_kernel
	.section	.text._ZN2at6native39vectorized_templated_elementwise_kernelILi8EN12_GLOBAL__N_110CalcIgammaIfEESt5arrayIPcLm3EE23TrivialOffsetCalculatorILi2EjES8_ILi1EjENS0_6memory12LoadWithCastILi2EEENSB_13StoreWithCastILi1EEEfJfN3c104HalfEEEEviT0_T1_T2_T3_T4_T5_,"axG",@progbits,_ZN2at6native39vectorized_templated_elementwise_kernelILi8EN12_GLOBAL__N_110CalcIgammaIfEESt5arrayIPcLm3EE23TrivialOffsetCalculatorILi2EjES8_ILi1EjENS0_6memory12LoadWithCastILi2EEENSB_13StoreWithCastILi1EEEfJfN3c104HalfEEEEviT0_T1_T2_T3_T4_T5_,comdat
.Lfunc_end35:
	.size	_ZN2at6native39vectorized_templated_elementwise_kernelILi8EN12_GLOBAL__N_110CalcIgammaIfEESt5arrayIPcLm3EE23TrivialOffsetCalculatorILi2EjES8_ILi1EjENS0_6memory12LoadWithCastILi2EEENSB_13StoreWithCastILi1EEEfJfN3c104HalfEEEEviT0_T1_T2_T3_T4_T5_, .Lfunc_end35-_ZN2at6native39vectorized_templated_elementwise_kernelILi8EN12_GLOBAL__N_110CalcIgammaIfEESt5arrayIPcLm3EE23TrivialOffsetCalculatorILi2EjES8_ILi1EjENS0_6memory12LoadWithCastILi2EEENSB_13StoreWithCastILi1EEEfJfN3c104HalfEEEEviT0_T1_T2_T3_T4_T5_
                                        ; -- End function
	.section	.AMDGPU.csdata,"",@progbits
; Kernel info:
; codeLenInByte = 4020
; NumSgprs: 79
; NumVgprs: 147
; ScratchSize: 448
; MemoryBound: 0
; FloatMode: 240
; IeeeMode: 1
; LDSByteSize: 0 bytes/workgroup (compile time only)
; SGPRBlocks: 9
; VGPRBlocks: 18
; NumSGPRsForWavesPerEU: 79
; NumVGPRsForWavesPerEU: 147
; Occupancy: 9
; WaveLimiterHint : 0
; COMPUTE_PGM_RSRC2:SCRATCH_EN: 1
; COMPUTE_PGM_RSRC2:USER_SGPR: 15
; COMPUTE_PGM_RSRC2:TRAP_HANDLER: 0
; COMPUTE_PGM_RSRC2:TGID_X_EN: 1
; COMPUTE_PGM_RSRC2:TGID_Y_EN: 0
; COMPUTE_PGM_RSRC2:TGID_Z_EN: 0
; COMPUTE_PGM_RSRC2:TIDIG_COMP_CNT: 0
	.section	.text._ZN2at6native39vectorized_templated_elementwise_kernelILi4EN12_GLOBAL__N_110CalcIgammaIfEESt5arrayIPcLm3EE23TrivialOffsetCalculatorILi2EjES8_ILi1EjENS0_6memory12LoadWithCastILi2EEENSB_13StoreWithCastILi1EEEfJfN3c104HalfEEEEviT0_T1_T2_T3_T4_T5_,"axG",@progbits,_ZN2at6native39vectorized_templated_elementwise_kernelILi4EN12_GLOBAL__N_110CalcIgammaIfEESt5arrayIPcLm3EE23TrivialOffsetCalculatorILi2EjES8_ILi1EjENS0_6memory12LoadWithCastILi2EEENSB_13StoreWithCastILi1EEEfJfN3c104HalfEEEEviT0_T1_T2_T3_T4_T5_,comdat
	.globl	_ZN2at6native39vectorized_templated_elementwise_kernelILi4EN12_GLOBAL__N_110CalcIgammaIfEESt5arrayIPcLm3EE23TrivialOffsetCalculatorILi2EjES8_ILi1EjENS0_6memory12LoadWithCastILi2EEENSB_13StoreWithCastILi1EEEfJfN3c104HalfEEEEviT0_T1_T2_T3_T4_T5_ ; -- Begin function _ZN2at6native39vectorized_templated_elementwise_kernelILi4EN12_GLOBAL__N_110CalcIgammaIfEESt5arrayIPcLm3EE23TrivialOffsetCalculatorILi2EjES8_ILi1EjENS0_6memory12LoadWithCastILi2EEENSB_13StoreWithCastILi1EEEfJfN3c104HalfEEEEviT0_T1_T2_T3_T4_T5_
	.p2align	8
	.type	_ZN2at6native39vectorized_templated_elementwise_kernelILi4EN12_GLOBAL__N_110CalcIgammaIfEESt5arrayIPcLm3EE23TrivialOffsetCalculatorILi2EjES8_ILi1EjENS0_6memory12LoadWithCastILi2EEENSB_13StoreWithCastILi1EEEfJfN3c104HalfEEEEviT0_T1_T2_T3_T4_T5_,@function
_ZN2at6native39vectorized_templated_elementwise_kernelILi4EN12_GLOBAL__N_110CalcIgammaIfEESt5arrayIPcLm3EE23TrivialOffsetCalculatorILi2EjES8_ILi1EjENS0_6memory12LoadWithCastILi2EEENSB_13StoreWithCastILi1EEEfJfN3c104HalfEEEEviT0_T1_T2_T3_T4_T5_: ; @_ZN2at6native39vectorized_templated_elementwise_kernelILi4EN12_GLOBAL__N_110CalcIgammaIfEESt5arrayIPcLm3EE23TrivialOffsetCalculatorILi2EjES8_ILi1EjENS0_6memory12LoadWithCastILi2EEENSB_13StoreWithCastILi1EEEfJfN3c104HalfEEEEviT0_T1_T2_T3_T4_T5_
; %bb.0:
	s_mov_b64 s[36:37], s[0:1]
	s_clause 0x1
	s_load_b64 s[2:3], s[0:1], 0x0
	s_load_b32 s0, s[0:1], 0x38
	s_clause 0x1
	s_load_b64 s[44:45], s[36:37], 0x18
	s_load_b128 s[40:43], s[36:37], 0x8
	v_mov_b32_e32 v46, v0
	s_mov_b32 s38, s15
	s_mov_b32 s32, 0
	s_waitcnt lgkmcnt(0)
	s_bitcmp1_b32 s3, 0
	s_cselect_b32 s49, -1, 0
	s_not_b32 s1, s15
	s_delay_alu instid0(SALU_CYCLE_1) | instskip(SKIP_2) | instid1(SALU_CYCLE_1)
	s_add_i32 s0, s0, s1
	s_mov_b32 s1, -1
	s_lshl_b32 s0, s0, 14
	s_sub_i32 s48, s2, s0
	s_delay_alu instid0(SALU_CYCLE_1)
	s_cmpk_gt_i32 s48, 0x3fff
	s_cbranch_scc1 .LBB36_3
; %bb.1:
	s_and_b32 vcc_lo, exec_lo, s1
	s_cbranch_vccnz .LBB36_132
.LBB36_2:
	s_endpgm
.LBB36_3:
	s_ashr_i32 s1, s0, 31
	v_lshlrev_b32_e32 v106, 4, v46
	s_lshl_b64 s[46:47], s[0:1], 2
	s_xor_b32 s50, s49, -1
	s_add_u32 s2, s42, s46
	s_addc_u32 s3, s43, s47
	v_add_co_u32 v4, s4, s2, v106
	s_delay_alu instid0(VALU_DEP_1) | instskip(SKIP_1) | instid1(VALU_DEP_3)
	v_add_co_ci_u32_e64 v5, null, s3, 0, s4
	v_or_b32_e32 v6, 0x400, v46
	v_add_co_u32 v0, vcc_lo, 0x2000, v4
	s_delay_alu instid0(VALU_DEP_3) | instskip(SKIP_1) | instid1(VALU_DEP_4)
	v_add_co_ci_u32_e32 v1, vcc_lo, 0, v5, vcc_lo
	v_or_b32_e32 v7, 0x800, v46
	v_lshlrev_b32_e32 v107, 4, v6
	s_clause 0x1
	global_load_b128 v[57:60], v106, s[2:3]
	global_load_b128 v[74:77], v[0:1], off
	v_add_co_u32 v0, vcc_lo, 0x6000, v4
	v_add_co_ci_u32_e32 v1, vcc_lo, 0, v5, vcc_lo
	v_add_co_u32 v2, vcc_lo, 0xa000, v4
	v_or_b32_e32 v8, 0xc00, v46
	v_lshlrev_b32_e32 v9, 3, v46
	v_lshlrev_b32_e32 v47, 4, v7
	s_lshl_b64 s[0:1], s[0:1], 1
	v_add_co_ci_u32_e32 v3, vcc_lo, 0, v5, vcc_lo
	s_add_u32 s0, s44, s0
	s_clause 0x3
	global_load_b128 v[87:90], v107, s[2:3]
	global_load_b128 v[83:86], v[0:1], off
	global_load_b128 v[78:81], v47, s[2:3]
	global_load_b128 v[70:73], v[2:3], off
	v_add_co_u32 v0, vcc_lo, 0xe000, v4
	v_lshlrev_b32_e32 v105, 4, v8
	s_addc_u32 s1, s45, s1
	v_add_co_u32 v10, s4, s0, v9
	v_add_co_ci_u32_e32 v1, vcc_lo, 0, v5, vcc_lo
	v_add_co_ci_u32_e64 v11, null, s1, 0, s4
	s_clause 0x1
	global_load_b128 v[66:69], v105, s[2:3]
	global_load_b128 v[42:45], v[0:1], off
	v_add_co_u32 v0, vcc_lo, 0x1000, v10
	v_add_co_ci_u32_e32 v1, vcc_lo, 0, v11, vcc_lo
	v_add_co_u32 v2, vcc_lo, 0x3000, v10
	v_add_co_ci_u32_e32 v3, vcc_lo, 0, v11, vcc_lo
	v_add_co_u32 v4, vcc_lo, 0x5000, v10
	v_lshlrev_b32_e32 v12, 3, v6
	v_add_co_ci_u32_e32 v5, vcc_lo, 0, v11, vcc_lo
	v_add_co_u32 v6, vcc_lo, 0x7000, v10
	v_lshlrev_b32_e32 v13, 3, v7
	v_lshlrev_b32_e32 v8, 3, v8
	v_add_co_ci_u32_e32 v7, vcc_lo, 0, v11, vcc_lo
	s_clause 0x7
	global_load_b64 v[103:104], v9, s[0:1]
	global_load_b64 v[62:63], v[0:1], off
	global_load_b64 v[101:102], v12, s[0:1]
	global_load_b64 v[99:100], v[2:3], off
	;; [unrolled: 2-line block ×4, first 2 shown]
	s_and_b32 vcc_lo, exec_lo, s50
	s_mov_b32 s39, 0
	s_waitcnt vmcnt(7)
	v_cvt_f32_f16_e32 v40, v103
	s_cbranch_vccz .LBB36_5
; %bb.4:
	s_delay_alu instid0(VALU_DEP_1) | instskip(SKIP_3) | instid1(SALU_CYCLE_1)
	v_dual_mov_b32 v0, v57 :: v_dual_mov_b32 v1, v40
	s_getpc_b64 s[0:1]
	s_add_u32 s0, s0, _ZN12_GLOBAL__N_111calc_igammaIfEET_S1_S1_@rel32@lo+4
	s_addc_u32 s1, s1, _ZN12_GLOBAL__N_111calc_igammaIfEET_S1_S1_@rel32@hi+12
	s_swappc_b64 s[30:31], s[0:1]
	v_mov_b32_e32 v56, v0
	s_and_not1_b32 vcc_lo, exec_lo, s39
	s_cbranch_vccz .LBB36_6
	s_branch .LBB36_7
.LBB36_5:
                                        ; implicit-def: $vgpr56
.LBB36_6:
	s_delay_alu instid0(VALU_DEP_1) | instskip(SKIP_3) | instid1(SALU_CYCLE_1)
	v_dual_mov_b32 v0, v57 :: v_dual_mov_b32 v1, v40
	s_getpc_b64 s[0:1]
	s_add_u32 s0, s0, _ZN12_GLOBAL__N_112calc_igammacIfEET_S1_S1_@rel32@lo+4
	s_addc_u32 s1, s1, _ZN12_GLOBAL__N_112calc_igammacIfEET_S1_S1_@rel32@hi+12
	s_swappc_b64 s[30:31], s[0:1]
	v_mov_b32_e32 v56, v0
.LBB36_7:
	v_cndmask_b32_e64 v0, 0, 1, s50
	v_lshrrev_b32_e32 v1, 16, v103
	s_and_not1_b32 vcc_lo, exec_lo, s50
	s_delay_alu instid0(VALU_DEP_2) | instskip(NEXT) | instid1(VALU_DEP_2)
	v_cmp_ne_u32_e64 s39, 1, v0
	v_cvt_f32_f16_e32 v40, v1
	s_cbranch_vccnz .LBB36_9
; %bb.8:
	s_delay_alu instid0(VALU_DEP_1) | instskip(SKIP_3) | instid1(SALU_CYCLE_1)
	v_dual_mov_b32 v0, v58 :: v_dual_mov_b32 v1, v40
	s_getpc_b64 s[0:1]
	s_add_u32 s0, s0, _ZN12_GLOBAL__N_111calc_igammaIfEET_S1_S1_@rel32@lo+4
	s_addc_u32 s1, s1, _ZN12_GLOBAL__N_111calc_igammaIfEET_S1_S1_@rel32@hi+12
	s_swappc_b64 s[30:31], s[0:1]
	v_mov_b32_e32 v57, v0
	s_cbranch_execz .LBB36_10
	s_branch .LBB36_11
.LBB36_9:
.LBB36_10:
	s_delay_alu instid0(VALU_DEP_1) | instskip(SKIP_3) | instid1(SALU_CYCLE_1)
	v_dual_mov_b32 v0, v58 :: v_dual_mov_b32 v1, v40
	s_getpc_b64 s[0:1]
	s_add_u32 s0, s0, _ZN12_GLOBAL__N_112calc_igammacIfEET_S1_S1_@rel32@lo+4
	s_addc_u32 s1, s1, _ZN12_GLOBAL__N_112calc_igammacIfEET_S1_S1_@rel32@hi+12
	s_swappc_b64 s[30:31], s[0:1]
	v_mov_b32_e32 v57, v0
.LBB36_11:
	v_cvt_f32_f16_e32 v40, v104
	s_and_b32 vcc_lo, exec_lo, s39
	s_cbranch_vccnz .LBB36_13
; %bb.12:
	s_delay_alu instid0(VALU_DEP_1) | instskip(SKIP_3) | instid1(SALU_CYCLE_1)
	v_dual_mov_b32 v0, v59 :: v_dual_mov_b32 v1, v40
	s_getpc_b64 s[0:1]
	s_add_u32 s0, s0, _ZN12_GLOBAL__N_111calc_igammaIfEET_S1_S1_@rel32@lo+4
	s_addc_u32 s1, s1, _ZN12_GLOBAL__N_111calc_igammaIfEET_S1_S1_@rel32@hi+12
	s_swappc_b64 s[30:31], s[0:1]
	v_mov_b32_e32 v58, v0
	s_cbranch_execz .LBB36_14
	s_branch .LBB36_15
.LBB36_13:
.LBB36_14:
	s_delay_alu instid0(VALU_DEP_1) | instskip(SKIP_3) | instid1(SALU_CYCLE_1)
	v_dual_mov_b32 v0, v59 :: v_dual_mov_b32 v1, v40
	s_getpc_b64 s[0:1]
	s_add_u32 s0, s0, _ZN12_GLOBAL__N_112calc_igammacIfEET_S1_S1_@rel32@lo+4
	s_addc_u32 s1, s1, _ZN12_GLOBAL__N_112calc_igammacIfEET_S1_S1_@rel32@hi+12
	s_swappc_b64 s[30:31], s[0:1]
	v_mov_b32_e32 v58, v0
.LBB36_15:
	v_lshrrev_b32_e32 v0, 16, v104
	s_and_b32 vcc_lo, exec_lo, s39
	s_delay_alu instid0(VALU_DEP_1)
	v_cvt_f32_f16_e32 v40, v0
	s_cbranch_vccnz .LBB36_17
; %bb.16:
	v_mov_b32_e32 v0, v60
	s_delay_alu instid0(VALU_DEP_2) | instskip(SKIP_3) | instid1(SALU_CYCLE_1)
	v_mov_b32_e32 v1, v40
	s_getpc_b64 s[0:1]
	s_add_u32 s0, s0, _ZN12_GLOBAL__N_111calc_igammaIfEET_S1_S1_@rel32@lo+4
	s_addc_u32 s1, s1, _ZN12_GLOBAL__N_111calc_igammaIfEET_S1_S1_@rel32@hi+12
	s_swappc_b64 s[30:31], s[0:1]
	v_mov_b32_e32 v59, v0
	s_cbranch_execz .LBB36_18
	s_branch .LBB36_19
.LBB36_17:
.LBB36_18:
	v_mov_b32_e32 v0, v60
	s_delay_alu instid0(VALU_DEP_2) | instskip(SKIP_3) | instid1(SALU_CYCLE_1)
	v_mov_b32_e32 v1, v40
	s_getpc_b64 s[0:1]
	s_add_u32 s0, s0, _ZN12_GLOBAL__N_112calc_igammacIfEET_S1_S1_@rel32@lo+4
	s_addc_u32 s1, s1, _ZN12_GLOBAL__N_112calc_igammacIfEET_S1_S1_@rel32@hi+12
	s_swappc_b64 s[30:31], s[0:1]
	v_mov_b32_e32 v59, v0
.LBB36_19:
	s_waitcnt vmcnt(6)
	v_cvt_f32_f16_e32 v40, v62
	s_and_b32 vcc_lo, exec_lo, s39
	s_cbranch_vccnz .LBB36_21
; %bb.20:
	s_delay_alu instid0(VALU_DEP_1) | instskip(SKIP_3) | instid1(SALU_CYCLE_1)
	v_dual_mov_b32 v0, v74 :: v_dual_mov_b32 v1, v40
	s_getpc_b64 s[0:1]
	s_add_u32 s0, s0, _ZN12_GLOBAL__N_111calc_igammaIfEET_S1_S1_@rel32@lo+4
	s_addc_u32 s1, s1, _ZN12_GLOBAL__N_111calc_igammaIfEET_S1_S1_@rel32@hi+12
	s_swappc_b64 s[30:31], s[0:1]
	v_mov_b32_e32 v60, v0
	s_cbranch_execz .LBB36_22
	s_branch .LBB36_23
.LBB36_21:
                                        ; implicit-def: $vgpr60
.LBB36_22:
	s_delay_alu instid0(VALU_DEP_1) | instskip(SKIP_3) | instid1(SALU_CYCLE_1)
	v_dual_mov_b32 v0, v74 :: v_dual_mov_b32 v1, v40
	s_getpc_b64 s[0:1]
	s_add_u32 s0, s0, _ZN12_GLOBAL__N_112calc_igammacIfEET_S1_S1_@rel32@lo+4
	s_addc_u32 s1, s1, _ZN12_GLOBAL__N_112calc_igammacIfEET_S1_S1_@rel32@hi+12
	s_swappc_b64 s[30:31], s[0:1]
	v_mov_b32_e32 v60, v0
.LBB36_23:
	v_lshrrev_b32_e32 v0, 16, v62
	s_and_b32 vcc_lo, exec_lo, s39
	s_delay_alu instid0(VALU_DEP_1)
	v_cvt_f32_f16_e32 v40, v0
	s_cbranch_vccnz .LBB36_25
; %bb.24:
	s_delay_alu instid0(VALU_DEP_1) | instskip(SKIP_3) | instid1(SALU_CYCLE_1)
	v_dual_mov_b32 v0, v75 :: v_dual_mov_b32 v1, v40
	s_getpc_b64 s[0:1]
	s_add_u32 s0, s0, _ZN12_GLOBAL__N_111calc_igammaIfEET_S1_S1_@rel32@lo+4
	s_addc_u32 s1, s1, _ZN12_GLOBAL__N_111calc_igammaIfEET_S1_S1_@rel32@hi+12
	s_swappc_b64 s[30:31], s[0:1]
	v_mov_b32_e32 v61, v0
	s_cbranch_execz .LBB36_26
	s_branch .LBB36_27
.LBB36_25:
.LBB36_26:
	s_delay_alu instid0(VALU_DEP_1) | instskip(SKIP_3) | instid1(SALU_CYCLE_1)
	v_dual_mov_b32 v0, v75 :: v_dual_mov_b32 v1, v40
	s_getpc_b64 s[0:1]
	s_add_u32 s0, s0, _ZN12_GLOBAL__N_112calc_igammacIfEET_S1_S1_@rel32@lo+4
	s_addc_u32 s1, s1, _ZN12_GLOBAL__N_112calc_igammacIfEET_S1_S1_@rel32@hi+12
	s_swappc_b64 s[30:31], s[0:1]
	v_mov_b32_e32 v61, v0
.LBB36_27:
	v_cvt_f32_f16_e32 v40, v63
	s_and_b32 vcc_lo, exec_lo, s39
	s_cbranch_vccnz .LBB36_29
; %bb.28:
	v_mov_b32_e32 v0, v76
	s_delay_alu instid0(VALU_DEP_2) | instskip(SKIP_3) | instid1(SALU_CYCLE_1)
	v_mov_b32_e32 v1, v40
	s_getpc_b64 s[0:1]
	s_add_u32 s0, s0, _ZN12_GLOBAL__N_111calc_igammaIfEET_S1_S1_@rel32@lo+4
	s_addc_u32 s1, s1, _ZN12_GLOBAL__N_111calc_igammaIfEET_S1_S1_@rel32@hi+12
	s_swappc_b64 s[30:31], s[0:1]
	v_mov_b32_e32 v62, v0
	s_cbranch_execz .LBB36_30
	s_branch .LBB36_31
.LBB36_29:
.LBB36_30:
	v_mov_b32_e32 v0, v76
	s_delay_alu instid0(VALU_DEP_2) | instskip(SKIP_3) | instid1(SALU_CYCLE_1)
	v_mov_b32_e32 v1, v40
	s_getpc_b64 s[0:1]
	s_add_u32 s0, s0, _ZN12_GLOBAL__N_112calc_igammacIfEET_S1_S1_@rel32@lo+4
	s_addc_u32 s1, s1, _ZN12_GLOBAL__N_112calc_igammacIfEET_S1_S1_@rel32@hi+12
	s_swappc_b64 s[30:31], s[0:1]
	v_mov_b32_e32 v62, v0
.LBB36_31:
	v_lshrrev_b32_e32 v0, 16, v63
	s_and_b32 vcc_lo, exec_lo, s39
	s_delay_alu instid0(VALU_DEP_1)
	v_cvt_f32_f16_e32 v40, v0
	s_cbranch_vccnz .LBB36_33
; %bb.32:
	s_delay_alu instid0(VALU_DEP_1) | instskip(SKIP_3) | instid1(SALU_CYCLE_1)
	v_dual_mov_b32 v0, v77 :: v_dual_mov_b32 v1, v40
	s_getpc_b64 s[0:1]
	s_add_u32 s0, s0, _ZN12_GLOBAL__N_111calc_igammaIfEET_S1_S1_@rel32@lo+4
	s_addc_u32 s1, s1, _ZN12_GLOBAL__N_111calc_igammaIfEET_S1_S1_@rel32@hi+12
	s_swappc_b64 s[30:31], s[0:1]
	v_mov_b32_e32 v63, v0
	s_cbranch_execz .LBB36_34
	s_branch .LBB36_35
.LBB36_33:
.LBB36_34:
	s_delay_alu instid0(VALU_DEP_1) | instskip(SKIP_3) | instid1(SALU_CYCLE_1)
	v_dual_mov_b32 v0, v77 :: v_dual_mov_b32 v1, v40
	s_getpc_b64 s[0:1]
	s_add_u32 s0, s0, _ZN12_GLOBAL__N_112calc_igammacIfEET_S1_S1_@rel32@lo+4
	s_addc_u32 s1, s1, _ZN12_GLOBAL__N_112calc_igammacIfEET_S1_S1_@rel32@hi+12
	s_swappc_b64 s[30:31], s[0:1]
	v_mov_b32_e32 v63, v0
.LBB36_35:
	s_waitcnt vmcnt(5)
	v_cvt_f32_f16_e32 v40, v101
	s_and_b32 vcc_lo, exec_lo, s39
	s_cbranch_vccnz .LBB36_37
; %bb.36:
	s_delay_alu instid0(VALU_DEP_1) | instskip(SKIP_3) | instid1(SALU_CYCLE_1)
	v_dual_mov_b32 v0, v87 :: v_dual_mov_b32 v1, v40
	s_getpc_b64 s[0:1]
	s_add_u32 s0, s0, _ZN12_GLOBAL__N_111calc_igammaIfEET_S1_S1_@rel32@lo+4
	s_addc_u32 s1, s1, _ZN12_GLOBAL__N_111calc_igammaIfEET_S1_S1_@rel32@hi+12
	s_swappc_b64 s[30:31], s[0:1]
	v_mov_b32_e32 v74, v0
	s_cbranch_execz .LBB36_38
	s_branch .LBB36_39
.LBB36_37:
                                        ; implicit-def: $vgpr74
.LBB36_38:
	s_delay_alu instid0(VALU_DEP_1) | instskip(SKIP_3) | instid1(SALU_CYCLE_1)
	v_dual_mov_b32 v0, v87 :: v_dual_mov_b32 v1, v40
	s_getpc_b64 s[0:1]
	s_add_u32 s0, s0, _ZN12_GLOBAL__N_112calc_igammacIfEET_S1_S1_@rel32@lo+4
	s_addc_u32 s1, s1, _ZN12_GLOBAL__N_112calc_igammacIfEET_S1_S1_@rel32@hi+12
	s_swappc_b64 s[30:31], s[0:1]
	v_mov_b32_e32 v74, v0
.LBB36_39:
	v_lshrrev_b32_e32 v0, 16, v101
	s_and_b32 vcc_lo, exec_lo, s39
	s_delay_alu instid0(VALU_DEP_1)
	v_cvt_f32_f16_e32 v40, v0
	s_cbranch_vccnz .LBB36_41
; %bb.40:
	v_mov_b32_e32 v0, v88
	s_delay_alu instid0(VALU_DEP_2) | instskip(SKIP_3) | instid1(SALU_CYCLE_1)
	v_mov_b32_e32 v1, v40
	s_getpc_b64 s[0:1]
	s_add_u32 s0, s0, _ZN12_GLOBAL__N_111calc_igammaIfEET_S1_S1_@rel32@lo+4
	s_addc_u32 s1, s1, _ZN12_GLOBAL__N_111calc_igammaIfEET_S1_S1_@rel32@hi+12
	s_swappc_b64 s[30:31], s[0:1]
	v_mov_b32_e32 v75, v0
	s_cbranch_execz .LBB36_42
	s_branch .LBB36_43
.LBB36_41:
.LBB36_42:
	v_mov_b32_e32 v0, v88
	s_delay_alu instid0(VALU_DEP_2) | instskip(SKIP_3) | instid1(SALU_CYCLE_1)
	v_mov_b32_e32 v1, v40
	s_getpc_b64 s[0:1]
	s_add_u32 s0, s0, _ZN12_GLOBAL__N_112calc_igammacIfEET_S1_S1_@rel32@lo+4
	s_addc_u32 s1, s1, _ZN12_GLOBAL__N_112calc_igammacIfEET_S1_S1_@rel32@hi+12
	s_swappc_b64 s[30:31], s[0:1]
	v_mov_b32_e32 v75, v0
.LBB36_43:
	v_cvt_f32_f16_e32 v40, v102
	s_and_b32 vcc_lo, exec_lo, s39
	s_cbranch_vccnz .LBB36_45
; %bb.44:
	s_delay_alu instid0(VALU_DEP_1) | instskip(SKIP_3) | instid1(SALU_CYCLE_1)
	v_dual_mov_b32 v0, v89 :: v_dual_mov_b32 v1, v40
	s_getpc_b64 s[0:1]
	s_add_u32 s0, s0, _ZN12_GLOBAL__N_111calc_igammaIfEET_S1_S1_@rel32@lo+4
	s_addc_u32 s1, s1, _ZN12_GLOBAL__N_111calc_igammaIfEET_S1_S1_@rel32@hi+12
	s_swappc_b64 s[30:31], s[0:1]
	v_mov_b32_e32 v76, v0
	s_cbranch_execz .LBB36_46
	s_branch .LBB36_47
.LBB36_45:
.LBB36_46:
	s_delay_alu instid0(VALU_DEP_1) | instskip(SKIP_3) | instid1(SALU_CYCLE_1)
	v_dual_mov_b32 v0, v89 :: v_dual_mov_b32 v1, v40
	s_getpc_b64 s[0:1]
	s_add_u32 s0, s0, _ZN12_GLOBAL__N_112calc_igammacIfEET_S1_S1_@rel32@lo+4
	s_addc_u32 s1, s1, _ZN12_GLOBAL__N_112calc_igammacIfEET_S1_S1_@rel32@hi+12
	s_swappc_b64 s[30:31], s[0:1]
	v_mov_b32_e32 v76, v0
.LBB36_47:
	v_lshrrev_b32_e32 v0, 16, v102
	s_and_b32 vcc_lo, exec_lo, s39
	s_delay_alu instid0(VALU_DEP_1)
	v_cvt_f32_f16_e32 v40, v0
	s_cbranch_vccnz .LBB36_49
; %bb.48:
	s_delay_alu instid0(VALU_DEP_1) | instskip(SKIP_3) | instid1(SALU_CYCLE_1)
	v_dual_mov_b32 v0, v90 :: v_dual_mov_b32 v1, v40
	s_getpc_b64 s[0:1]
	s_add_u32 s0, s0, _ZN12_GLOBAL__N_111calc_igammaIfEET_S1_S1_@rel32@lo+4
	s_addc_u32 s1, s1, _ZN12_GLOBAL__N_111calc_igammaIfEET_S1_S1_@rel32@hi+12
	s_swappc_b64 s[30:31], s[0:1]
	v_mov_b32_e32 v77, v0
	s_cbranch_execz .LBB36_50
	s_branch .LBB36_51
.LBB36_49:
.LBB36_50:
	s_delay_alu instid0(VALU_DEP_1) | instskip(SKIP_3) | instid1(SALU_CYCLE_1)
	v_dual_mov_b32 v0, v90 :: v_dual_mov_b32 v1, v40
	s_getpc_b64 s[0:1]
	s_add_u32 s0, s0, _ZN12_GLOBAL__N_112calc_igammacIfEET_S1_S1_@rel32@lo+4
	s_addc_u32 s1, s1, _ZN12_GLOBAL__N_112calc_igammacIfEET_S1_S1_@rel32@hi+12
	s_swappc_b64 s[30:31], s[0:1]
	v_mov_b32_e32 v77, v0
.LBB36_51:
	s_waitcnt vmcnt(4)
	v_cvt_f32_f16_e32 v40, v99
	s_and_b32 vcc_lo, exec_lo, s39
	s_cbranch_vccnz .LBB36_53
; %bb.52:
	s_delay_alu instid0(VALU_DEP_1) | instskip(SKIP_3) | instid1(SALU_CYCLE_1)
	v_dual_mov_b32 v0, v83 :: v_dual_mov_b32 v1, v40
	s_getpc_b64 s[0:1]
	s_add_u32 s0, s0, _ZN12_GLOBAL__N_111calc_igammaIfEET_S1_S1_@rel32@lo+4
	s_addc_u32 s1, s1, _ZN12_GLOBAL__N_111calc_igammaIfEET_S1_S1_@rel32@hi+12
	s_swappc_b64 s[30:31], s[0:1]
	v_mov_b32_e32 v82, v0
	s_cbranch_execz .LBB36_54
	s_branch .LBB36_55
.LBB36_53:
                                        ; implicit-def: $vgpr82
.LBB36_54:
	s_delay_alu instid0(VALU_DEP_1) | instskip(SKIP_3) | instid1(SALU_CYCLE_1)
	v_dual_mov_b32 v0, v83 :: v_dual_mov_b32 v1, v40
	s_getpc_b64 s[0:1]
	s_add_u32 s0, s0, _ZN12_GLOBAL__N_112calc_igammacIfEET_S1_S1_@rel32@lo+4
	s_addc_u32 s1, s1, _ZN12_GLOBAL__N_112calc_igammacIfEET_S1_S1_@rel32@hi+12
	s_swappc_b64 s[30:31], s[0:1]
	v_mov_b32_e32 v82, v0
.LBB36_55:
	v_lshrrev_b32_e32 v0, 16, v99
	s_and_b32 vcc_lo, exec_lo, s39
	s_delay_alu instid0(VALU_DEP_1)
	v_cvt_f32_f16_e32 v40, v0
	s_cbranch_vccnz .LBB36_57
; %bb.56:
	v_mov_b32_e32 v0, v84
	s_delay_alu instid0(VALU_DEP_2) | instskip(SKIP_3) | instid1(SALU_CYCLE_1)
	v_mov_b32_e32 v1, v40
	s_getpc_b64 s[0:1]
	s_add_u32 s0, s0, _ZN12_GLOBAL__N_111calc_igammaIfEET_S1_S1_@rel32@lo+4
	s_addc_u32 s1, s1, _ZN12_GLOBAL__N_111calc_igammaIfEET_S1_S1_@rel32@hi+12
	s_swappc_b64 s[30:31], s[0:1]
	v_mov_b32_e32 v83, v0
	s_cbranch_execz .LBB36_58
	s_branch .LBB36_59
.LBB36_57:
.LBB36_58:
	v_mov_b32_e32 v0, v84
	s_delay_alu instid0(VALU_DEP_2) | instskip(SKIP_3) | instid1(SALU_CYCLE_1)
	v_mov_b32_e32 v1, v40
	s_getpc_b64 s[0:1]
	s_add_u32 s0, s0, _ZN12_GLOBAL__N_112calc_igammacIfEET_S1_S1_@rel32@lo+4
	s_addc_u32 s1, s1, _ZN12_GLOBAL__N_112calc_igammacIfEET_S1_S1_@rel32@hi+12
	s_swappc_b64 s[30:31], s[0:1]
	v_mov_b32_e32 v83, v0
.LBB36_59:
	v_cvt_f32_f16_e32 v40, v100
	s_and_b32 vcc_lo, exec_lo, s39
	s_cbranch_vccnz .LBB36_61
; %bb.60:
	s_delay_alu instid0(VALU_DEP_1) | instskip(SKIP_3) | instid1(SALU_CYCLE_1)
	v_dual_mov_b32 v0, v85 :: v_dual_mov_b32 v1, v40
	s_getpc_b64 s[0:1]
	s_add_u32 s0, s0, _ZN12_GLOBAL__N_111calc_igammaIfEET_S1_S1_@rel32@lo+4
	s_addc_u32 s1, s1, _ZN12_GLOBAL__N_111calc_igammaIfEET_S1_S1_@rel32@hi+12
	s_swappc_b64 s[30:31], s[0:1]
	v_mov_b32_e32 v84, v0
	s_cbranch_execz .LBB36_62
	s_branch .LBB36_63
.LBB36_61:
.LBB36_62:
	s_delay_alu instid0(VALU_DEP_1) | instskip(SKIP_3) | instid1(SALU_CYCLE_1)
	v_dual_mov_b32 v0, v85 :: v_dual_mov_b32 v1, v40
	s_getpc_b64 s[0:1]
	s_add_u32 s0, s0, _ZN12_GLOBAL__N_112calc_igammacIfEET_S1_S1_@rel32@lo+4
	s_addc_u32 s1, s1, _ZN12_GLOBAL__N_112calc_igammacIfEET_S1_S1_@rel32@hi+12
	s_swappc_b64 s[30:31], s[0:1]
	v_mov_b32_e32 v84, v0
.LBB36_63:
	v_lshrrev_b32_e32 v0, 16, v100
	s_and_b32 vcc_lo, exec_lo, s39
	s_delay_alu instid0(VALU_DEP_1)
	v_cvt_f32_f16_e32 v40, v0
	s_cbranch_vccnz .LBB36_65
; %bb.64:
	s_delay_alu instid0(VALU_DEP_1) | instskip(SKIP_3) | instid1(SALU_CYCLE_1)
	v_dual_mov_b32 v0, v86 :: v_dual_mov_b32 v1, v40
	s_getpc_b64 s[0:1]
	s_add_u32 s0, s0, _ZN12_GLOBAL__N_111calc_igammaIfEET_S1_S1_@rel32@lo+4
	s_addc_u32 s1, s1, _ZN12_GLOBAL__N_111calc_igammaIfEET_S1_S1_@rel32@hi+12
	s_swappc_b64 s[30:31], s[0:1]
	v_mov_b32_e32 v85, v0
	s_cbranch_execz .LBB36_66
	s_branch .LBB36_67
.LBB36_65:
.LBB36_66:
	s_delay_alu instid0(VALU_DEP_1) | instskip(SKIP_3) | instid1(SALU_CYCLE_1)
	v_dual_mov_b32 v0, v86 :: v_dual_mov_b32 v1, v40
	s_getpc_b64 s[0:1]
	s_add_u32 s0, s0, _ZN12_GLOBAL__N_112calc_igammacIfEET_S1_S1_@rel32@lo+4
	s_addc_u32 s1, s1, _ZN12_GLOBAL__N_112calc_igammacIfEET_S1_S1_@rel32@hi+12
	s_swappc_b64 s[30:31], s[0:1]
	v_mov_b32_e32 v85, v0
.LBB36_67:
	s_waitcnt vmcnt(3)
	v_cvt_f32_f16_e32 v40, v97
	s_and_b32 vcc_lo, exec_lo, s39
	s_cbranch_vccnz .LBB36_69
; %bb.68:
	s_delay_alu instid0(VALU_DEP_1) | instskip(SKIP_3) | instid1(SALU_CYCLE_1)
	v_dual_mov_b32 v0, v78 :: v_dual_mov_b32 v1, v40
	s_getpc_b64 s[0:1]
	s_add_u32 s0, s0, _ZN12_GLOBAL__N_111calc_igammaIfEET_S1_S1_@rel32@lo+4
	s_addc_u32 s1, s1, _ZN12_GLOBAL__N_111calc_igammaIfEET_S1_S1_@rel32@hi+12
	s_swappc_b64 s[30:31], s[0:1]
	v_mov_b32_e32 v86, v0
	s_cbranch_execz .LBB36_70
	s_branch .LBB36_71
.LBB36_69:
                                        ; implicit-def: $vgpr86
.LBB36_70:
	s_delay_alu instid0(VALU_DEP_1) | instskip(SKIP_3) | instid1(SALU_CYCLE_1)
	v_dual_mov_b32 v0, v78 :: v_dual_mov_b32 v1, v40
	s_getpc_b64 s[0:1]
	s_add_u32 s0, s0, _ZN12_GLOBAL__N_112calc_igammacIfEET_S1_S1_@rel32@lo+4
	s_addc_u32 s1, s1, _ZN12_GLOBAL__N_112calc_igammacIfEET_S1_S1_@rel32@hi+12
	s_swappc_b64 s[30:31], s[0:1]
	v_mov_b32_e32 v86, v0
.LBB36_71:
	v_lshrrev_b32_e32 v0, 16, v97
	s_and_b32 vcc_lo, exec_lo, s39
	s_delay_alu instid0(VALU_DEP_1)
	v_cvt_f32_f16_e32 v40, v0
	s_cbranch_vccnz .LBB36_73
; %bb.72:
	s_delay_alu instid0(VALU_DEP_1) | instskip(SKIP_3) | instid1(SALU_CYCLE_1)
	v_dual_mov_b32 v0, v79 :: v_dual_mov_b32 v1, v40
	s_getpc_b64 s[0:1]
	s_add_u32 s0, s0, _ZN12_GLOBAL__N_111calc_igammaIfEET_S1_S1_@rel32@lo+4
	s_addc_u32 s1, s1, _ZN12_GLOBAL__N_111calc_igammaIfEET_S1_S1_@rel32@hi+12
	s_swappc_b64 s[30:31], s[0:1]
	v_mov_b32_e32 v87, v0
	s_cbranch_execz .LBB36_74
	s_branch .LBB36_75
.LBB36_73:
.LBB36_74:
	s_delay_alu instid0(VALU_DEP_1) | instskip(SKIP_3) | instid1(SALU_CYCLE_1)
	v_dual_mov_b32 v0, v79 :: v_dual_mov_b32 v1, v40
	s_getpc_b64 s[0:1]
	s_add_u32 s0, s0, _ZN12_GLOBAL__N_112calc_igammacIfEET_S1_S1_@rel32@lo+4
	s_addc_u32 s1, s1, _ZN12_GLOBAL__N_112calc_igammacIfEET_S1_S1_@rel32@hi+12
	s_swappc_b64 s[30:31], s[0:1]
	v_mov_b32_e32 v87, v0
.LBB36_75:
	v_cvt_f32_f16_e32 v40, v98
	s_and_b32 vcc_lo, exec_lo, s39
	s_cbranch_vccnz .LBB36_77
; %bb.76:
	v_mov_b32_e32 v0, v80
	s_delay_alu instid0(VALU_DEP_2) | instskip(SKIP_3) | instid1(SALU_CYCLE_1)
	v_mov_b32_e32 v1, v40
	s_getpc_b64 s[0:1]
	s_add_u32 s0, s0, _ZN12_GLOBAL__N_111calc_igammaIfEET_S1_S1_@rel32@lo+4
	s_addc_u32 s1, s1, _ZN12_GLOBAL__N_111calc_igammaIfEET_S1_S1_@rel32@hi+12
	s_swappc_b64 s[30:31], s[0:1]
	v_mov_b32_e32 v88, v0
	s_cbranch_execz .LBB36_78
	s_branch .LBB36_79
.LBB36_77:
.LBB36_78:
	v_mov_b32_e32 v0, v80
	s_delay_alu instid0(VALU_DEP_2) | instskip(SKIP_3) | instid1(SALU_CYCLE_1)
	v_mov_b32_e32 v1, v40
	s_getpc_b64 s[0:1]
	s_add_u32 s0, s0, _ZN12_GLOBAL__N_112calc_igammacIfEET_S1_S1_@rel32@lo+4
	s_addc_u32 s1, s1, _ZN12_GLOBAL__N_112calc_igammacIfEET_S1_S1_@rel32@hi+12
	s_swappc_b64 s[30:31], s[0:1]
	v_mov_b32_e32 v88, v0
.LBB36_79:
	v_lshrrev_b32_e32 v0, 16, v98
	s_and_b32 vcc_lo, exec_lo, s39
	s_delay_alu instid0(VALU_DEP_1)
	v_cvt_f32_f16_e32 v40, v0
	s_cbranch_vccnz .LBB36_81
; %bb.80:
	s_delay_alu instid0(VALU_DEP_1) | instskip(SKIP_3) | instid1(SALU_CYCLE_1)
	v_dual_mov_b32 v0, v81 :: v_dual_mov_b32 v1, v40
	s_getpc_b64 s[0:1]
	s_add_u32 s0, s0, _ZN12_GLOBAL__N_111calc_igammaIfEET_S1_S1_@rel32@lo+4
	s_addc_u32 s1, s1, _ZN12_GLOBAL__N_111calc_igammaIfEET_S1_S1_@rel32@hi+12
	s_swappc_b64 s[30:31], s[0:1]
	v_mov_b32_e32 v89, v0
	s_cbranch_execz .LBB36_82
	s_branch .LBB36_83
.LBB36_81:
.LBB36_82:
	s_delay_alu instid0(VALU_DEP_1) | instskip(SKIP_3) | instid1(SALU_CYCLE_1)
	v_dual_mov_b32 v0, v81 :: v_dual_mov_b32 v1, v40
	s_getpc_b64 s[0:1]
	s_add_u32 s0, s0, _ZN12_GLOBAL__N_112calc_igammacIfEET_S1_S1_@rel32@lo+4
	s_addc_u32 s1, s1, _ZN12_GLOBAL__N_112calc_igammacIfEET_S1_S1_@rel32@hi+12
	s_swappc_b64 s[30:31], s[0:1]
	v_mov_b32_e32 v89, v0
.LBB36_83:
	s_waitcnt vmcnt(2)
	v_cvt_f32_f16_e32 v40, v95
	s_and_b32 vcc_lo, exec_lo, s39
	s_cbranch_vccnz .LBB36_85
; %bb.84:
	s_delay_alu instid0(VALU_DEP_1) | instskip(SKIP_3) | instid1(SALU_CYCLE_1)
	v_dual_mov_b32 v0, v70 :: v_dual_mov_b32 v1, v40
	s_getpc_b64 s[0:1]
	s_add_u32 s0, s0, _ZN12_GLOBAL__N_111calc_igammaIfEET_S1_S1_@rel32@lo+4
	s_addc_u32 s1, s1, _ZN12_GLOBAL__N_111calc_igammaIfEET_S1_S1_@rel32@hi+12
	s_swappc_b64 s[30:31], s[0:1]
	v_mov_b32_e32 v78, v0
	s_cbranch_execz .LBB36_86
	s_branch .LBB36_87
.LBB36_85:
                                        ; implicit-def: $vgpr78
.LBB36_86:
	s_delay_alu instid0(VALU_DEP_1) | instskip(SKIP_3) | instid1(SALU_CYCLE_1)
	v_dual_mov_b32 v0, v70 :: v_dual_mov_b32 v1, v40
	s_getpc_b64 s[0:1]
	s_add_u32 s0, s0, _ZN12_GLOBAL__N_112calc_igammacIfEET_S1_S1_@rel32@lo+4
	s_addc_u32 s1, s1, _ZN12_GLOBAL__N_112calc_igammacIfEET_S1_S1_@rel32@hi+12
	s_swappc_b64 s[30:31], s[0:1]
	v_mov_b32_e32 v78, v0
.LBB36_87:
	v_lshrrev_b32_e32 v0, 16, v95
	s_and_b32 vcc_lo, exec_lo, s39
	s_delay_alu instid0(VALU_DEP_1)
	v_cvt_f32_f16_e32 v40, v0
	s_cbranch_vccnz .LBB36_89
; %bb.88:
	s_delay_alu instid0(VALU_DEP_1) | instskip(SKIP_3) | instid1(SALU_CYCLE_1)
	v_dual_mov_b32 v0, v71 :: v_dual_mov_b32 v1, v40
	s_getpc_b64 s[0:1]
	s_add_u32 s0, s0, _ZN12_GLOBAL__N_111calc_igammaIfEET_S1_S1_@rel32@lo+4
	s_addc_u32 s1, s1, _ZN12_GLOBAL__N_111calc_igammaIfEET_S1_S1_@rel32@hi+12
	s_swappc_b64 s[30:31], s[0:1]
	v_mov_b32_e32 v79, v0
	s_cbranch_execz .LBB36_90
	s_branch .LBB36_91
.LBB36_89:
.LBB36_90:
	s_delay_alu instid0(VALU_DEP_1) | instskip(SKIP_3) | instid1(SALU_CYCLE_1)
	v_dual_mov_b32 v0, v71 :: v_dual_mov_b32 v1, v40
	s_getpc_b64 s[0:1]
	s_add_u32 s0, s0, _ZN12_GLOBAL__N_112calc_igammacIfEET_S1_S1_@rel32@lo+4
	s_addc_u32 s1, s1, _ZN12_GLOBAL__N_112calc_igammacIfEET_S1_S1_@rel32@hi+12
	s_swappc_b64 s[30:31], s[0:1]
	v_mov_b32_e32 v79, v0
.LBB36_91:
	v_cvt_f32_f16_e32 v40, v96
	s_and_b32 vcc_lo, exec_lo, s39
	s_cbranch_vccnz .LBB36_93
; %bb.92:
	v_mov_b32_e32 v0, v72
	s_delay_alu instid0(VALU_DEP_2) | instskip(SKIP_3) | instid1(SALU_CYCLE_1)
	v_mov_b32_e32 v1, v40
	s_getpc_b64 s[0:1]
	s_add_u32 s0, s0, _ZN12_GLOBAL__N_111calc_igammaIfEET_S1_S1_@rel32@lo+4
	s_addc_u32 s1, s1, _ZN12_GLOBAL__N_111calc_igammaIfEET_S1_S1_@rel32@hi+12
	s_swappc_b64 s[30:31], s[0:1]
	v_mov_b32_e32 v80, v0
	s_cbranch_execz .LBB36_94
	s_branch .LBB36_95
.LBB36_93:
.LBB36_94:
	v_mov_b32_e32 v0, v72
	s_delay_alu instid0(VALU_DEP_2) | instskip(SKIP_3) | instid1(SALU_CYCLE_1)
	v_mov_b32_e32 v1, v40
	s_getpc_b64 s[0:1]
	s_add_u32 s0, s0, _ZN12_GLOBAL__N_112calc_igammacIfEET_S1_S1_@rel32@lo+4
	s_addc_u32 s1, s1, _ZN12_GLOBAL__N_112calc_igammacIfEET_S1_S1_@rel32@hi+12
	s_swappc_b64 s[30:31], s[0:1]
	v_mov_b32_e32 v80, v0
.LBB36_95:
	v_lshrrev_b32_e32 v0, 16, v96
	s_and_b32 vcc_lo, exec_lo, s39
	s_delay_alu instid0(VALU_DEP_1)
	v_cvt_f32_f16_e32 v40, v0
	s_cbranch_vccnz .LBB36_97
; %bb.96:
	s_delay_alu instid0(VALU_DEP_1) | instskip(SKIP_3) | instid1(SALU_CYCLE_1)
	v_dual_mov_b32 v0, v73 :: v_dual_mov_b32 v1, v40
	s_getpc_b64 s[0:1]
	s_add_u32 s0, s0, _ZN12_GLOBAL__N_111calc_igammaIfEET_S1_S1_@rel32@lo+4
	s_addc_u32 s1, s1, _ZN12_GLOBAL__N_111calc_igammaIfEET_S1_S1_@rel32@hi+12
	s_swappc_b64 s[30:31], s[0:1]
	v_mov_b32_e32 v81, v0
	s_cbranch_execz .LBB36_98
	s_branch .LBB36_99
.LBB36_97:
.LBB36_98:
	s_delay_alu instid0(VALU_DEP_1) | instskip(SKIP_3) | instid1(SALU_CYCLE_1)
	v_dual_mov_b32 v0, v73 :: v_dual_mov_b32 v1, v40
	s_getpc_b64 s[0:1]
	s_add_u32 s0, s0, _ZN12_GLOBAL__N_112calc_igammacIfEET_S1_S1_@rel32@lo+4
	s_addc_u32 s1, s1, _ZN12_GLOBAL__N_112calc_igammacIfEET_S1_S1_@rel32@hi+12
	s_swappc_b64 s[30:31], s[0:1]
	v_mov_b32_e32 v81, v0
.LBB36_99:
	s_waitcnt vmcnt(1)
	v_cvt_f32_f16_e32 v40, v93
	s_and_b32 vcc_lo, exec_lo, s39
	s_cbranch_vccnz .LBB36_101
; %bb.100:
	s_delay_alu instid0(VALU_DEP_1) | instskip(SKIP_3) | instid1(SALU_CYCLE_1)
	v_dual_mov_b32 v0, v66 :: v_dual_mov_b32 v1, v40
	s_getpc_b64 s[0:1]
	s_add_u32 s0, s0, _ZN12_GLOBAL__N_111calc_igammaIfEET_S1_S1_@rel32@lo+4
	s_addc_u32 s1, s1, _ZN12_GLOBAL__N_111calc_igammaIfEET_S1_S1_@rel32@hi+12
	s_swappc_b64 s[30:31], s[0:1]
	v_mov_b32_e32 v70, v0
	s_cbranch_execz .LBB36_102
	s_branch .LBB36_103
.LBB36_101:
                                        ; implicit-def: $vgpr70
.LBB36_102:
	s_delay_alu instid0(VALU_DEP_1) | instskip(SKIP_3) | instid1(SALU_CYCLE_1)
	v_dual_mov_b32 v0, v66 :: v_dual_mov_b32 v1, v40
	s_getpc_b64 s[0:1]
	s_add_u32 s0, s0, _ZN12_GLOBAL__N_112calc_igammacIfEET_S1_S1_@rel32@lo+4
	s_addc_u32 s1, s1, _ZN12_GLOBAL__N_112calc_igammacIfEET_S1_S1_@rel32@hi+12
	s_swappc_b64 s[30:31], s[0:1]
	v_mov_b32_e32 v70, v0
.LBB36_103:
	v_lshrrev_b32_e32 v0, 16, v93
	s_and_b32 vcc_lo, exec_lo, s39
	s_delay_alu instid0(VALU_DEP_1)
	v_cvt_f32_f16_e32 v40, v0
	s_cbranch_vccnz .LBB36_105
; %bb.104:
	s_delay_alu instid0(VALU_DEP_1) | instskip(SKIP_3) | instid1(SALU_CYCLE_1)
	v_dual_mov_b32 v0, v67 :: v_dual_mov_b32 v1, v40
	s_getpc_b64 s[0:1]
	s_add_u32 s0, s0, _ZN12_GLOBAL__N_111calc_igammaIfEET_S1_S1_@rel32@lo+4
	s_addc_u32 s1, s1, _ZN12_GLOBAL__N_111calc_igammaIfEET_S1_S1_@rel32@hi+12
	s_swappc_b64 s[30:31], s[0:1]
	v_mov_b32_e32 v71, v0
	s_cbranch_execz .LBB36_106
	s_branch .LBB36_107
.LBB36_105:
.LBB36_106:
	s_delay_alu instid0(VALU_DEP_1) | instskip(SKIP_3) | instid1(SALU_CYCLE_1)
	v_dual_mov_b32 v0, v67 :: v_dual_mov_b32 v1, v40
	s_getpc_b64 s[0:1]
	s_add_u32 s0, s0, _ZN12_GLOBAL__N_112calc_igammacIfEET_S1_S1_@rel32@lo+4
	s_addc_u32 s1, s1, _ZN12_GLOBAL__N_112calc_igammacIfEET_S1_S1_@rel32@hi+12
	s_swappc_b64 s[30:31], s[0:1]
	v_mov_b32_e32 v71, v0
.LBB36_107:
	v_cvt_f32_f16_e32 v40, v94
	s_and_b32 vcc_lo, exec_lo, s39
	s_cbranch_vccnz .LBB36_109
; %bb.108:
	v_mov_b32_e32 v0, v68
	s_delay_alu instid0(VALU_DEP_2) | instskip(SKIP_3) | instid1(SALU_CYCLE_1)
	v_mov_b32_e32 v1, v40
	s_getpc_b64 s[0:1]
	s_add_u32 s0, s0, _ZN12_GLOBAL__N_111calc_igammaIfEET_S1_S1_@rel32@lo+4
	s_addc_u32 s1, s1, _ZN12_GLOBAL__N_111calc_igammaIfEET_S1_S1_@rel32@hi+12
	s_swappc_b64 s[30:31], s[0:1]
	v_mov_b32_e32 v72, v0
	s_cbranch_execz .LBB36_110
	s_branch .LBB36_111
.LBB36_109:
.LBB36_110:
	v_mov_b32_e32 v0, v68
	s_delay_alu instid0(VALU_DEP_2) | instskip(SKIP_3) | instid1(SALU_CYCLE_1)
	v_mov_b32_e32 v1, v40
	s_getpc_b64 s[0:1]
	s_add_u32 s0, s0, _ZN12_GLOBAL__N_112calc_igammacIfEET_S1_S1_@rel32@lo+4
	s_addc_u32 s1, s1, _ZN12_GLOBAL__N_112calc_igammacIfEET_S1_S1_@rel32@hi+12
	s_swappc_b64 s[30:31], s[0:1]
	v_mov_b32_e32 v72, v0
.LBB36_111:
	v_lshrrev_b32_e32 v0, 16, v94
	s_and_b32 vcc_lo, exec_lo, s39
	s_delay_alu instid0(VALU_DEP_1)
	v_cvt_f32_f16_e32 v40, v0
	s_cbranch_vccnz .LBB36_113
; %bb.112:
	s_delay_alu instid0(VALU_DEP_1) | instskip(SKIP_3) | instid1(SALU_CYCLE_1)
	v_dual_mov_b32 v0, v69 :: v_dual_mov_b32 v1, v40
	s_getpc_b64 s[0:1]
	s_add_u32 s0, s0, _ZN12_GLOBAL__N_111calc_igammaIfEET_S1_S1_@rel32@lo+4
	s_addc_u32 s1, s1, _ZN12_GLOBAL__N_111calc_igammaIfEET_S1_S1_@rel32@hi+12
	s_swappc_b64 s[30:31], s[0:1]
	v_mov_b32_e32 v73, v0
	s_cbranch_execz .LBB36_114
	s_branch .LBB36_115
.LBB36_113:
.LBB36_114:
	s_delay_alu instid0(VALU_DEP_1) | instskip(SKIP_3) | instid1(SALU_CYCLE_1)
	v_dual_mov_b32 v0, v69 :: v_dual_mov_b32 v1, v40
	s_getpc_b64 s[0:1]
	s_add_u32 s0, s0, _ZN12_GLOBAL__N_112calc_igammacIfEET_S1_S1_@rel32@lo+4
	s_addc_u32 s1, s1, _ZN12_GLOBAL__N_112calc_igammacIfEET_S1_S1_@rel32@hi+12
	s_swappc_b64 s[30:31], s[0:1]
	v_mov_b32_e32 v73, v0
.LBB36_115:
	s_waitcnt vmcnt(0)
	v_cvt_f32_f16_e32 v40, v91
	s_and_b32 vcc_lo, exec_lo, s39
	s_cbranch_vccnz .LBB36_117
; %bb.116:
	s_delay_alu instid0(VALU_DEP_1) | instskip(SKIP_3) | instid1(SALU_CYCLE_1)
	v_dual_mov_b32 v0, v42 :: v_dual_mov_b32 v1, v40
	s_getpc_b64 s[0:1]
	s_add_u32 s0, s0, _ZN12_GLOBAL__N_111calc_igammaIfEET_S1_S1_@rel32@lo+4
	s_addc_u32 s1, s1, _ZN12_GLOBAL__N_111calc_igammaIfEET_S1_S1_@rel32@hi+12
	s_swappc_b64 s[30:31], s[0:1]
	v_mov_b32_e32 v66, v0
	s_cbranch_execz .LBB36_118
	s_branch .LBB36_119
.LBB36_117:
                                        ; implicit-def: $vgpr66
.LBB36_118:
	s_delay_alu instid0(VALU_DEP_1) | instskip(SKIP_3) | instid1(SALU_CYCLE_1)
	v_dual_mov_b32 v0, v42 :: v_dual_mov_b32 v1, v40
	s_getpc_b64 s[0:1]
	s_add_u32 s0, s0, _ZN12_GLOBAL__N_112calc_igammacIfEET_S1_S1_@rel32@lo+4
	s_addc_u32 s1, s1, _ZN12_GLOBAL__N_112calc_igammacIfEET_S1_S1_@rel32@hi+12
	s_swappc_b64 s[30:31], s[0:1]
	v_mov_b32_e32 v66, v0
.LBB36_119:
	v_lshrrev_b32_e32 v0, 16, v91
	s_and_b32 vcc_lo, exec_lo, s39
	s_delay_alu instid0(VALU_DEP_1)
	v_cvt_f32_f16_e32 v40, v0
	s_cbranch_vccnz .LBB36_121
; %bb.120:
	s_delay_alu instid0(VALU_DEP_1) | instskip(SKIP_3) | instid1(SALU_CYCLE_1)
	v_dual_mov_b32 v0, v43 :: v_dual_mov_b32 v1, v40
	s_getpc_b64 s[0:1]
	s_add_u32 s0, s0, _ZN12_GLOBAL__N_111calc_igammaIfEET_S1_S1_@rel32@lo+4
	s_addc_u32 s1, s1, _ZN12_GLOBAL__N_111calc_igammaIfEET_S1_S1_@rel32@hi+12
	s_swappc_b64 s[30:31], s[0:1]
	v_mov_b32_e32 v67, v0
	s_cbranch_execz .LBB36_122
	s_branch .LBB36_123
.LBB36_121:
.LBB36_122:
	s_delay_alu instid0(VALU_DEP_1) | instskip(SKIP_3) | instid1(SALU_CYCLE_1)
	v_dual_mov_b32 v0, v43 :: v_dual_mov_b32 v1, v40
	s_getpc_b64 s[0:1]
	s_add_u32 s0, s0, _ZN12_GLOBAL__N_112calc_igammacIfEET_S1_S1_@rel32@lo+4
	s_addc_u32 s1, s1, _ZN12_GLOBAL__N_112calc_igammacIfEET_S1_S1_@rel32@hi+12
	s_swappc_b64 s[30:31], s[0:1]
	v_mov_b32_e32 v67, v0
.LBB36_123:
	v_cvt_f32_f16_e32 v40, v92
	s_and_b32 vcc_lo, exec_lo, s39
	s_cbranch_vccnz .LBB36_125
; %bb.124:
	v_mov_b32_e32 v0, v44
	s_delay_alu instid0(VALU_DEP_2) | instskip(SKIP_3) | instid1(SALU_CYCLE_1)
	v_mov_b32_e32 v1, v40
	s_getpc_b64 s[0:1]
	s_add_u32 s0, s0, _ZN12_GLOBAL__N_111calc_igammaIfEET_S1_S1_@rel32@lo+4
	s_addc_u32 s1, s1, _ZN12_GLOBAL__N_111calc_igammaIfEET_S1_S1_@rel32@hi+12
	s_swappc_b64 s[30:31], s[0:1]
	v_mov_b32_e32 v68, v0
	s_cbranch_execz .LBB36_126
	s_branch .LBB36_127
.LBB36_125:
.LBB36_126:
	v_mov_b32_e32 v0, v44
	s_delay_alu instid0(VALU_DEP_2) | instskip(SKIP_3) | instid1(SALU_CYCLE_1)
	v_mov_b32_e32 v1, v40
	s_getpc_b64 s[0:1]
	s_add_u32 s0, s0, _ZN12_GLOBAL__N_112calc_igammacIfEET_S1_S1_@rel32@lo+4
	s_addc_u32 s1, s1, _ZN12_GLOBAL__N_112calc_igammacIfEET_S1_S1_@rel32@hi+12
	s_swappc_b64 s[30:31], s[0:1]
	v_mov_b32_e32 v68, v0
.LBB36_127:
	v_lshrrev_b32_e32 v0, 16, v92
	s_and_b32 vcc_lo, exec_lo, s39
	s_delay_alu instid0(VALU_DEP_1)
	v_cvt_f32_f16_e32 v40, v0
	s_cbranch_vccnz .LBB36_129
; %bb.128:
	s_delay_alu instid0(VALU_DEP_1) | instskip(SKIP_3) | instid1(SALU_CYCLE_1)
	v_dual_mov_b32 v0, v45 :: v_dual_mov_b32 v1, v40
	s_getpc_b64 s[0:1]
	s_add_u32 s0, s0, _ZN12_GLOBAL__N_111calc_igammaIfEET_S1_S1_@rel32@lo+4
	s_addc_u32 s1, s1, _ZN12_GLOBAL__N_111calc_igammaIfEET_S1_S1_@rel32@hi+12
	s_swappc_b64 s[30:31], s[0:1]
	v_mov_b32_e32 v69, v0
	s_cbranch_execz .LBB36_130
	s_branch .LBB36_131
.LBB36_129:
.LBB36_130:
	s_delay_alu instid0(VALU_DEP_1) | instskip(SKIP_3) | instid1(SALU_CYCLE_1)
	v_dual_mov_b32 v0, v45 :: v_dual_mov_b32 v1, v40
	s_getpc_b64 s[0:1]
	s_add_u32 s0, s0, _ZN12_GLOBAL__N_112calc_igammacIfEET_S1_S1_@rel32@lo+4
	s_addc_u32 s1, s1, _ZN12_GLOBAL__N_112calc_igammacIfEET_S1_S1_@rel32@hi+12
	s_swappc_b64 s[30:31], s[0:1]
	v_mov_b32_e32 v69, v0
.LBB36_131:
	s_add_u32 s2, s40, s46
	s_addc_u32 s3, s41, s47
	v_add_co_u32 v6, s0, s2, v106
	s_delay_alu instid0(VALU_DEP_1) | instskip(NEXT) | instid1(VALU_DEP_2)
	v_add_co_ci_u32_e64 v7, null, s3, 0, s0
	v_add_co_u32 v0, vcc_lo, 0x2000, v6
	s_delay_alu instid0(VALU_DEP_2)
	v_add_co_ci_u32_e32 v1, vcc_lo, 0, v7, vcc_lo
	v_add_co_u32 v2, vcc_lo, 0x6000, v6
	v_add_co_ci_u32_e32 v3, vcc_lo, 0, v7, vcc_lo
	v_add_co_u32 v4, vcc_lo, 0xa000, v6
	;; [unrolled: 2-line block ×3, first 2 shown]
	s_clause 0x1
	global_store_b128 v106, v[56:59], s[2:3]
	global_store_b128 v107, v[74:77], s[2:3]
	v_add_co_ci_u32_e32 v7, vcc_lo, 0, v7, vcc_lo
	s_clause 0x5
	global_store_b128 v[0:1], v[60:63], off
	global_store_b128 v[2:3], v[82:85], off
	global_store_b128 v47, v[86:89], s[2:3]
	global_store_b128 v105, v[70:73], s[2:3]
	global_store_b128 v[4:5], v[78:81], off
	global_store_b128 v[6:7], v[66:69], off
	s_branch .LBB36_2
.LBB36_132:
	s_clause 0x1
	s_load_b32 s6, s[36:37], 0x24
	s_load_b128 s[0:3], s[36:37], 0x28
	v_cndmask_b32_e64 v0, 0, 1, s49
	v_dual_mov_b32 v31, v46 :: v_dual_mov_b32 v2, s41
	v_dual_mov_b32 v1, s40 :: v_dual_mov_b32 v4, s43
	;; [unrolled: 1-line block ×3, first 2 shown]
	v_mov_b32_e32 v5, s44
	v_mov_b32_e32 v7, s48
	s_add_u32 s8, s36, 56
	s_addc_u32 s9, s37, 0
	s_mov_b32 s12, s38
	s_getpc_b64 s[4:5]
	s_add_u32 s4, s4, _ZN2at6native25elementwise_kernel_helperILb1EN12_GLOBAL__N_110CalcIgammaIfEENS0_6memory8policies11unroll_baseILi512ESt5arrayIPcLm3EE23TrivialOffsetCalculatorILi2EjESB_ILi1EjENS5_12LoadWithCastILi2EEENS5_13StoreWithCastILi1EEELi32ELi1EEEEEvT0_T1_@rel32@lo+4
	s_addc_u32 s5, s5, _ZN2at6native25elementwise_kernel_helperILb1EN12_GLOBAL__N_110CalcIgammaIfEENS0_6memory8policies11unroll_baseILi512ESt5arrayIPcLm3EE23TrivialOffsetCalculatorILi2EjESB_ILi1EjENS5_12LoadWithCastILi2EEENS5_13StoreWithCastILi1EEELi32ELi1EEEEEvT0_T1_@rel32@hi+12
	s_waitcnt lgkmcnt(0)
	v_lshrrev_b16 v9, 8, s6
	v_mov_b32_e32 v10, s0
	v_dual_mov_b32 v8, s6 :: v_dual_mov_b32 v11, s1
	v_dual_mov_b32 v12, s2 :: v_dual_mov_b32 v13, s3
	s_swappc_b64 s[30:31], s[4:5]
	s_endpgm
	.section	.rodata,"a",@progbits
	.p2align	6, 0x0
	.amdhsa_kernel _ZN2at6native39vectorized_templated_elementwise_kernelILi4EN12_GLOBAL__N_110CalcIgammaIfEESt5arrayIPcLm3EE23TrivialOffsetCalculatorILi2EjES8_ILi1EjENS0_6memory12LoadWithCastILi2EEENSB_13StoreWithCastILi1EEEfJfN3c104HalfEEEEviT0_T1_T2_T3_T4_T5_
		.amdhsa_group_segment_fixed_size 0
		.amdhsa_private_segment_fixed_size 448
		.amdhsa_kernarg_size 312
		.amdhsa_user_sgpr_count 15
		.amdhsa_user_sgpr_dispatch_ptr 0
		.amdhsa_user_sgpr_queue_ptr 0
		.amdhsa_user_sgpr_kernarg_segment_ptr 1
		.amdhsa_user_sgpr_dispatch_id 0
		.amdhsa_user_sgpr_private_segment_size 0
		.amdhsa_wavefront_size32 1
		.amdhsa_uses_dynamic_stack 0
		.amdhsa_enable_private_segment 1
		.amdhsa_system_sgpr_workgroup_id_x 1
		.amdhsa_system_sgpr_workgroup_id_y 0
		.amdhsa_system_sgpr_workgroup_id_z 0
		.amdhsa_system_sgpr_workgroup_info 0
		.amdhsa_system_vgpr_workitem_id 0
		.amdhsa_next_free_vgpr 147
		.amdhsa_next_free_sgpr 77
		.amdhsa_reserve_vcc 1
		.amdhsa_float_round_mode_32 0
		.amdhsa_float_round_mode_16_64 0
		.amdhsa_float_denorm_mode_32 3
		.amdhsa_float_denorm_mode_16_64 3
		.amdhsa_dx10_clamp 1
		.amdhsa_ieee_mode 1
		.amdhsa_fp16_overflow 0
		.amdhsa_workgroup_processor_mode 1
		.amdhsa_memory_ordered 1
		.amdhsa_forward_progress 0
		.amdhsa_shared_vgpr_count 0
		.amdhsa_exception_fp_ieee_invalid_op 0
		.amdhsa_exception_fp_denorm_src 0
		.amdhsa_exception_fp_ieee_div_zero 0
		.amdhsa_exception_fp_ieee_overflow 0
		.amdhsa_exception_fp_ieee_underflow 0
		.amdhsa_exception_fp_ieee_inexact 0
		.amdhsa_exception_int_div_zero 0
	.end_amdhsa_kernel
	.section	.text._ZN2at6native39vectorized_templated_elementwise_kernelILi4EN12_GLOBAL__N_110CalcIgammaIfEESt5arrayIPcLm3EE23TrivialOffsetCalculatorILi2EjES8_ILi1EjENS0_6memory12LoadWithCastILi2EEENSB_13StoreWithCastILi1EEEfJfN3c104HalfEEEEviT0_T1_T2_T3_T4_T5_,"axG",@progbits,_ZN2at6native39vectorized_templated_elementwise_kernelILi4EN12_GLOBAL__N_110CalcIgammaIfEESt5arrayIPcLm3EE23TrivialOffsetCalculatorILi2EjES8_ILi1EjENS0_6memory12LoadWithCastILi2EEENSB_13StoreWithCastILi1EEEfJfN3c104HalfEEEEviT0_T1_T2_T3_T4_T5_,comdat
.Lfunc_end36:
	.size	_ZN2at6native39vectorized_templated_elementwise_kernelILi4EN12_GLOBAL__N_110CalcIgammaIfEESt5arrayIPcLm3EE23TrivialOffsetCalculatorILi2EjES8_ILi1EjENS0_6memory12LoadWithCastILi2EEENSB_13StoreWithCastILi1EEEfJfN3c104HalfEEEEviT0_T1_T2_T3_T4_T5_, .Lfunc_end36-_ZN2at6native39vectorized_templated_elementwise_kernelILi4EN12_GLOBAL__N_110CalcIgammaIfEESt5arrayIPcLm3EE23TrivialOffsetCalculatorILi2EjES8_ILi1EjENS0_6memory12LoadWithCastILi2EEENSB_13StoreWithCastILi1EEEfJfN3c104HalfEEEEviT0_T1_T2_T3_T4_T5_
                                        ; -- End function
	.section	.AMDGPU.csdata,"",@progbits
; Kernel info:
; codeLenInByte = 4204
; NumSgprs: 79
; NumVgprs: 147
; ScratchSize: 448
; MemoryBound: 0
; FloatMode: 240
; IeeeMode: 1
; LDSByteSize: 0 bytes/workgroup (compile time only)
; SGPRBlocks: 9
; VGPRBlocks: 18
; NumSGPRsForWavesPerEU: 79
; NumVGPRsForWavesPerEU: 147
; Occupancy: 9
; WaveLimiterHint : 0
; COMPUTE_PGM_RSRC2:SCRATCH_EN: 1
; COMPUTE_PGM_RSRC2:USER_SGPR: 15
; COMPUTE_PGM_RSRC2:TRAP_HANDLER: 0
; COMPUTE_PGM_RSRC2:TGID_X_EN: 1
; COMPUTE_PGM_RSRC2:TGID_Y_EN: 0
; COMPUTE_PGM_RSRC2:TGID_Z_EN: 0
; COMPUTE_PGM_RSRC2:TIDIG_COMP_CNT: 0
	.section	.text._ZN2at6native39vectorized_templated_elementwise_kernelILi2EN12_GLOBAL__N_110CalcIgammaIfEESt5arrayIPcLm3EE23TrivialOffsetCalculatorILi2EjES8_ILi1EjENS0_6memory12LoadWithCastILi2EEENSB_13StoreWithCastILi1EEEfJfN3c104HalfEEEEviT0_T1_T2_T3_T4_T5_,"axG",@progbits,_ZN2at6native39vectorized_templated_elementwise_kernelILi2EN12_GLOBAL__N_110CalcIgammaIfEESt5arrayIPcLm3EE23TrivialOffsetCalculatorILi2EjES8_ILi1EjENS0_6memory12LoadWithCastILi2EEENSB_13StoreWithCastILi1EEEfJfN3c104HalfEEEEviT0_T1_T2_T3_T4_T5_,comdat
	.globl	_ZN2at6native39vectorized_templated_elementwise_kernelILi2EN12_GLOBAL__N_110CalcIgammaIfEESt5arrayIPcLm3EE23TrivialOffsetCalculatorILi2EjES8_ILi1EjENS0_6memory12LoadWithCastILi2EEENSB_13StoreWithCastILi1EEEfJfN3c104HalfEEEEviT0_T1_T2_T3_T4_T5_ ; -- Begin function _ZN2at6native39vectorized_templated_elementwise_kernelILi2EN12_GLOBAL__N_110CalcIgammaIfEESt5arrayIPcLm3EE23TrivialOffsetCalculatorILi2EjES8_ILi1EjENS0_6memory12LoadWithCastILi2EEENSB_13StoreWithCastILi1EEEfJfN3c104HalfEEEEviT0_T1_T2_T3_T4_T5_
	.p2align	8
	.type	_ZN2at6native39vectorized_templated_elementwise_kernelILi2EN12_GLOBAL__N_110CalcIgammaIfEESt5arrayIPcLm3EE23TrivialOffsetCalculatorILi2EjES8_ILi1EjENS0_6memory12LoadWithCastILi2EEENSB_13StoreWithCastILi1EEEfJfN3c104HalfEEEEviT0_T1_T2_T3_T4_T5_,@function
_ZN2at6native39vectorized_templated_elementwise_kernelILi2EN12_GLOBAL__N_110CalcIgammaIfEESt5arrayIPcLm3EE23TrivialOffsetCalculatorILi2EjES8_ILi1EjENS0_6memory12LoadWithCastILi2EEENSB_13StoreWithCastILi1EEEfJfN3c104HalfEEEEviT0_T1_T2_T3_T4_T5_: ; @_ZN2at6native39vectorized_templated_elementwise_kernelILi2EN12_GLOBAL__N_110CalcIgammaIfEESt5arrayIPcLm3EE23TrivialOffsetCalculatorILi2EjES8_ILi1EjENS0_6memory12LoadWithCastILi2EEENSB_13StoreWithCastILi1EEEfJfN3c104HalfEEEEviT0_T1_T2_T3_T4_T5_
; %bb.0:
	s_mov_b64 s[36:37], s[0:1]
	s_clause 0x1
	s_load_b64 s[2:3], s[0:1], 0x0
	s_load_b32 s0, s[0:1], 0x38
	s_clause 0x1
	s_load_b64 s[44:45], s[36:37], 0x18
	s_load_b128 s[40:43], s[36:37], 0x8
	v_mov_b32_e32 v87, v0
	s_mov_b32 s38, s15
	s_mov_b32 s32, 0
	s_waitcnt lgkmcnt(0)
	s_bitcmp1_b32 s3, 0
	s_cselect_b32 s49, -1, 0
	s_not_b32 s1, s15
	s_delay_alu instid0(SALU_CYCLE_1) | instskip(SKIP_2) | instid1(SALU_CYCLE_1)
	s_add_i32 s0, s0, s1
	s_mov_b32 s1, -1
	s_lshl_b32 s0, s0, 14
	s_sub_i32 s48, s2, s0
	s_delay_alu instid0(SALU_CYCLE_1)
	s_cmpk_gt_i32 s48, 0x3fff
	s_cbranch_scc1 .LBB37_3
; %bb.1:
	s_and_b32 vcc_lo, exec_lo, s1
	s_cbranch_vccnz .LBB37_132
.LBB37_2:
	s_endpgm
.LBB37_3:
	s_ashr_i32 s1, s0, 31
	v_lshlrev_b32_e32 v88, 3, v87
	s_lshl_b64 s[46:47], s[0:1], 2
	s_xor_b32 s50, s49, -1
	s_add_u32 s2, s42, s46
	s_addc_u32 s3, s43, s47
	v_add_co_u32 v4, s4, s2, v88
	s_delay_alu instid0(VALU_DEP_1) | instskip(SKIP_1) | instid1(VALU_DEP_3)
	v_add_co_ci_u32_e64 v5, null, s3, 0, s4
	v_or_b32_e32 v6, 0x400, v87
	v_add_co_u32 v0, vcc_lo, 0x1000, v4
	s_delay_alu instid0(VALU_DEP_3) | instskip(SKIP_1) | instid1(VALU_DEP_4)
	v_add_co_ci_u32_e32 v1, vcc_lo, 0, v5, vcc_lo
	v_add_co_u32 v2, vcc_lo, 0x3000, v4
	v_lshlrev_b32_e32 v91, 3, v6
	v_or_b32_e32 v7, 0x800, v87
	v_add_co_ci_u32_e32 v3, vcc_lo, 0, v5, vcc_lo
	v_or_b32_e32 v8, 0xc00, v87
	s_clause 0x3
	global_load_b64 v[56:57], v88, s[2:3]
	global_load_b64 v[60:61], v[0:1], off
	global_load_b64 v[66:67], v91, s[2:3]
	global_load_b64 v[70:71], v[2:3], off
	v_add_co_u32 v0, vcc_lo, 0x5000, v4
	v_lshlrev_b32_e32 v93, 3, v7
	v_add_co_ci_u32_e32 v1, vcc_lo, 0, v5, vcc_lo
	v_add_co_u32 v2, vcc_lo, 0x7000, v4
	v_lshlrev_b32_e32 v95, 3, v8
	v_or_b32_e32 v9, 0x1000, v87
	v_add_co_ci_u32_e32 v3, vcc_lo, 0, v5, vcc_lo
	v_or_b32_e32 v10, 0x1400, v87
	s_clause 0x3
	global_load_b64 v[74:75], v93, s[2:3]
	global_load_b64 v[78:79], v[0:1], off
	global_load_b64 v[85:86], v95, s[2:3]
	global_load_b64 v[83:84], v[2:3], off
	v_add_co_u32 v0, vcc_lo, 0x9000, v4
	v_lshlrev_b32_e32 v89, 3, v9
	;; [unrolled: 13-line block ×3, first 2 shown]
	v_add_co_ci_u32_e32 v1, vcc_lo, 0, v5, vcc_lo
	v_lshlrev_b32_e32 v13, 2, v87
	v_add_co_u32 v2, vcc_lo, 0xf000, v4
	s_lshl_b64 s[0:1], s[0:1], 1
	v_lshlrev_b32_e32 v94, 3, v12
	v_add_co_ci_u32_e32 v3, vcc_lo, 0, v5, vcc_lo
	s_add_u32 s0, s44, s0
	s_clause 0x3
	global_load_b64 v[62:63], v92, s[2:3]
	global_load_b64 v[58:59], v[0:1], off
	global_load_b64 v[46:47], v94, s[2:3]
	global_load_b64 v[42:43], v[2:3], off
	s_addc_u32 s1, s45, s1
	v_add_co_u32 v14, s2, s0, v13
	s_delay_alu instid0(VALU_DEP_1) | instskip(SKIP_1) | instid1(VALU_DEP_3)
	v_add_co_ci_u32_e64 v15, null, s1, 0, s2
	v_lshlrev_b32_e32 v6, 2, v6
	v_add_co_u32 v0, vcc_lo, 0x1000, v14
	s_delay_alu instid0(VALU_DEP_3)
	v_add_co_ci_u32_e32 v1, vcc_lo, 0, v15, vcc_lo
	v_add_co_u32 v2, vcc_lo, 0x2000, v14
	v_add_co_ci_u32_e32 v3, vcc_lo, 0, v15, vcc_lo
	v_add_co_u32 v4, vcc_lo, 0x3000, v14
	v_lshlrev_b32_e32 v7, 2, v7
	v_add_co_ci_u32_e32 v5, vcc_lo, 0, v15, vcc_lo
	v_lshlrev_b32_e32 v8, 2, v8
	s_clause 0x7
	global_load_b32 v45, v13, s[0:1]
	global_load_b32 v109, v13, s[0:1] offset:2048
	global_load_b32 v108, v6, s[0:1]
	global_load_b32 v107, v[0:1], off offset:2048
	global_load_b32 v106, v7, s[0:1]
	global_load_b32 v105, v[2:3], off offset:2048
	;; [unrolled: 2-line block ×3, first 2 shown]
	v_add_co_u32 v0, vcc_lo, 0x4000, v14
	v_add_co_ci_u32_e32 v1, vcc_lo, 0, v15, vcc_lo
	v_add_co_u32 v2, vcc_lo, 0x5000, v14
	v_add_co_ci_u32_e32 v3, vcc_lo, 0, v15, vcc_lo
	v_lshlrev_b32_e32 v8, 2, v9
	v_add_co_u32 v4, vcc_lo, 0x6000, v14
	v_lshlrev_b32_e32 v9, 2, v10
	v_add_co_ci_u32_e32 v5, vcc_lo, 0, v15, vcc_lo
	v_add_co_u32 v6, vcc_lo, 0x7000, v14
	v_lshlrev_b32_e32 v10, 2, v11
	v_lshlrev_b32_e32 v11, 2, v12
	v_add_co_ci_u32_e32 v7, vcc_lo, 0, v15, vcc_lo
	s_clause 0x7
	global_load_b32 v103, v8, s[0:1]
	global_load_b32 v102, v[0:1], off offset:2048
	global_load_b32 v101, v9, s[0:1]
	global_load_b32 v100, v[2:3], off offset:2048
	;; [unrolled: 2-line block ×4, first 2 shown]
	s_and_b32 vcc_lo, exec_lo, s50
	s_mov_b32 s39, 0
	s_waitcnt vmcnt(15)
	v_cvt_f32_f16_e32 v40, v45
	s_cbranch_vccz .LBB37_5
; %bb.4:
	v_mov_b32_e32 v0, v56
	s_delay_alu instid0(VALU_DEP_2) | instskip(SKIP_3) | instid1(SALU_CYCLE_1)
	v_mov_b32_e32 v1, v40
	s_getpc_b64 s[0:1]
	s_add_u32 s0, s0, _ZN12_GLOBAL__N_111calc_igammaIfEET_S1_S1_@rel32@lo+4
	s_addc_u32 s1, s1, _ZN12_GLOBAL__N_111calc_igammaIfEET_S1_S1_@rel32@hi+12
	s_swappc_b64 s[30:31], s[0:1]
	v_mov_b32_e32 v44, v0
	s_and_not1_b32 vcc_lo, exec_lo, s39
	s_cbranch_vccz .LBB37_6
	s_branch .LBB37_7
.LBB37_5:
                                        ; implicit-def: $vgpr44
.LBB37_6:
	v_mov_b32_e32 v0, v56
	s_delay_alu instid0(VALU_DEP_2) | instskip(SKIP_3) | instid1(SALU_CYCLE_1)
	v_mov_b32_e32 v1, v40
	s_getpc_b64 s[0:1]
	s_add_u32 s0, s0, _ZN12_GLOBAL__N_112calc_igammacIfEET_S1_S1_@rel32@lo+4
	s_addc_u32 s1, s1, _ZN12_GLOBAL__N_112calc_igammacIfEET_S1_S1_@rel32@hi+12
	s_swappc_b64 s[30:31], s[0:1]
	v_mov_b32_e32 v44, v0
.LBB37_7:
	v_cndmask_b32_e64 v0, 0, 1, s50
	v_lshrrev_b32_e32 v1, 16, v45
	s_and_not1_b32 vcc_lo, exec_lo, s50
	s_delay_alu instid0(VALU_DEP_2) | instskip(NEXT) | instid1(VALU_DEP_2)
	v_cmp_ne_u32_e64 s39, 1, v0
	v_cvt_f32_f16_e32 v40, v1
	s_cbranch_vccnz .LBB37_9
; %bb.8:
	s_delay_alu instid0(VALU_DEP_1) | instskip(SKIP_3) | instid1(SALU_CYCLE_1)
	v_dual_mov_b32 v0, v57 :: v_dual_mov_b32 v1, v40
	s_getpc_b64 s[0:1]
	s_add_u32 s0, s0, _ZN12_GLOBAL__N_111calc_igammaIfEET_S1_S1_@rel32@lo+4
	s_addc_u32 s1, s1, _ZN12_GLOBAL__N_111calc_igammaIfEET_S1_S1_@rel32@hi+12
	s_swappc_b64 s[30:31], s[0:1]
	v_mov_b32_e32 v45, v0
	s_cbranch_execz .LBB37_10
	s_branch .LBB37_11
.LBB37_9:
.LBB37_10:
	s_delay_alu instid0(VALU_DEP_1) | instskip(SKIP_3) | instid1(SALU_CYCLE_1)
	v_dual_mov_b32 v0, v57 :: v_dual_mov_b32 v1, v40
	s_getpc_b64 s[0:1]
	s_add_u32 s0, s0, _ZN12_GLOBAL__N_112calc_igammacIfEET_S1_S1_@rel32@lo+4
	s_addc_u32 s1, s1, _ZN12_GLOBAL__N_112calc_igammacIfEET_S1_S1_@rel32@hi+12
	s_swappc_b64 s[30:31], s[0:1]
	v_mov_b32_e32 v45, v0
.LBB37_11:
	s_waitcnt vmcnt(14)
	v_cvt_f32_f16_e32 v40, v109
	s_and_b32 vcc_lo, exec_lo, s39
	s_cbranch_vccnz .LBB37_13
; %bb.12:
	v_mov_b32_e32 v0, v60
	s_delay_alu instid0(VALU_DEP_2) | instskip(SKIP_3) | instid1(SALU_CYCLE_1)
	v_mov_b32_e32 v1, v40
	s_getpc_b64 s[0:1]
	s_add_u32 s0, s0, _ZN12_GLOBAL__N_111calc_igammaIfEET_S1_S1_@rel32@lo+4
	s_addc_u32 s1, s1, _ZN12_GLOBAL__N_111calc_igammaIfEET_S1_S1_@rel32@hi+12
	s_swappc_b64 s[30:31], s[0:1]
	v_mov_b32_e32 v56, v0
	s_cbranch_execz .LBB37_14
	s_branch .LBB37_15
.LBB37_13:
                                        ; implicit-def: $vgpr56
.LBB37_14:
	v_mov_b32_e32 v0, v60
	s_delay_alu instid0(VALU_DEP_2) | instskip(SKIP_3) | instid1(SALU_CYCLE_1)
	v_mov_b32_e32 v1, v40
	s_getpc_b64 s[0:1]
	s_add_u32 s0, s0, _ZN12_GLOBAL__N_112calc_igammacIfEET_S1_S1_@rel32@lo+4
	s_addc_u32 s1, s1, _ZN12_GLOBAL__N_112calc_igammacIfEET_S1_S1_@rel32@hi+12
	s_swappc_b64 s[30:31], s[0:1]
	v_mov_b32_e32 v56, v0
.LBB37_15:
	v_lshrrev_b32_e32 v0, 16, v109
	s_and_b32 vcc_lo, exec_lo, s39
	s_delay_alu instid0(VALU_DEP_1)
	v_cvt_f32_f16_e32 v40, v0
	s_cbranch_vccnz .LBB37_17
; %bb.16:
	s_delay_alu instid0(VALU_DEP_1) | instskip(SKIP_3) | instid1(SALU_CYCLE_1)
	v_dual_mov_b32 v0, v61 :: v_dual_mov_b32 v1, v40
	s_getpc_b64 s[0:1]
	s_add_u32 s0, s0, _ZN12_GLOBAL__N_111calc_igammaIfEET_S1_S1_@rel32@lo+4
	s_addc_u32 s1, s1, _ZN12_GLOBAL__N_111calc_igammaIfEET_S1_S1_@rel32@hi+12
	s_swappc_b64 s[30:31], s[0:1]
	v_mov_b32_e32 v57, v0
	s_cbranch_execz .LBB37_18
	s_branch .LBB37_19
.LBB37_17:
.LBB37_18:
	s_delay_alu instid0(VALU_DEP_1) | instskip(SKIP_3) | instid1(SALU_CYCLE_1)
	v_dual_mov_b32 v0, v61 :: v_dual_mov_b32 v1, v40
	s_getpc_b64 s[0:1]
	s_add_u32 s0, s0, _ZN12_GLOBAL__N_112calc_igammacIfEET_S1_S1_@rel32@lo+4
	s_addc_u32 s1, s1, _ZN12_GLOBAL__N_112calc_igammacIfEET_S1_S1_@rel32@hi+12
	s_swappc_b64 s[30:31], s[0:1]
	v_mov_b32_e32 v57, v0
.LBB37_19:
	s_waitcnt vmcnt(13)
	v_cvt_f32_f16_e32 v40, v108
	s_and_b32 vcc_lo, exec_lo, s39
	s_cbranch_vccnz .LBB37_21
; %bb.20:
	s_delay_alu instid0(VALU_DEP_1) | instskip(SKIP_3) | instid1(SALU_CYCLE_1)
	v_dual_mov_b32 v0, v66 :: v_dual_mov_b32 v1, v40
	s_getpc_b64 s[0:1]
	s_add_u32 s0, s0, _ZN12_GLOBAL__N_111calc_igammaIfEET_S1_S1_@rel32@lo+4
	s_addc_u32 s1, s1, _ZN12_GLOBAL__N_111calc_igammaIfEET_S1_S1_@rel32@hi+12
	s_swappc_b64 s[30:31], s[0:1]
	v_mov_b32_e32 v60, v0
	s_cbranch_execz .LBB37_22
	s_branch .LBB37_23
.LBB37_21:
                                        ; implicit-def: $vgpr60
.LBB37_22:
	s_delay_alu instid0(VALU_DEP_1) | instskip(SKIP_3) | instid1(SALU_CYCLE_1)
	v_dual_mov_b32 v0, v66 :: v_dual_mov_b32 v1, v40
	s_getpc_b64 s[0:1]
	s_add_u32 s0, s0, _ZN12_GLOBAL__N_112calc_igammacIfEET_S1_S1_@rel32@lo+4
	s_addc_u32 s1, s1, _ZN12_GLOBAL__N_112calc_igammacIfEET_S1_S1_@rel32@hi+12
	s_swappc_b64 s[30:31], s[0:1]
	v_mov_b32_e32 v60, v0
.LBB37_23:
	v_lshrrev_b32_e32 v0, 16, v108
	s_and_b32 vcc_lo, exec_lo, s39
	s_delay_alu instid0(VALU_DEP_1)
	v_cvt_f32_f16_e32 v40, v0
	s_cbranch_vccnz .LBB37_25
; %bb.24:
	s_delay_alu instid0(VALU_DEP_1) | instskip(SKIP_3) | instid1(SALU_CYCLE_1)
	v_dual_mov_b32 v0, v67 :: v_dual_mov_b32 v1, v40
	s_getpc_b64 s[0:1]
	s_add_u32 s0, s0, _ZN12_GLOBAL__N_111calc_igammaIfEET_S1_S1_@rel32@lo+4
	s_addc_u32 s1, s1, _ZN12_GLOBAL__N_111calc_igammaIfEET_S1_S1_@rel32@hi+12
	s_swappc_b64 s[30:31], s[0:1]
	v_mov_b32_e32 v61, v0
	s_cbranch_execz .LBB37_26
	s_branch .LBB37_27
.LBB37_25:
.LBB37_26:
	s_delay_alu instid0(VALU_DEP_1) | instskip(SKIP_3) | instid1(SALU_CYCLE_1)
	v_dual_mov_b32 v0, v67 :: v_dual_mov_b32 v1, v40
	s_getpc_b64 s[0:1]
	s_add_u32 s0, s0, _ZN12_GLOBAL__N_112calc_igammacIfEET_S1_S1_@rel32@lo+4
	s_addc_u32 s1, s1, _ZN12_GLOBAL__N_112calc_igammacIfEET_S1_S1_@rel32@hi+12
	s_swappc_b64 s[30:31], s[0:1]
	v_mov_b32_e32 v61, v0
.LBB37_27:
	s_waitcnt vmcnt(12)
	v_cvt_f32_f16_e32 v40, v107
	s_and_b32 vcc_lo, exec_lo, s39
	s_cbranch_vccnz .LBB37_29
; %bb.28:
	s_delay_alu instid0(VALU_DEP_1) | instskip(SKIP_3) | instid1(SALU_CYCLE_1)
	v_dual_mov_b32 v0, v70 :: v_dual_mov_b32 v1, v40
	s_getpc_b64 s[0:1]
	s_add_u32 s0, s0, _ZN12_GLOBAL__N_111calc_igammaIfEET_S1_S1_@rel32@lo+4
	s_addc_u32 s1, s1, _ZN12_GLOBAL__N_111calc_igammaIfEET_S1_S1_@rel32@hi+12
	s_swappc_b64 s[30:31], s[0:1]
	v_mov_b32_e32 v66, v0
	s_cbranch_execz .LBB37_30
	s_branch .LBB37_31
.LBB37_29:
                                        ; implicit-def: $vgpr66
.LBB37_30:
	s_delay_alu instid0(VALU_DEP_1) | instskip(SKIP_3) | instid1(SALU_CYCLE_1)
	v_dual_mov_b32 v0, v70 :: v_dual_mov_b32 v1, v40
	s_getpc_b64 s[0:1]
	s_add_u32 s0, s0, _ZN12_GLOBAL__N_112calc_igammacIfEET_S1_S1_@rel32@lo+4
	s_addc_u32 s1, s1, _ZN12_GLOBAL__N_112calc_igammacIfEET_S1_S1_@rel32@hi+12
	s_swappc_b64 s[30:31], s[0:1]
	v_mov_b32_e32 v66, v0
.LBB37_31:
	v_lshrrev_b32_e32 v0, 16, v107
	s_and_b32 vcc_lo, exec_lo, s39
	s_delay_alu instid0(VALU_DEP_1)
	v_cvt_f32_f16_e32 v40, v0
	s_cbranch_vccnz .LBB37_33
; %bb.32:
	s_delay_alu instid0(VALU_DEP_1) | instskip(SKIP_3) | instid1(SALU_CYCLE_1)
	v_dual_mov_b32 v0, v71 :: v_dual_mov_b32 v1, v40
	s_getpc_b64 s[0:1]
	s_add_u32 s0, s0, _ZN12_GLOBAL__N_111calc_igammaIfEET_S1_S1_@rel32@lo+4
	s_addc_u32 s1, s1, _ZN12_GLOBAL__N_111calc_igammaIfEET_S1_S1_@rel32@hi+12
	s_swappc_b64 s[30:31], s[0:1]
	v_mov_b32_e32 v67, v0
	s_cbranch_execz .LBB37_34
	s_branch .LBB37_35
.LBB37_33:
.LBB37_34:
	s_delay_alu instid0(VALU_DEP_1) | instskip(SKIP_3) | instid1(SALU_CYCLE_1)
	v_dual_mov_b32 v0, v71 :: v_dual_mov_b32 v1, v40
	s_getpc_b64 s[0:1]
	s_add_u32 s0, s0, _ZN12_GLOBAL__N_112calc_igammacIfEET_S1_S1_@rel32@lo+4
	s_addc_u32 s1, s1, _ZN12_GLOBAL__N_112calc_igammacIfEET_S1_S1_@rel32@hi+12
	s_swappc_b64 s[30:31], s[0:1]
	v_mov_b32_e32 v67, v0
.LBB37_35:
	s_waitcnt vmcnt(11)
	v_cvt_f32_f16_e32 v40, v106
	s_and_b32 vcc_lo, exec_lo, s39
	s_cbranch_vccnz .LBB37_37
; %bb.36:
	s_delay_alu instid0(VALU_DEP_1) | instskip(SKIP_3) | instid1(SALU_CYCLE_1)
	v_dual_mov_b32 v0, v74 :: v_dual_mov_b32 v1, v40
	s_getpc_b64 s[0:1]
	s_add_u32 s0, s0, _ZN12_GLOBAL__N_111calc_igammaIfEET_S1_S1_@rel32@lo+4
	s_addc_u32 s1, s1, _ZN12_GLOBAL__N_111calc_igammaIfEET_S1_S1_@rel32@hi+12
	s_swappc_b64 s[30:31], s[0:1]
	v_mov_b32_e32 v70, v0
	s_cbranch_execz .LBB37_38
	s_branch .LBB37_39
.LBB37_37:
                                        ; implicit-def: $vgpr70
.LBB37_38:
	s_delay_alu instid0(VALU_DEP_1) | instskip(SKIP_3) | instid1(SALU_CYCLE_1)
	v_dual_mov_b32 v0, v74 :: v_dual_mov_b32 v1, v40
	s_getpc_b64 s[0:1]
	s_add_u32 s0, s0, _ZN12_GLOBAL__N_112calc_igammacIfEET_S1_S1_@rel32@lo+4
	s_addc_u32 s1, s1, _ZN12_GLOBAL__N_112calc_igammacIfEET_S1_S1_@rel32@hi+12
	s_swappc_b64 s[30:31], s[0:1]
	v_mov_b32_e32 v70, v0
.LBB37_39:
	v_lshrrev_b32_e32 v0, 16, v106
	s_and_b32 vcc_lo, exec_lo, s39
	s_delay_alu instid0(VALU_DEP_1)
	v_cvt_f32_f16_e32 v40, v0
	s_cbranch_vccnz .LBB37_41
; %bb.40:
	s_delay_alu instid0(VALU_DEP_1) | instskip(SKIP_3) | instid1(SALU_CYCLE_1)
	v_dual_mov_b32 v0, v75 :: v_dual_mov_b32 v1, v40
	s_getpc_b64 s[0:1]
	s_add_u32 s0, s0, _ZN12_GLOBAL__N_111calc_igammaIfEET_S1_S1_@rel32@lo+4
	s_addc_u32 s1, s1, _ZN12_GLOBAL__N_111calc_igammaIfEET_S1_S1_@rel32@hi+12
	s_swappc_b64 s[30:31], s[0:1]
	v_mov_b32_e32 v71, v0
	s_cbranch_execz .LBB37_42
	s_branch .LBB37_43
.LBB37_41:
.LBB37_42:
	s_delay_alu instid0(VALU_DEP_1) | instskip(SKIP_3) | instid1(SALU_CYCLE_1)
	v_dual_mov_b32 v0, v75 :: v_dual_mov_b32 v1, v40
	s_getpc_b64 s[0:1]
	s_add_u32 s0, s0, _ZN12_GLOBAL__N_112calc_igammacIfEET_S1_S1_@rel32@lo+4
	s_addc_u32 s1, s1, _ZN12_GLOBAL__N_112calc_igammacIfEET_S1_S1_@rel32@hi+12
	s_swappc_b64 s[30:31], s[0:1]
	v_mov_b32_e32 v71, v0
.LBB37_43:
	s_waitcnt vmcnt(10)
	v_cvt_f32_f16_e32 v40, v105
	s_and_b32 vcc_lo, exec_lo, s39
	s_cbranch_vccnz .LBB37_45
; %bb.44:
	s_delay_alu instid0(VALU_DEP_1) | instskip(SKIP_3) | instid1(SALU_CYCLE_1)
	v_dual_mov_b32 v0, v78 :: v_dual_mov_b32 v1, v40
	s_getpc_b64 s[0:1]
	s_add_u32 s0, s0, _ZN12_GLOBAL__N_111calc_igammaIfEET_S1_S1_@rel32@lo+4
	s_addc_u32 s1, s1, _ZN12_GLOBAL__N_111calc_igammaIfEET_S1_S1_@rel32@hi+12
	s_swappc_b64 s[30:31], s[0:1]
	v_mov_b32_e32 v74, v0
	s_cbranch_execz .LBB37_46
	s_branch .LBB37_47
.LBB37_45:
                                        ; implicit-def: $vgpr74
.LBB37_46:
	s_delay_alu instid0(VALU_DEP_1) | instskip(SKIP_3) | instid1(SALU_CYCLE_1)
	v_dual_mov_b32 v0, v78 :: v_dual_mov_b32 v1, v40
	s_getpc_b64 s[0:1]
	s_add_u32 s0, s0, _ZN12_GLOBAL__N_112calc_igammacIfEET_S1_S1_@rel32@lo+4
	s_addc_u32 s1, s1, _ZN12_GLOBAL__N_112calc_igammacIfEET_S1_S1_@rel32@hi+12
	s_swappc_b64 s[30:31], s[0:1]
	v_mov_b32_e32 v74, v0
.LBB37_47:
	v_lshrrev_b32_e32 v0, 16, v105
	s_and_b32 vcc_lo, exec_lo, s39
	s_delay_alu instid0(VALU_DEP_1)
	v_cvt_f32_f16_e32 v40, v0
	s_cbranch_vccnz .LBB37_49
; %bb.48:
	s_delay_alu instid0(VALU_DEP_1) | instskip(SKIP_3) | instid1(SALU_CYCLE_1)
	v_dual_mov_b32 v0, v79 :: v_dual_mov_b32 v1, v40
	s_getpc_b64 s[0:1]
	s_add_u32 s0, s0, _ZN12_GLOBAL__N_111calc_igammaIfEET_S1_S1_@rel32@lo+4
	s_addc_u32 s1, s1, _ZN12_GLOBAL__N_111calc_igammaIfEET_S1_S1_@rel32@hi+12
	s_swappc_b64 s[30:31], s[0:1]
	v_mov_b32_e32 v75, v0
	s_cbranch_execz .LBB37_50
	s_branch .LBB37_51
.LBB37_49:
.LBB37_50:
	s_delay_alu instid0(VALU_DEP_1) | instskip(SKIP_3) | instid1(SALU_CYCLE_1)
	v_dual_mov_b32 v0, v79 :: v_dual_mov_b32 v1, v40
	s_getpc_b64 s[0:1]
	s_add_u32 s0, s0, _ZN12_GLOBAL__N_112calc_igammacIfEET_S1_S1_@rel32@lo+4
	s_addc_u32 s1, s1, _ZN12_GLOBAL__N_112calc_igammacIfEET_S1_S1_@rel32@hi+12
	s_swappc_b64 s[30:31], s[0:1]
	v_mov_b32_e32 v75, v0
.LBB37_51:
	s_waitcnt vmcnt(9)
	v_cvt_f32_f16_e32 v40, v82
	s_and_b32 vcc_lo, exec_lo, s39
	s_cbranch_vccnz .LBB37_53
; %bb.52:
	s_delay_alu instid0(VALU_DEP_1) | instskip(SKIP_3) | instid1(SALU_CYCLE_1)
	v_dual_mov_b32 v0, v85 :: v_dual_mov_b32 v1, v40
	s_getpc_b64 s[0:1]
	s_add_u32 s0, s0, _ZN12_GLOBAL__N_111calc_igammaIfEET_S1_S1_@rel32@lo+4
	s_addc_u32 s1, s1, _ZN12_GLOBAL__N_111calc_igammaIfEET_S1_S1_@rel32@hi+12
	s_swappc_b64 s[30:31], s[0:1]
	v_mov_b32_e32 v78, v0
	s_cbranch_execz .LBB37_54
	s_branch .LBB37_55
.LBB37_53:
                                        ; implicit-def: $vgpr78
.LBB37_54:
	s_delay_alu instid0(VALU_DEP_1) | instskip(SKIP_3) | instid1(SALU_CYCLE_1)
	v_dual_mov_b32 v0, v85 :: v_dual_mov_b32 v1, v40
	s_getpc_b64 s[0:1]
	s_add_u32 s0, s0, _ZN12_GLOBAL__N_112calc_igammacIfEET_S1_S1_@rel32@lo+4
	s_addc_u32 s1, s1, _ZN12_GLOBAL__N_112calc_igammacIfEET_S1_S1_@rel32@hi+12
	s_swappc_b64 s[30:31], s[0:1]
	v_mov_b32_e32 v78, v0
.LBB37_55:
	v_lshrrev_b32_e32 v0, 16, v82
	s_and_b32 vcc_lo, exec_lo, s39
	s_delay_alu instid0(VALU_DEP_1)
	v_cvt_f32_f16_e32 v40, v0
	s_cbranch_vccnz .LBB37_57
; %bb.56:
	s_delay_alu instid0(VALU_DEP_1) | instskip(SKIP_3) | instid1(SALU_CYCLE_1)
	v_dual_mov_b32 v0, v86 :: v_dual_mov_b32 v1, v40
	s_getpc_b64 s[0:1]
	s_add_u32 s0, s0, _ZN12_GLOBAL__N_111calc_igammaIfEET_S1_S1_@rel32@lo+4
	s_addc_u32 s1, s1, _ZN12_GLOBAL__N_111calc_igammaIfEET_S1_S1_@rel32@hi+12
	s_swappc_b64 s[30:31], s[0:1]
	v_mov_b32_e32 v79, v0
	s_cbranch_execz .LBB37_58
	s_branch .LBB37_59
.LBB37_57:
.LBB37_58:
	s_delay_alu instid0(VALU_DEP_1) | instskip(SKIP_3) | instid1(SALU_CYCLE_1)
	v_dual_mov_b32 v0, v86 :: v_dual_mov_b32 v1, v40
	s_getpc_b64 s[0:1]
	s_add_u32 s0, s0, _ZN12_GLOBAL__N_112calc_igammacIfEET_S1_S1_@rel32@lo+4
	s_addc_u32 s1, s1, _ZN12_GLOBAL__N_112calc_igammacIfEET_S1_S1_@rel32@hi+12
	s_swappc_b64 s[30:31], s[0:1]
	v_mov_b32_e32 v79, v0
.LBB37_59:
	s_waitcnt vmcnt(8)
	v_cvt_f32_f16_e32 v40, v104
	s_and_b32 vcc_lo, exec_lo, s39
	s_cbranch_vccnz .LBB37_61
; %bb.60:
	s_delay_alu instid0(VALU_DEP_1) | instskip(SKIP_3) | instid1(SALU_CYCLE_1)
	v_dual_mov_b32 v0, v83 :: v_dual_mov_b32 v1, v40
	s_getpc_b64 s[0:1]
	s_add_u32 s0, s0, _ZN12_GLOBAL__N_111calc_igammaIfEET_S1_S1_@rel32@lo+4
	s_addc_u32 s1, s1, _ZN12_GLOBAL__N_111calc_igammaIfEET_S1_S1_@rel32@hi+12
	s_swappc_b64 s[30:31], s[0:1]
	v_mov_b32_e32 v82, v0
	s_cbranch_execz .LBB37_62
	s_branch .LBB37_63
.LBB37_61:
                                        ; implicit-def: $vgpr82
.LBB37_62:
	s_delay_alu instid0(VALU_DEP_1) | instskip(SKIP_3) | instid1(SALU_CYCLE_1)
	v_dual_mov_b32 v0, v83 :: v_dual_mov_b32 v1, v40
	s_getpc_b64 s[0:1]
	s_add_u32 s0, s0, _ZN12_GLOBAL__N_112calc_igammacIfEET_S1_S1_@rel32@lo+4
	s_addc_u32 s1, s1, _ZN12_GLOBAL__N_112calc_igammacIfEET_S1_S1_@rel32@hi+12
	s_swappc_b64 s[30:31], s[0:1]
	v_mov_b32_e32 v82, v0
.LBB37_63:
	v_lshrrev_b32_e32 v0, 16, v104
	s_and_b32 vcc_lo, exec_lo, s39
	s_delay_alu instid0(VALU_DEP_1)
	v_cvt_f32_f16_e32 v40, v0
	s_cbranch_vccnz .LBB37_65
; %bb.64:
	v_mov_b32_e32 v0, v84
	s_delay_alu instid0(VALU_DEP_2) | instskip(SKIP_3) | instid1(SALU_CYCLE_1)
	v_mov_b32_e32 v1, v40
	s_getpc_b64 s[0:1]
	s_add_u32 s0, s0, _ZN12_GLOBAL__N_111calc_igammaIfEET_S1_S1_@rel32@lo+4
	s_addc_u32 s1, s1, _ZN12_GLOBAL__N_111calc_igammaIfEET_S1_S1_@rel32@hi+12
	s_swappc_b64 s[30:31], s[0:1]
	v_mov_b32_e32 v83, v0
	s_cbranch_execz .LBB37_66
	s_branch .LBB37_67
.LBB37_65:
.LBB37_66:
	v_mov_b32_e32 v0, v84
	s_delay_alu instid0(VALU_DEP_2) | instskip(SKIP_3) | instid1(SALU_CYCLE_1)
	v_mov_b32_e32 v1, v40
	s_getpc_b64 s[0:1]
	s_add_u32 s0, s0, _ZN12_GLOBAL__N_112calc_igammacIfEET_S1_S1_@rel32@lo+4
	s_addc_u32 s1, s1, _ZN12_GLOBAL__N_112calc_igammacIfEET_S1_S1_@rel32@hi+12
	s_swappc_b64 s[30:31], s[0:1]
	v_mov_b32_e32 v83, v0
.LBB37_67:
	s_waitcnt vmcnt(7)
	v_cvt_f32_f16_e32 v40, v103
	s_and_b32 vcc_lo, exec_lo, s39
	s_cbranch_vccnz .LBB37_69
; %bb.68:
	v_mov_b32_e32 v0, v80
	s_delay_alu instid0(VALU_DEP_2) | instskip(SKIP_3) | instid1(SALU_CYCLE_1)
	v_mov_b32_e32 v1, v40
	s_getpc_b64 s[0:1]
	s_add_u32 s0, s0, _ZN12_GLOBAL__N_111calc_igammaIfEET_S1_S1_@rel32@lo+4
	s_addc_u32 s1, s1, _ZN12_GLOBAL__N_111calc_igammaIfEET_S1_S1_@rel32@hi+12
	s_swappc_b64 s[30:31], s[0:1]
	v_mov_b32_e32 v84, v0
	s_cbranch_execz .LBB37_70
	s_branch .LBB37_71
.LBB37_69:
                                        ; implicit-def: $vgpr84
.LBB37_70:
	v_mov_b32_e32 v0, v80
	s_delay_alu instid0(VALU_DEP_2) | instskip(SKIP_3) | instid1(SALU_CYCLE_1)
	v_mov_b32_e32 v1, v40
	s_getpc_b64 s[0:1]
	s_add_u32 s0, s0, _ZN12_GLOBAL__N_112calc_igammacIfEET_S1_S1_@rel32@lo+4
	s_addc_u32 s1, s1, _ZN12_GLOBAL__N_112calc_igammacIfEET_S1_S1_@rel32@hi+12
	s_swappc_b64 s[30:31], s[0:1]
	v_mov_b32_e32 v84, v0
.LBB37_71:
	v_lshrrev_b32_e32 v0, 16, v103
	s_and_b32 vcc_lo, exec_lo, s39
	s_delay_alu instid0(VALU_DEP_1)
	v_cvt_f32_f16_e32 v40, v0
	s_cbranch_vccnz .LBB37_73
; %bb.72:
	s_delay_alu instid0(VALU_DEP_1) | instskip(SKIP_3) | instid1(SALU_CYCLE_1)
	v_dual_mov_b32 v0, v81 :: v_dual_mov_b32 v1, v40
	s_getpc_b64 s[0:1]
	s_add_u32 s0, s0, _ZN12_GLOBAL__N_111calc_igammaIfEET_S1_S1_@rel32@lo+4
	s_addc_u32 s1, s1, _ZN12_GLOBAL__N_111calc_igammaIfEET_S1_S1_@rel32@hi+12
	s_swappc_b64 s[30:31], s[0:1]
	v_mov_b32_e32 v85, v0
	s_cbranch_execz .LBB37_74
	s_branch .LBB37_75
.LBB37_73:
.LBB37_74:
	s_delay_alu instid0(VALU_DEP_1) | instskip(SKIP_3) | instid1(SALU_CYCLE_1)
	v_dual_mov_b32 v0, v81 :: v_dual_mov_b32 v1, v40
	s_getpc_b64 s[0:1]
	s_add_u32 s0, s0, _ZN12_GLOBAL__N_112calc_igammacIfEET_S1_S1_@rel32@lo+4
	s_addc_u32 s1, s1, _ZN12_GLOBAL__N_112calc_igammacIfEET_S1_S1_@rel32@hi+12
	s_swappc_b64 s[30:31], s[0:1]
	v_mov_b32_e32 v85, v0
.LBB37_75:
	s_waitcnt vmcnt(6)
	v_cvt_f32_f16_e32 v40, v102
	s_and_b32 vcc_lo, exec_lo, s39
	s_cbranch_vccnz .LBB37_77
; %bb.76:
	v_mov_b32_e32 v0, v76
	s_delay_alu instid0(VALU_DEP_2) | instskip(SKIP_3) | instid1(SALU_CYCLE_1)
	v_mov_b32_e32 v1, v40
	s_getpc_b64 s[0:1]
	s_add_u32 s0, s0, _ZN12_GLOBAL__N_111calc_igammaIfEET_S1_S1_@rel32@lo+4
	s_addc_u32 s1, s1, _ZN12_GLOBAL__N_111calc_igammaIfEET_S1_S1_@rel32@hi+12
	s_swappc_b64 s[30:31], s[0:1]
	v_mov_b32_e32 v80, v0
	s_cbranch_execz .LBB37_78
	s_branch .LBB37_79
.LBB37_77:
                                        ; implicit-def: $vgpr80
.LBB37_78:
	v_mov_b32_e32 v0, v76
	s_delay_alu instid0(VALU_DEP_2) | instskip(SKIP_3) | instid1(SALU_CYCLE_1)
	v_mov_b32_e32 v1, v40
	s_getpc_b64 s[0:1]
	s_add_u32 s0, s0, _ZN12_GLOBAL__N_112calc_igammacIfEET_S1_S1_@rel32@lo+4
	s_addc_u32 s1, s1, _ZN12_GLOBAL__N_112calc_igammacIfEET_S1_S1_@rel32@hi+12
	s_swappc_b64 s[30:31], s[0:1]
	v_mov_b32_e32 v80, v0
.LBB37_79:
	v_lshrrev_b32_e32 v0, 16, v102
	s_and_b32 vcc_lo, exec_lo, s39
	s_delay_alu instid0(VALU_DEP_1)
	v_cvt_f32_f16_e32 v40, v0
	s_cbranch_vccnz .LBB37_81
; %bb.80:
	s_delay_alu instid0(VALU_DEP_1) | instskip(SKIP_3) | instid1(SALU_CYCLE_1)
	v_dual_mov_b32 v0, v77 :: v_dual_mov_b32 v1, v40
	s_getpc_b64 s[0:1]
	s_add_u32 s0, s0, _ZN12_GLOBAL__N_111calc_igammaIfEET_S1_S1_@rel32@lo+4
	s_addc_u32 s1, s1, _ZN12_GLOBAL__N_111calc_igammaIfEET_S1_S1_@rel32@hi+12
	s_swappc_b64 s[30:31], s[0:1]
	v_mov_b32_e32 v81, v0
	s_cbranch_execz .LBB37_82
	s_branch .LBB37_83
.LBB37_81:
.LBB37_82:
	s_delay_alu instid0(VALU_DEP_1) | instskip(SKIP_3) | instid1(SALU_CYCLE_1)
	v_dual_mov_b32 v0, v77 :: v_dual_mov_b32 v1, v40
	s_getpc_b64 s[0:1]
	s_add_u32 s0, s0, _ZN12_GLOBAL__N_112calc_igammacIfEET_S1_S1_@rel32@lo+4
	s_addc_u32 s1, s1, _ZN12_GLOBAL__N_112calc_igammacIfEET_S1_S1_@rel32@hi+12
	s_swappc_b64 s[30:31], s[0:1]
	v_mov_b32_e32 v81, v0
.LBB37_83:
	s_waitcnt vmcnt(5)
	v_cvt_f32_f16_e32 v40, v101
	s_and_b32 vcc_lo, exec_lo, s39
	s_cbranch_vccnz .LBB37_85
; %bb.84:
	v_mov_b32_e32 v0, v72
	s_delay_alu instid0(VALU_DEP_2) | instskip(SKIP_3) | instid1(SALU_CYCLE_1)
	v_mov_b32_e32 v1, v40
	s_getpc_b64 s[0:1]
	s_add_u32 s0, s0, _ZN12_GLOBAL__N_111calc_igammaIfEET_S1_S1_@rel32@lo+4
	s_addc_u32 s1, s1, _ZN12_GLOBAL__N_111calc_igammaIfEET_S1_S1_@rel32@hi+12
	s_swappc_b64 s[30:31], s[0:1]
	v_mov_b32_e32 v76, v0
	s_cbranch_execz .LBB37_86
	s_branch .LBB37_87
.LBB37_85:
                                        ; implicit-def: $vgpr76
.LBB37_86:
	v_mov_b32_e32 v0, v72
	s_delay_alu instid0(VALU_DEP_2) | instskip(SKIP_3) | instid1(SALU_CYCLE_1)
	v_mov_b32_e32 v1, v40
	s_getpc_b64 s[0:1]
	s_add_u32 s0, s0, _ZN12_GLOBAL__N_112calc_igammacIfEET_S1_S1_@rel32@lo+4
	s_addc_u32 s1, s1, _ZN12_GLOBAL__N_112calc_igammacIfEET_S1_S1_@rel32@hi+12
	s_swappc_b64 s[30:31], s[0:1]
	v_mov_b32_e32 v76, v0
.LBB37_87:
	v_lshrrev_b32_e32 v0, 16, v101
	s_and_b32 vcc_lo, exec_lo, s39
	s_delay_alu instid0(VALU_DEP_1)
	v_cvt_f32_f16_e32 v40, v0
	s_cbranch_vccnz .LBB37_89
; %bb.88:
	s_delay_alu instid0(VALU_DEP_1) | instskip(SKIP_3) | instid1(SALU_CYCLE_1)
	v_dual_mov_b32 v0, v73 :: v_dual_mov_b32 v1, v40
	s_getpc_b64 s[0:1]
	s_add_u32 s0, s0, _ZN12_GLOBAL__N_111calc_igammaIfEET_S1_S1_@rel32@lo+4
	s_addc_u32 s1, s1, _ZN12_GLOBAL__N_111calc_igammaIfEET_S1_S1_@rel32@hi+12
	s_swappc_b64 s[30:31], s[0:1]
	v_mov_b32_e32 v77, v0
	s_cbranch_execz .LBB37_90
	s_branch .LBB37_91
.LBB37_89:
.LBB37_90:
	s_delay_alu instid0(VALU_DEP_1) | instskip(SKIP_3) | instid1(SALU_CYCLE_1)
	v_dual_mov_b32 v0, v73 :: v_dual_mov_b32 v1, v40
	s_getpc_b64 s[0:1]
	s_add_u32 s0, s0, _ZN12_GLOBAL__N_112calc_igammacIfEET_S1_S1_@rel32@lo+4
	s_addc_u32 s1, s1, _ZN12_GLOBAL__N_112calc_igammacIfEET_S1_S1_@rel32@hi+12
	s_swappc_b64 s[30:31], s[0:1]
	v_mov_b32_e32 v77, v0
.LBB37_91:
	s_waitcnt vmcnt(4)
	v_cvt_f32_f16_e32 v40, v100
	s_and_b32 vcc_lo, exec_lo, s39
	s_cbranch_vccnz .LBB37_93
; %bb.92:
	v_mov_b32_e32 v0, v68
	s_delay_alu instid0(VALU_DEP_2) | instskip(SKIP_3) | instid1(SALU_CYCLE_1)
	v_mov_b32_e32 v1, v40
	s_getpc_b64 s[0:1]
	s_add_u32 s0, s0, _ZN12_GLOBAL__N_111calc_igammaIfEET_S1_S1_@rel32@lo+4
	s_addc_u32 s1, s1, _ZN12_GLOBAL__N_111calc_igammaIfEET_S1_S1_@rel32@hi+12
	s_swappc_b64 s[30:31], s[0:1]
	v_mov_b32_e32 v72, v0
	s_cbranch_execz .LBB37_94
	s_branch .LBB37_95
.LBB37_93:
                                        ; implicit-def: $vgpr72
.LBB37_94:
	v_mov_b32_e32 v0, v68
	s_delay_alu instid0(VALU_DEP_2) | instskip(SKIP_3) | instid1(SALU_CYCLE_1)
	v_mov_b32_e32 v1, v40
	s_getpc_b64 s[0:1]
	s_add_u32 s0, s0, _ZN12_GLOBAL__N_112calc_igammacIfEET_S1_S1_@rel32@lo+4
	s_addc_u32 s1, s1, _ZN12_GLOBAL__N_112calc_igammacIfEET_S1_S1_@rel32@hi+12
	s_swappc_b64 s[30:31], s[0:1]
	v_mov_b32_e32 v72, v0
.LBB37_95:
	v_lshrrev_b32_e32 v0, 16, v100
	s_and_b32 vcc_lo, exec_lo, s39
	s_delay_alu instid0(VALU_DEP_1)
	v_cvt_f32_f16_e32 v40, v0
	s_cbranch_vccnz .LBB37_97
; %bb.96:
	s_delay_alu instid0(VALU_DEP_1) | instskip(SKIP_3) | instid1(SALU_CYCLE_1)
	v_dual_mov_b32 v0, v69 :: v_dual_mov_b32 v1, v40
	s_getpc_b64 s[0:1]
	s_add_u32 s0, s0, _ZN12_GLOBAL__N_111calc_igammaIfEET_S1_S1_@rel32@lo+4
	s_addc_u32 s1, s1, _ZN12_GLOBAL__N_111calc_igammaIfEET_S1_S1_@rel32@hi+12
	s_swappc_b64 s[30:31], s[0:1]
	v_mov_b32_e32 v73, v0
	s_cbranch_execz .LBB37_98
	s_branch .LBB37_99
.LBB37_97:
.LBB37_98:
	s_delay_alu instid0(VALU_DEP_1) | instskip(SKIP_3) | instid1(SALU_CYCLE_1)
	v_dual_mov_b32 v0, v69 :: v_dual_mov_b32 v1, v40
	s_getpc_b64 s[0:1]
	s_add_u32 s0, s0, _ZN12_GLOBAL__N_112calc_igammacIfEET_S1_S1_@rel32@lo+4
	s_addc_u32 s1, s1, _ZN12_GLOBAL__N_112calc_igammacIfEET_S1_S1_@rel32@hi+12
	s_swappc_b64 s[30:31], s[0:1]
	v_mov_b32_e32 v73, v0
.LBB37_99:
	s_waitcnt vmcnt(3)
	v_cvt_f32_f16_e32 v40, v99
	s_and_b32 vcc_lo, exec_lo, s39
	s_cbranch_vccnz .LBB37_101
; %bb.100:
	s_delay_alu instid0(VALU_DEP_1) | instskip(SKIP_3) | instid1(SALU_CYCLE_1)
	v_dual_mov_b32 v0, v62 :: v_dual_mov_b32 v1, v40
	s_getpc_b64 s[0:1]
	s_add_u32 s0, s0, _ZN12_GLOBAL__N_111calc_igammaIfEET_S1_S1_@rel32@lo+4
	s_addc_u32 s1, s1, _ZN12_GLOBAL__N_111calc_igammaIfEET_S1_S1_@rel32@hi+12
	s_swappc_b64 s[30:31], s[0:1]
	v_mov_b32_e32 v68, v0
	s_cbranch_execz .LBB37_102
	s_branch .LBB37_103
.LBB37_101:
                                        ; implicit-def: $vgpr68
.LBB37_102:
	s_delay_alu instid0(VALU_DEP_1) | instskip(SKIP_3) | instid1(SALU_CYCLE_1)
	v_dual_mov_b32 v0, v62 :: v_dual_mov_b32 v1, v40
	s_getpc_b64 s[0:1]
	s_add_u32 s0, s0, _ZN12_GLOBAL__N_112calc_igammacIfEET_S1_S1_@rel32@lo+4
	s_addc_u32 s1, s1, _ZN12_GLOBAL__N_112calc_igammacIfEET_S1_S1_@rel32@hi+12
	s_swappc_b64 s[30:31], s[0:1]
	v_mov_b32_e32 v68, v0
.LBB37_103:
	v_lshrrev_b32_e32 v0, 16, v99
	s_and_b32 vcc_lo, exec_lo, s39
	s_delay_alu instid0(VALU_DEP_1)
	v_cvt_f32_f16_e32 v40, v0
	s_cbranch_vccnz .LBB37_105
; %bb.104:
	s_delay_alu instid0(VALU_DEP_1) | instskip(SKIP_3) | instid1(SALU_CYCLE_1)
	v_dual_mov_b32 v0, v63 :: v_dual_mov_b32 v1, v40
	s_getpc_b64 s[0:1]
	s_add_u32 s0, s0, _ZN12_GLOBAL__N_111calc_igammaIfEET_S1_S1_@rel32@lo+4
	s_addc_u32 s1, s1, _ZN12_GLOBAL__N_111calc_igammaIfEET_S1_S1_@rel32@hi+12
	s_swappc_b64 s[30:31], s[0:1]
	v_mov_b32_e32 v69, v0
	s_cbranch_execz .LBB37_106
	s_branch .LBB37_107
.LBB37_105:
.LBB37_106:
	s_delay_alu instid0(VALU_DEP_1) | instskip(SKIP_3) | instid1(SALU_CYCLE_1)
	v_dual_mov_b32 v0, v63 :: v_dual_mov_b32 v1, v40
	s_getpc_b64 s[0:1]
	s_add_u32 s0, s0, _ZN12_GLOBAL__N_112calc_igammacIfEET_S1_S1_@rel32@lo+4
	s_addc_u32 s1, s1, _ZN12_GLOBAL__N_112calc_igammacIfEET_S1_S1_@rel32@hi+12
	s_swappc_b64 s[30:31], s[0:1]
	v_mov_b32_e32 v69, v0
.LBB37_107:
	s_waitcnt vmcnt(2)
	v_cvt_f32_f16_e32 v40, v98
	s_and_b32 vcc_lo, exec_lo, s39
	s_cbranch_vccnz .LBB37_109
; %bb.108:
	s_delay_alu instid0(VALU_DEP_1) | instskip(SKIP_3) | instid1(SALU_CYCLE_1)
	v_dual_mov_b32 v0, v58 :: v_dual_mov_b32 v1, v40
	s_getpc_b64 s[0:1]
	s_add_u32 s0, s0, _ZN12_GLOBAL__N_111calc_igammaIfEET_S1_S1_@rel32@lo+4
	s_addc_u32 s1, s1, _ZN12_GLOBAL__N_111calc_igammaIfEET_S1_S1_@rel32@hi+12
	s_swappc_b64 s[30:31], s[0:1]
	v_mov_b32_e32 v62, v0
	s_cbranch_execz .LBB37_110
	s_branch .LBB37_111
.LBB37_109:
                                        ; implicit-def: $vgpr62
.LBB37_110:
	s_delay_alu instid0(VALU_DEP_1) | instskip(SKIP_3) | instid1(SALU_CYCLE_1)
	v_dual_mov_b32 v0, v58 :: v_dual_mov_b32 v1, v40
	s_getpc_b64 s[0:1]
	s_add_u32 s0, s0, _ZN12_GLOBAL__N_112calc_igammacIfEET_S1_S1_@rel32@lo+4
	s_addc_u32 s1, s1, _ZN12_GLOBAL__N_112calc_igammacIfEET_S1_S1_@rel32@hi+12
	s_swappc_b64 s[30:31], s[0:1]
	v_mov_b32_e32 v62, v0
.LBB37_111:
	v_lshrrev_b32_e32 v0, 16, v98
	s_and_b32 vcc_lo, exec_lo, s39
	s_delay_alu instid0(VALU_DEP_1)
	v_cvt_f32_f16_e32 v40, v0
	s_cbranch_vccnz .LBB37_113
; %bb.112:
	s_delay_alu instid0(VALU_DEP_1) | instskip(SKIP_3) | instid1(SALU_CYCLE_1)
	v_dual_mov_b32 v0, v59 :: v_dual_mov_b32 v1, v40
	s_getpc_b64 s[0:1]
	s_add_u32 s0, s0, _ZN12_GLOBAL__N_111calc_igammaIfEET_S1_S1_@rel32@lo+4
	s_addc_u32 s1, s1, _ZN12_GLOBAL__N_111calc_igammaIfEET_S1_S1_@rel32@hi+12
	s_swappc_b64 s[30:31], s[0:1]
	v_mov_b32_e32 v63, v0
	s_cbranch_execz .LBB37_114
	s_branch .LBB37_115
.LBB37_113:
.LBB37_114:
	s_delay_alu instid0(VALU_DEP_1) | instskip(SKIP_3) | instid1(SALU_CYCLE_1)
	v_dual_mov_b32 v0, v59 :: v_dual_mov_b32 v1, v40
	s_getpc_b64 s[0:1]
	s_add_u32 s0, s0, _ZN12_GLOBAL__N_112calc_igammacIfEET_S1_S1_@rel32@lo+4
	s_addc_u32 s1, s1, _ZN12_GLOBAL__N_112calc_igammacIfEET_S1_S1_@rel32@hi+12
	s_swappc_b64 s[30:31], s[0:1]
	v_mov_b32_e32 v63, v0
.LBB37_115:
	s_waitcnt vmcnt(1)
	v_cvt_f32_f16_e32 v40, v97
	s_and_b32 vcc_lo, exec_lo, s39
	s_cbranch_vccnz .LBB37_117
; %bb.116:
	s_delay_alu instid0(VALU_DEP_1) | instskip(SKIP_3) | instid1(SALU_CYCLE_1)
	v_dual_mov_b32 v0, v46 :: v_dual_mov_b32 v1, v40
	s_getpc_b64 s[0:1]
	s_add_u32 s0, s0, _ZN12_GLOBAL__N_111calc_igammaIfEET_S1_S1_@rel32@lo+4
	s_addc_u32 s1, s1, _ZN12_GLOBAL__N_111calc_igammaIfEET_S1_S1_@rel32@hi+12
	s_swappc_b64 s[30:31], s[0:1]
	v_mov_b32_e32 v58, v0
	s_cbranch_execz .LBB37_118
	s_branch .LBB37_119
.LBB37_117:
                                        ; implicit-def: $vgpr58
.LBB37_118:
	s_delay_alu instid0(VALU_DEP_1) | instskip(SKIP_3) | instid1(SALU_CYCLE_1)
	v_dual_mov_b32 v0, v46 :: v_dual_mov_b32 v1, v40
	s_getpc_b64 s[0:1]
	s_add_u32 s0, s0, _ZN12_GLOBAL__N_112calc_igammacIfEET_S1_S1_@rel32@lo+4
	s_addc_u32 s1, s1, _ZN12_GLOBAL__N_112calc_igammacIfEET_S1_S1_@rel32@hi+12
	s_swappc_b64 s[30:31], s[0:1]
	v_mov_b32_e32 v58, v0
.LBB37_119:
	v_lshrrev_b32_e32 v0, 16, v97
	s_and_b32 vcc_lo, exec_lo, s39
	s_delay_alu instid0(VALU_DEP_1)
	v_cvt_f32_f16_e32 v40, v0
	s_cbranch_vccnz .LBB37_121
; %bb.120:
	s_delay_alu instid0(VALU_DEP_1) | instskip(SKIP_3) | instid1(SALU_CYCLE_1)
	v_dual_mov_b32 v0, v47 :: v_dual_mov_b32 v1, v40
	s_getpc_b64 s[0:1]
	s_add_u32 s0, s0, _ZN12_GLOBAL__N_111calc_igammaIfEET_S1_S1_@rel32@lo+4
	s_addc_u32 s1, s1, _ZN12_GLOBAL__N_111calc_igammaIfEET_S1_S1_@rel32@hi+12
	s_swappc_b64 s[30:31], s[0:1]
	v_mov_b32_e32 v59, v0
	s_cbranch_execz .LBB37_122
	s_branch .LBB37_123
.LBB37_121:
.LBB37_122:
	s_delay_alu instid0(VALU_DEP_1) | instskip(SKIP_3) | instid1(SALU_CYCLE_1)
	v_dual_mov_b32 v0, v47 :: v_dual_mov_b32 v1, v40
	s_getpc_b64 s[0:1]
	s_add_u32 s0, s0, _ZN12_GLOBAL__N_112calc_igammacIfEET_S1_S1_@rel32@lo+4
	s_addc_u32 s1, s1, _ZN12_GLOBAL__N_112calc_igammacIfEET_S1_S1_@rel32@hi+12
	s_swappc_b64 s[30:31], s[0:1]
	v_mov_b32_e32 v59, v0
.LBB37_123:
	s_waitcnt vmcnt(0)
	v_cvt_f32_f16_e32 v40, v96
	s_and_b32 vcc_lo, exec_lo, s39
	s_cbranch_vccnz .LBB37_125
; %bb.124:
	s_delay_alu instid0(VALU_DEP_1) | instskip(SKIP_3) | instid1(SALU_CYCLE_1)
	v_dual_mov_b32 v0, v42 :: v_dual_mov_b32 v1, v40
	s_getpc_b64 s[0:1]
	s_add_u32 s0, s0, _ZN12_GLOBAL__N_111calc_igammaIfEET_S1_S1_@rel32@lo+4
	s_addc_u32 s1, s1, _ZN12_GLOBAL__N_111calc_igammaIfEET_S1_S1_@rel32@hi+12
	s_swappc_b64 s[30:31], s[0:1]
	v_mov_b32_e32 v46, v0
	s_cbranch_execz .LBB37_126
	s_branch .LBB37_127
.LBB37_125:
                                        ; implicit-def: $vgpr46
.LBB37_126:
	s_delay_alu instid0(VALU_DEP_1) | instskip(SKIP_3) | instid1(SALU_CYCLE_1)
	v_dual_mov_b32 v0, v42 :: v_dual_mov_b32 v1, v40
	s_getpc_b64 s[0:1]
	s_add_u32 s0, s0, _ZN12_GLOBAL__N_112calc_igammacIfEET_S1_S1_@rel32@lo+4
	s_addc_u32 s1, s1, _ZN12_GLOBAL__N_112calc_igammacIfEET_S1_S1_@rel32@hi+12
	s_swappc_b64 s[30:31], s[0:1]
	v_mov_b32_e32 v46, v0
.LBB37_127:
	v_lshrrev_b32_e32 v0, 16, v96
	s_and_b32 vcc_lo, exec_lo, s39
	s_delay_alu instid0(VALU_DEP_1)
	v_cvt_f32_f16_e32 v40, v0
	s_cbranch_vccnz .LBB37_129
; %bb.128:
	s_delay_alu instid0(VALU_DEP_1) | instskip(SKIP_3) | instid1(SALU_CYCLE_1)
	v_dual_mov_b32 v0, v43 :: v_dual_mov_b32 v1, v40
	s_getpc_b64 s[0:1]
	s_add_u32 s0, s0, _ZN12_GLOBAL__N_111calc_igammaIfEET_S1_S1_@rel32@lo+4
	s_addc_u32 s1, s1, _ZN12_GLOBAL__N_111calc_igammaIfEET_S1_S1_@rel32@hi+12
	s_swappc_b64 s[30:31], s[0:1]
	v_mov_b32_e32 v47, v0
	s_cbranch_execz .LBB37_130
	s_branch .LBB37_131
.LBB37_129:
.LBB37_130:
	s_delay_alu instid0(VALU_DEP_1) | instskip(SKIP_3) | instid1(SALU_CYCLE_1)
	v_dual_mov_b32 v0, v43 :: v_dual_mov_b32 v1, v40
	s_getpc_b64 s[0:1]
	s_add_u32 s0, s0, _ZN12_GLOBAL__N_112calc_igammacIfEET_S1_S1_@rel32@lo+4
	s_addc_u32 s1, s1, _ZN12_GLOBAL__N_112calc_igammacIfEET_S1_S1_@rel32@hi+12
	s_swappc_b64 s[30:31], s[0:1]
	v_mov_b32_e32 v47, v0
.LBB37_131:
	s_add_u32 s2, s40, s46
	s_addc_u32 s3, s41, s47
	v_add_co_u32 v8, s0, s2, v88
	s_delay_alu instid0(VALU_DEP_1) | instskip(NEXT) | instid1(VALU_DEP_2)
	v_add_co_ci_u32_e64 v9, null, s3, 0, s0
	v_add_co_u32 v0, vcc_lo, 0x1000, v8
	s_delay_alu instid0(VALU_DEP_2)
	v_add_co_ci_u32_e32 v1, vcc_lo, 0, v9, vcc_lo
	v_add_co_u32 v2, vcc_lo, 0x3000, v8
	v_add_co_ci_u32_e32 v3, vcc_lo, 0, v9, vcc_lo
	v_add_co_u32 v4, vcc_lo, 0x5000, v8
	;; [unrolled: 2-line block ×3, first 2 shown]
	v_add_co_ci_u32_e32 v7, vcc_lo, 0, v9, vcc_lo
	s_clause 0x7
	global_store_b64 v88, v[44:45], s[2:3]
	global_store_b64 v91, v[60:61], s[2:3]
	;; [unrolled: 1-line block ×4, first 2 shown]
	global_store_b64 v[0:1], v[56:57], off
	global_store_b64 v[2:3], v[66:67], off
	;; [unrolled: 1-line block ×4, first 2 shown]
	v_add_co_u32 v0, vcc_lo, 0x9000, v8
	v_add_co_ci_u32_e32 v1, vcc_lo, 0, v9, vcc_lo
	v_add_co_u32 v2, vcc_lo, 0xb000, v8
	v_add_co_ci_u32_e32 v3, vcc_lo, 0, v9, vcc_lo
	;; [unrolled: 2-line block ×4, first 2 shown]
	s_clause 0x7
	global_store_b64 v89, v[84:85], s[2:3]
	global_store_b64 v90, v[76:77], s[2:3]
	global_store_b64 v92, v[68:69], s[2:3]
	global_store_b64 v94, v[58:59], s[2:3]
	global_store_b64 v[0:1], v[80:81], off
	global_store_b64 v[2:3], v[72:73], off
	;; [unrolled: 1-line block ×4, first 2 shown]
	s_branch .LBB37_2
.LBB37_132:
	s_clause 0x1
	s_load_b32 s6, s[36:37], 0x24
	s_load_b128 s[0:3], s[36:37], 0x28
	v_cndmask_b32_e64 v0, 0, 1, s49
	v_dual_mov_b32 v31, v87 :: v_dual_mov_b32 v2, s41
	v_dual_mov_b32 v1, s40 :: v_dual_mov_b32 v4, s43
	;; [unrolled: 1-line block ×3, first 2 shown]
	v_mov_b32_e32 v5, s44
	v_mov_b32_e32 v7, s48
	s_add_u32 s8, s36, 56
	s_addc_u32 s9, s37, 0
	s_mov_b32 s12, s38
	s_getpc_b64 s[4:5]
	s_add_u32 s4, s4, _ZN2at6native25elementwise_kernel_helperILb1EN12_GLOBAL__N_110CalcIgammaIfEENS0_6memory8policies11unroll_baseILi512ESt5arrayIPcLm3EE23TrivialOffsetCalculatorILi2EjESB_ILi1EjENS5_12LoadWithCastILi2EEENS5_13StoreWithCastILi1EEELi32ELi1EEEEEvT0_T1_@rel32@lo+4
	s_addc_u32 s5, s5, _ZN2at6native25elementwise_kernel_helperILb1EN12_GLOBAL__N_110CalcIgammaIfEENS0_6memory8policies11unroll_baseILi512ESt5arrayIPcLm3EE23TrivialOffsetCalculatorILi2EjESB_ILi1EjENS5_12LoadWithCastILi2EEENS5_13StoreWithCastILi1EEELi32ELi1EEEEEvT0_T1_@rel32@hi+12
	s_waitcnt lgkmcnt(0)
	v_lshrrev_b16 v9, 8, s6
	v_mov_b32_e32 v10, s0
	v_dual_mov_b32 v8, s6 :: v_dual_mov_b32 v11, s1
	v_dual_mov_b32 v12, s2 :: v_dual_mov_b32 v13, s3
	s_swappc_b64 s[30:31], s[4:5]
	s_endpgm
	.section	.rodata,"a",@progbits
	.p2align	6, 0x0
	.amdhsa_kernel _ZN2at6native39vectorized_templated_elementwise_kernelILi2EN12_GLOBAL__N_110CalcIgammaIfEESt5arrayIPcLm3EE23TrivialOffsetCalculatorILi2EjES8_ILi1EjENS0_6memory12LoadWithCastILi2EEENSB_13StoreWithCastILi1EEEfJfN3c104HalfEEEEviT0_T1_T2_T3_T4_T5_
		.amdhsa_group_segment_fixed_size 0
		.amdhsa_private_segment_fixed_size 448
		.amdhsa_kernarg_size 312
		.amdhsa_user_sgpr_count 15
		.amdhsa_user_sgpr_dispatch_ptr 0
		.amdhsa_user_sgpr_queue_ptr 0
		.amdhsa_user_sgpr_kernarg_segment_ptr 1
		.amdhsa_user_sgpr_dispatch_id 0
		.amdhsa_user_sgpr_private_segment_size 0
		.amdhsa_wavefront_size32 1
		.amdhsa_uses_dynamic_stack 0
		.amdhsa_enable_private_segment 1
		.amdhsa_system_sgpr_workgroup_id_x 1
		.amdhsa_system_sgpr_workgroup_id_y 0
		.amdhsa_system_sgpr_workgroup_id_z 0
		.amdhsa_system_sgpr_workgroup_info 0
		.amdhsa_system_vgpr_workitem_id 0
		.amdhsa_next_free_vgpr 147
		.amdhsa_next_free_sgpr 77
		.amdhsa_reserve_vcc 1
		.amdhsa_float_round_mode_32 0
		.amdhsa_float_round_mode_16_64 0
		.amdhsa_float_denorm_mode_32 3
		.amdhsa_float_denorm_mode_16_64 3
		.amdhsa_dx10_clamp 1
		.amdhsa_ieee_mode 1
		.amdhsa_fp16_overflow 0
		.amdhsa_workgroup_processor_mode 1
		.amdhsa_memory_ordered 1
		.amdhsa_forward_progress 0
		.amdhsa_shared_vgpr_count 0
		.amdhsa_exception_fp_ieee_invalid_op 0
		.amdhsa_exception_fp_denorm_src 0
		.amdhsa_exception_fp_ieee_div_zero 0
		.amdhsa_exception_fp_ieee_overflow 0
		.amdhsa_exception_fp_ieee_underflow 0
		.amdhsa_exception_fp_ieee_inexact 0
		.amdhsa_exception_int_div_zero 0
	.end_amdhsa_kernel
	.section	.text._ZN2at6native39vectorized_templated_elementwise_kernelILi2EN12_GLOBAL__N_110CalcIgammaIfEESt5arrayIPcLm3EE23TrivialOffsetCalculatorILi2EjES8_ILi1EjENS0_6memory12LoadWithCastILi2EEENSB_13StoreWithCastILi1EEEfJfN3c104HalfEEEEviT0_T1_T2_T3_T4_T5_,"axG",@progbits,_ZN2at6native39vectorized_templated_elementwise_kernelILi2EN12_GLOBAL__N_110CalcIgammaIfEESt5arrayIPcLm3EE23TrivialOffsetCalculatorILi2EjES8_ILi1EjENS0_6memory12LoadWithCastILi2EEENSB_13StoreWithCastILi1EEEfJfN3c104HalfEEEEviT0_T1_T2_T3_T4_T5_,comdat
.Lfunc_end37:
	.size	_ZN2at6native39vectorized_templated_elementwise_kernelILi2EN12_GLOBAL__N_110CalcIgammaIfEESt5arrayIPcLm3EE23TrivialOffsetCalculatorILi2EjES8_ILi1EjENS0_6memory12LoadWithCastILi2EEENSB_13StoreWithCastILi1EEEfJfN3c104HalfEEEEviT0_T1_T2_T3_T4_T5_, .Lfunc_end37-_ZN2at6native39vectorized_templated_elementwise_kernelILi2EN12_GLOBAL__N_110CalcIgammaIfEESt5arrayIPcLm3EE23TrivialOffsetCalculatorILi2EjES8_ILi1EjENS0_6memory12LoadWithCastILi2EEENSB_13StoreWithCastILi1EEEfJfN3c104HalfEEEEviT0_T1_T2_T3_T4_T5_
                                        ; -- End function
	.section	.AMDGPU.csdata,"",@progbits
; Kernel info:
; codeLenInByte = 4684
; NumSgprs: 79
; NumVgprs: 147
; ScratchSize: 448
; MemoryBound: 0
; FloatMode: 240
; IeeeMode: 1
; LDSByteSize: 0 bytes/workgroup (compile time only)
; SGPRBlocks: 9
; VGPRBlocks: 18
; NumSGPRsForWavesPerEU: 79
; NumVGPRsForWavesPerEU: 147
; Occupancy: 9
; WaveLimiterHint : 0
; COMPUTE_PGM_RSRC2:SCRATCH_EN: 1
; COMPUTE_PGM_RSRC2:USER_SGPR: 15
; COMPUTE_PGM_RSRC2:TRAP_HANDLER: 0
; COMPUTE_PGM_RSRC2:TGID_X_EN: 1
; COMPUTE_PGM_RSRC2:TGID_Y_EN: 0
; COMPUTE_PGM_RSRC2:TGID_Z_EN: 0
; COMPUTE_PGM_RSRC2:TIDIG_COMP_CNT: 0
	.section	.text._ZN2at6native39vectorized_templated_elementwise_kernelILi8EN12_GLOBAL__N_110CalcIgammaIfEESt5arrayIPcLm3EE23TrivialOffsetCalculatorILi2EjES8_ILi1EjENS0_6memory12LoadWithCastILi2EEENSB_13StoreWithCastILi1EEEfJN3c104HalfEfEEEviT0_T1_T2_T3_T4_T5_,"axG",@progbits,_ZN2at6native39vectorized_templated_elementwise_kernelILi8EN12_GLOBAL__N_110CalcIgammaIfEESt5arrayIPcLm3EE23TrivialOffsetCalculatorILi2EjES8_ILi1EjENS0_6memory12LoadWithCastILi2EEENSB_13StoreWithCastILi1EEEfJN3c104HalfEfEEEviT0_T1_T2_T3_T4_T5_,comdat
	.globl	_ZN2at6native39vectorized_templated_elementwise_kernelILi8EN12_GLOBAL__N_110CalcIgammaIfEESt5arrayIPcLm3EE23TrivialOffsetCalculatorILi2EjES8_ILi1EjENS0_6memory12LoadWithCastILi2EEENSB_13StoreWithCastILi1EEEfJN3c104HalfEfEEEviT0_T1_T2_T3_T4_T5_ ; -- Begin function _ZN2at6native39vectorized_templated_elementwise_kernelILi8EN12_GLOBAL__N_110CalcIgammaIfEESt5arrayIPcLm3EE23TrivialOffsetCalculatorILi2EjES8_ILi1EjENS0_6memory12LoadWithCastILi2EEENSB_13StoreWithCastILi1EEEfJN3c104HalfEfEEEviT0_T1_T2_T3_T4_T5_
	.p2align	8
	.type	_ZN2at6native39vectorized_templated_elementwise_kernelILi8EN12_GLOBAL__N_110CalcIgammaIfEESt5arrayIPcLm3EE23TrivialOffsetCalculatorILi2EjES8_ILi1EjENS0_6memory12LoadWithCastILi2EEENSB_13StoreWithCastILi1EEEfJN3c104HalfEfEEEviT0_T1_T2_T3_T4_T5_,@function
_ZN2at6native39vectorized_templated_elementwise_kernelILi8EN12_GLOBAL__N_110CalcIgammaIfEESt5arrayIPcLm3EE23TrivialOffsetCalculatorILi2EjES8_ILi1EjENS0_6memory12LoadWithCastILi2EEENSB_13StoreWithCastILi1EEEfJN3c104HalfEfEEEviT0_T1_T2_T3_T4_T5_: ; @_ZN2at6native39vectorized_templated_elementwise_kernelILi8EN12_GLOBAL__N_110CalcIgammaIfEESt5arrayIPcLm3EE23TrivialOffsetCalculatorILi2EjES8_ILi1EjENS0_6memory12LoadWithCastILi2EEENSB_13StoreWithCastILi1EEEfJN3c104HalfEfEEEviT0_T1_T2_T3_T4_T5_
; %bb.0:
	s_mov_b64 s[36:37], s[0:1]
	s_clause 0x1
	s_load_b64 s[2:3], s[0:1], 0x0
	s_load_b32 s0, s[0:1], 0x38
	s_clause 0x1
	s_load_b64 s[44:45], s[36:37], 0x18
	s_load_b128 s[40:43], s[36:37], 0x8
	v_mov_b32_e32 v46, v0
	s_mov_b32 s38, s15
	s_mov_b32 s32, 0
	s_waitcnt lgkmcnt(0)
	s_bitcmp1_b32 s3, 0
	s_cselect_b32 s49, -1, 0
	s_not_b32 s1, s15
	s_delay_alu instid0(SALU_CYCLE_1) | instskip(SKIP_2) | instid1(SALU_CYCLE_1)
	s_add_i32 s0, s0, s1
	s_mov_b32 s1, -1
	s_lshl_b32 s0, s0, 14
	s_sub_i32 s48, s2, s0
	s_delay_alu instid0(SALU_CYCLE_1)
	s_cmpk_gt_i32 s48, 0x3fff
	s_cbranch_scc1 .LBB38_3
; %bb.1:
	s_and_b32 vcc_lo, exec_lo, s1
	s_cbranch_vccnz .LBB38_132
.LBB38_2:
	s_endpgm
.LBB38_3:
	s_ashr_i32 s1, s0, 31
	v_lshlrev_b32_e32 v4, 4, v46
	s_lshl_b64 s[2:3], s[0:1], 1
	s_xor_b32 s50, s49, -1
	s_add_u32 s2, s42, s2
	s_addc_u32 s3, s43, s3
	v_add_co_u32 v2, s4, s2, v4
	s_delay_alu instid0(VALU_DEP_1) | instskip(SKIP_1) | instid1(VALU_DEP_3)
	v_add_co_ci_u32_e64 v3, null, s3, 0, s4
	v_or_b32_e32 v5, 0x400, v46
	v_add_co_u32 v0, vcc_lo, 0x2000, v2
	s_delay_alu instid0(VALU_DEP_3) | instskip(SKIP_1) | instid1(VALU_DEP_4)
	v_add_co_ci_u32_e32 v1, vcc_lo, 0, v3, vcc_lo
	v_add_co_u32 v2, vcc_lo, 0x6000, v2
	v_lshlrev_b32_e32 v6, 4, v5
	v_lshlrev_b32_e32 v110, 5, v46
	v_add_co_ci_u32_e32 v3, vcc_lo, 0, v3, vcc_lo
	s_lshl_b64 s[46:47], s[0:1], 2
	s_clause 0x1
	global_load_b128 v[106:109], v4, s[2:3]
	global_load_b128 v[102:105], v[0:1], off
	s_add_u32 s0, s44, s46
	s_clause 0x1
	global_load_b128 v[98:101], v6, s[2:3]
	global_load_b128 v[94:97], v[2:3], off
	s_addc_u32 s1, s45, s47
	v_add_co_u32 v2, s2, s0, v110
	s_delay_alu instid0(VALU_DEP_1) | instskip(SKIP_1) | instid1(VALU_DEP_3)
	v_add_co_ci_u32_e64 v3, null, s1, 0, s2
	v_lshlrev_b32_e32 v47, 5, v5
	v_add_co_u32 v0, vcc_lo, 0x4000, v2
	s_delay_alu instid0(VALU_DEP_3)
	v_add_co_ci_u32_e32 v1, vcc_lo, 0, v3, vcc_lo
	v_add_co_u32 v2, vcc_lo, 0xc000, v2
	v_add_co_ci_u32_e32 v3, vcc_lo, 0, v3, vcc_lo
	s_clause 0x7
	global_load_b128 v[67:70], v110, s[0:1] offset:16
	global_load_b128 v[90:93], v110, s[0:1]
	global_load_b128 v[78:81], v[0:1], off
	global_load_b128 v[86:89], v[0:1], off offset:16
	global_load_b128 v[74:77], v47, s[0:1] offset:16
	global_load_b128 v[82:85], v47, s[0:1]
	global_load_b128 v[60:63], v[2:3], off
	global_load_b128 v[42:45], v[2:3], off offset:16
	s_and_b32 vcc_lo, exec_lo, s50
	s_mov_b32 s39, 0
	s_waitcnt vmcnt(11)
	v_cvt_f32_f16_e32 v40, v106
	s_cbranch_vccz .LBB38_5
; %bb.4:
	s_waitcnt vmcnt(6)
	s_delay_alu instid0(VALU_DEP_1) | instskip(SKIP_3) | instid1(SALU_CYCLE_1)
	v_dual_mov_b32 v0, v40 :: v_dual_mov_b32 v1, v90
	s_getpc_b64 s[0:1]
	s_add_u32 s0, s0, _ZN12_GLOBAL__N_111calc_igammaIfEET_S1_S1_@rel32@lo+4
	s_addc_u32 s1, s1, _ZN12_GLOBAL__N_111calc_igammaIfEET_S1_S1_@rel32@hi+12
	s_swappc_b64 s[30:31], s[0:1]
	v_mov_b32_e32 v56, v0
	s_and_not1_b32 vcc_lo, exec_lo, s39
	s_cbranch_vccz .LBB38_6
	s_branch .LBB38_7
.LBB38_5:
                                        ; implicit-def: $vgpr56
.LBB38_6:
	s_waitcnt vmcnt(6)
	s_delay_alu instid0(VALU_DEP_1) | instskip(SKIP_3) | instid1(SALU_CYCLE_1)
	v_dual_mov_b32 v0, v40 :: v_dual_mov_b32 v1, v90
	s_getpc_b64 s[0:1]
	s_add_u32 s0, s0, _ZN12_GLOBAL__N_112calc_igammacIfEET_S1_S1_@rel32@lo+4
	s_addc_u32 s1, s1, _ZN12_GLOBAL__N_112calc_igammacIfEET_S1_S1_@rel32@hi+12
	s_swappc_b64 s[30:31], s[0:1]
	v_mov_b32_e32 v56, v0
.LBB38_7:
	v_cndmask_b32_e64 v0, 0, 1, s50
	v_lshrrev_b32_e32 v1, 16, v106
	s_and_not1_b32 vcc_lo, exec_lo, s50
	s_delay_alu instid0(VALU_DEP_2) | instskip(NEXT) | instid1(VALU_DEP_2)
	v_cmp_ne_u32_e64 s39, 1, v0
	v_cvt_f32_f16_e32 v40, v1
	s_cbranch_vccnz .LBB38_9
; %bb.8:
	s_waitcnt vmcnt(6)
	s_delay_alu instid0(VALU_DEP_1) | instskip(SKIP_3) | instid1(SALU_CYCLE_1)
	v_dual_mov_b32 v0, v40 :: v_dual_mov_b32 v1, v91
	s_getpc_b64 s[0:1]
	s_add_u32 s0, s0, _ZN12_GLOBAL__N_111calc_igammaIfEET_S1_S1_@rel32@lo+4
	s_addc_u32 s1, s1, _ZN12_GLOBAL__N_111calc_igammaIfEET_S1_S1_@rel32@hi+12
	s_swappc_b64 s[30:31], s[0:1]
	v_mov_b32_e32 v57, v0
	s_cbranch_execz .LBB38_10
	s_branch .LBB38_11
.LBB38_9:
.LBB38_10:
	s_waitcnt vmcnt(6)
	s_delay_alu instid0(VALU_DEP_1) | instskip(SKIP_3) | instid1(SALU_CYCLE_1)
	v_dual_mov_b32 v0, v40 :: v_dual_mov_b32 v1, v91
	s_getpc_b64 s[0:1]
	s_add_u32 s0, s0, _ZN12_GLOBAL__N_112calc_igammacIfEET_S1_S1_@rel32@lo+4
	s_addc_u32 s1, s1, _ZN12_GLOBAL__N_112calc_igammacIfEET_S1_S1_@rel32@hi+12
	s_swappc_b64 s[30:31], s[0:1]
	v_mov_b32_e32 v57, v0
.LBB38_11:
	v_cvt_f32_f16_e32 v40, v107
	s_and_b32 vcc_lo, exec_lo, s39
	s_cbranch_vccnz .LBB38_13
; %bb.12:
	s_delay_alu instid0(VALU_DEP_1)
	v_mov_b32_e32 v0, v40
	s_waitcnt vmcnt(6)
	v_mov_b32_e32 v1, v92
	s_getpc_b64 s[0:1]
	s_add_u32 s0, s0, _ZN12_GLOBAL__N_111calc_igammaIfEET_S1_S1_@rel32@lo+4
	s_addc_u32 s1, s1, _ZN12_GLOBAL__N_111calc_igammaIfEET_S1_S1_@rel32@hi+12
	s_delay_alu instid0(SALU_CYCLE_1)
	s_swappc_b64 s[30:31], s[0:1]
	v_mov_b32_e32 v58, v0
	s_cbranch_execz .LBB38_14
	s_branch .LBB38_15
.LBB38_13:
.LBB38_14:
	s_delay_alu instid0(VALU_DEP_1)
	v_mov_b32_e32 v0, v40
	s_waitcnt vmcnt(6)
	v_mov_b32_e32 v1, v92
	s_getpc_b64 s[0:1]
	s_add_u32 s0, s0, _ZN12_GLOBAL__N_112calc_igammacIfEET_S1_S1_@rel32@lo+4
	s_addc_u32 s1, s1, _ZN12_GLOBAL__N_112calc_igammacIfEET_S1_S1_@rel32@hi+12
	s_delay_alu instid0(SALU_CYCLE_1)
	s_swappc_b64 s[30:31], s[0:1]
	v_mov_b32_e32 v58, v0
.LBB38_15:
	v_lshrrev_b32_e32 v0, 16, v107
	s_and_b32 vcc_lo, exec_lo, s39
	s_delay_alu instid0(VALU_DEP_1)
	v_cvt_f32_f16_e32 v40, v0
	s_cbranch_vccnz .LBB38_17
; %bb.16:
	s_waitcnt vmcnt(6)
	s_delay_alu instid0(VALU_DEP_1) | instskip(SKIP_3) | instid1(SALU_CYCLE_1)
	v_dual_mov_b32 v0, v40 :: v_dual_mov_b32 v1, v93
	s_getpc_b64 s[0:1]
	s_add_u32 s0, s0, _ZN12_GLOBAL__N_111calc_igammaIfEET_S1_S1_@rel32@lo+4
	s_addc_u32 s1, s1, _ZN12_GLOBAL__N_111calc_igammaIfEET_S1_S1_@rel32@hi+12
	s_swappc_b64 s[30:31], s[0:1]
	v_mov_b32_e32 v59, v0
	s_cbranch_execz .LBB38_18
	s_branch .LBB38_19
.LBB38_17:
.LBB38_18:
	s_waitcnt vmcnt(6)
	s_delay_alu instid0(VALU_DEP_1) | instskip(SKIP_3) | instid1(SALU_CYCLE_1)
	v_dual_mov_b32 v0, v40 :: v_dual_mov_b32 v1, v93
	s_getpc_b64 s[0:1]
	s_add_u32 s0, s0, _ZN12_GLOBAL__N_112calc_igammacIfEET_S1_S1_@rel32@lo+4
	s_addc_u32 s1, s1, _ZN12_GLOBAL__N_112calc_igammacIfEET_S1_S1_@rel32@hi+12
	s_swappc_b64 s[30:31], s[0:1]
	v_mov_b32_e32 v59, v0
.LBB38_19:
	v_cvt_f32_f16_e32 v40, v108
	s_and_b32 vcc_lo, exec_lo, s39
	s_cbranch_vccnz .LBB38_21
; %bb.20:
	s_waitcnt vmcnt(7)
	s_delay_alu instid0(VALU_DEP_1) | instskip(SKIP_3) | instid1(SALU_CYCLE_1)
	v_dual_mov_b32 v0, v40 :: v_dual_mov_b32 v1, v67
	s_getpc_b64 s[0:1]
	s_add_u32 s0, s0, _ZN12_GLOBAL__N_111calc_igammaIfEET_S1_S1_@rel32@lo+4
	s_addc_u32 s1, s1, _ZN12_GLOBAL__N_111calc_igammaIfEET_S1_S1_@rel32@hi+12
	s_swappc_b64 s[30:31], s[0:1]
	v_mov_b32_e32 v66, v0
	s_cbranch_execz .LBB38_22
	s_branch .LBB38_23
.LBB38_21:
                                        ; implicit-def: $vgpr66
.LBB38_22:
	s_waitcnt vmcnt(7)
	s_delay_alu instid0(VALU_DEP_1) | instskip(SKIP_3) | instid1(SALU_CYCLE_1)
	v_dual_mov_b32 v0, v40 :: v_dual_mov_b32 v1, v67
	s_getpc_b64 s[0:1]
	s_add_u32 s0, s0, _ZN12_GLOBAL__N_112calc_igammacIfEET_S1_S1_@rel32@lo+4
	s_addc_u32 s1, s1, _ZN12_GLOBAL__N_112calc_igammacIfEET_S1_S1_@rel32@hi+12
	s_swappc_b64 s[30:31], s[0:1]
	v_mov_b32_e32 v66, v0
.LBB38_23:
	v_lshrrev_b32_e32 v0, 16, v108
	s_and_b32 vcc_lo, exec_lo, s39
	s_delay_alu instid0(VALU_DEP_1)
	v_cvt_f32_f16_e32 v40, v0
	s_cbranch_vccnz .LBB38_25
; %bb.24:
	s_delay_alu instid0(VALU_DEP_1)
	v_mov_b32_e32 v0, v40
	s_waitcnt vmcnt(7)
	v_mov_b32_e32 v1, v68
	s_getpc_b64 s[0:1]
	s_add_u32 s0, s0, _ZN12_GLOBAL__N_111calc_igammaIfEET_S1_S1_@rel32@lo+4
	s_addc_u32 s1, s1, _ZN12_GLOBAL__N_111calc_igammaIfEET_S1_S1_@rel32@hi+12
	s_delay_alu instid0(SALU_CYCLE_1)
	s_swappc_b64 s[30:31], s[0:1]
	v_mov_b32_e32 v67, v0
	s_cbranch_execz .LBB38_26
	s_branch .LBB38_27
.LBB38_25:
.LBB38_26:
	s_delay_alu instid0(VALU_DEP_1)
	v_mov_b32_e32 v0, v40
	s_waitcnt vmcnt(7)
	v_mov_b32_e32 v1, v68
	s_getpc_b64 s[0:1]
	s_add_u32 s0, s0, _ZN12_GLOBAL__N_112calc_igammacIfEET_S1_S1_@rel32@lo+4
	s_addc_u32 s1, s1, _ZN12_GLOBAL__N_112calc_igammacIfEET_S1_S1_@rel32@hi+12
	s_delay_alu instid0(SALU_CYCLE_1)
	s_swappc_b64 s[30:31], s[0:1]
	v_mov_b32_e32 v67, v0
.LBB38_27:
	v_cvt_f32_f16_e32 v40, v109
	s_and_b32 vcc_lo, exec_lo, s39
	s_cbranch_vccnz .LBB38_29
; %bb.28:
	s_waitcnt vmcnt(7)
	s_delay_alu instid0(VALU_DEP_1) | instskip(SKIP_3) | instid1(SALU_CYCLE_1)
	v_dual_mov_b32 v0, v40 :: v_dual_mov_b32 v1, v69
	s_getpc_b64 s[0:1]
	s_add_u32 s0, s0, _ZN12_GLOBAL__N_111calc_igammaIfEET_S1_S1_@rel32@lo+4
	s_addc_u32 s1, s1, _ZN12_GLOBAL__N_111calc_igammaIfEET_S1_S1_@rel32@hi+12
	s_swappc_b64 s[30:31], s[0:1]
	v_mov_b32_e32 v68, v0
	s_cbranch_execz .LBB38_30
	s_branch .LBB38_31
.LBB38_29:
.LBB38_30:
	s_waitcnt vmcnt(7)
	s_delay_alu instid0(VALU_DEP_1) | instskip(SKIP_3) | instid1(SALU_CYCLE_1)
	v_dual_mov_b32 v0, v40 :: v_dual_mov_b32 v1, v69
	s_getpc_b64 s[0:1]
	s_add_u32 s0, s0, _ZN12_GLOBAL__N_112calc_igammacIfEET_S1_S1_@rel32@lo+4
	s_addc_u32 s1, s1, _ZN12_GLOBAL__N_112calc_igammacIfEET_S1_S1_@rel32@hi+12
	s_swappc_b64 s[30:31], s[0:1]
	v_mov_b32_e32 v68, v0
.LBB38_31:
	v_lshrrev_b32_e32 v0, 16, v109
	s_and_b32 vcc_lo, exec_lo, s39
	s_delay_alu instid0(VALU_DEP_1)
	v_cvt_f32_f16_e32 v40, v0
	s_cbranch_vccnz .LBB38_33
; %bb.32:
	s_waitcnt vmcnt(7)
	s_delay_alu instid0(VALU_DEP_1) | instskip(SKIP_3) | instid1(SALU_CYCLE_1)
	v_dual_mov_b32 v0, v40 :: v_dual_mov_b32 v1, v70
	s_getpc_b64 s[0:1]
	s_add_u32 s0, s0, _ZN12_GLOBAL__N_111calc_igammaIfEET_S1_S1_@rel32@lo+4
	s_addc_u32 s1, s1, _ZN12_GLOBAL__N_111calc_igammaIfEET_S1_S1_@rel32@hi+12
	s_swappc_b64 s[30:31], s[0:1]
	v_mov_b32_e32 v69, v0
	s_cbranch_execz .LBB38_34
	s_branch .LBB38_35
.LBB38_33:
.LBB38_34:
	s_waitcnt vmcnt(7)
	s_delay_alu instid0(VALU_DEP_1) | instskip(SKIP_3) | instid1(SALU_CYCLE_1)
	v_dual_mov_b32 v0, v40 :: v_dual_mov_b32 v1, v70
	s_getpc_b64 s[0:1]
	s_add_u32 s0, s0, _ZN12_GLOBAL__N_112calc_igammacIfEET_S1_S1_@rel32@lo+4
	s_addc_u32 s1, s1, _ZN12_GLOBAL__N_112calc_igammacIfEET_S1_S1_@rel32@hi+12
	s_swappc_b64 s[30:31], s[0:1]
	v_mov_b32_e32 v69, v0
.LBB38_35:
	s_waitcnt vmcnt(10)
	v_cvt_f32_f16_e32 v40, v102
	s_and_b32 vcc_lo, exec_lo, s39
	s_cbranch_vccnz .LBB38_37
; %bb.36:
	s_waitcnt vmcnt(5)
	s_delay_alu instid0(VALU_DEP_1) | instskip(SKIP_3) | instid1(SALU_CYCLE_1)
	v_dual_mov_b32 v0, v40 :: v_dual_mov_b32 v1, v78
	s_getpc_b64 s[0:1]
	s_add_u32 s0, s0, _ZN12_GLOBAL__N_111calc_igammaIfEET_S1_S1_@rel32@lo+4
	s_addc_u32 s1, s1, _ZN12_GLOBAL__N_111calc_igammaIfEET_S1_S1_@rel32@hi+12
	s_swappc_b64 s[30:31], s[0:1]
	v_mov_b32_e32 v70, v0
	s_cbranch_execz .LBB38_38
	s_branch .LBB38_39
.LBB38_37:
                                        ; implicit-def: $vgpr70
.LBB38_38:
	s_waitcnt vmcnt(5)
	s_delay_alu instid0(VALU_DEP_1) | instskip(SKIP_3) | instid1(SALU_CYCLE_1)
	v_dual_mov_b32 v0, v40 :: v_dual_mov_b32 v1, v78
	s_getpc_b64 s[0:1]
	s_add_u32 s0, s0, _ZN12_GLOBAL__N_112calc_igammacIfEET_S1_S1_@rel32@lo+4
	s_addc_u32 s1, s1, _ZN12_GLOBAL__N_112calc_igammacIfEET_S1_S1_@rel32@hi+12
	s_swappc_b64 s[30:31], s[0:1]
	v_mov_b32_e32 v70, v0
.LBB38_39:
	v_lshrrev_b32_e32 v0, 16, v102
	s_and_b32 vcc_lo, exec_lo, s39
	s_delay_alu instid0(VALU_DEP_1)
	v_cvt_f32_f16_e32 v40, v0
	s_cbranch_vccnz .LBB38_41
; %bb.40:
	s_waitcnt vmcnt(5)
	s_delay_alu instid0(VALU_DEP_1) | instskip(SKIP_3) | instid1(SALU_CYCLE_1)
	v_dual_mov_b32 v0, v40 :: v_dual_mov_b32 v1, v79
	s_getpc_b64 s[0:1]
	s_add_u32 s0, s0, _ZN12_GLOBAL__N_111calc_igammaIfEET_S1_S1_@rel32@lo+4
	s_addc_u32 s1, s1, _ZN12_GLOBAL__N_111calc_igammaIfEET_S1_S1_@rel32@hi+12
	s_swappc_b64 s[30:31], s[0:1]
	v_mov_b32_e32 v71, v0
	s_cbranch_execz .LBB38_42
	s_branch .LBB38_43
.LBB38_41:
.LBB38_42:
	s_waitcnt vmcnt(5)
	s_delay_alu instid0(VALU_DEP_1) | instskip(SKIP_3) | instid1(SALU_CYCLE_1)
	v_dual_mov_b32 v0, v40 :: v_dual_mov_b32 v1, v79
	s_getpc_b64 s[0:1]
	s_add_u32 s0, s0, _ZN12_GLOBAL__N_112calc_igammacIfEET_S1_S1_@rel32@lo+4
	s_addc_u32 s1, s1, _ZN12_GLOBAL__N_112calc_igammacIfEET_S1_S1_@rel32@hi+12
	s_swappc_b64 s[30:31], s[0:1]
	v_mov_b32_e32 v71, v0
.LBB38_43:
	v_cvt_f32_f16_e32 v40, v103
	s_and_b32 vcc_lo, exec_lo, s39
	s_cbranch_vccnz .LBB38_45
; %bb.44:
	s_delay_alu instid0(VALU_DEP_1)
	v_mov_b32_e32 v0, v40
	s_waitcnt vmcnt(5)
	v_mov_b32_e32 v1, v80
	s_getpc_b64 s[0:1]
	s_add_u32 s0, s0, _ZN12_GLOBAL__N_111calc_igammaIfEET_S1_S1_@rel32@lo+4
	s_addc_u32 s1, s1, _ZN12_GLOBAL__N_111calc_igammaIfEET_S1_S1_@rel32@hi+12
	s_delay_alu instid0(SALU_CYCLE_1)
	s_swappc_b64 s[30:31], s[0:1]
	v_mov_b32_e32 v72, v0
	s_cbranch_execz .LBB38_46
	s_branch .LBB38_47
.LBB38_45:
.LBB38_46:
	s_delay_alu instid0(VALU_DEP_1)
	v_mov_b32_e32 v0, v40
	s_waitcnt vmcnt(5)
	v_mov_b32_e32 v1, v80
	s_getpc_b64 s[0:1]
	s_add_u32 s0, s0, _ZN12_GLOBAL__N_112calc_igammacIfEET_S1_S1_@rel32@lo+4
	s_addc_u32 s1, s1, _ZN12_GLOBAL__N_112calc_igammacIfEET_S1_S1_@rel32@hi+12
	s_delay_alu instid0(SALU_CYCLE_1)
	s_swappc_b64 s[30:31], s[0:1]
	v_mov_b32_e32 v72, v0
.LBB38_47:
	v_lshrrev_b32_e32 v0, 16, v103
	s_and_b32 vcc_lo, exec_lo, s39
	s_delay_alu instid0(VALU_DEP_1)
	v_cvt_f32_f16_e32 v40, v0
	s_cbranch_vccnz .LBB38_49
; %bb.48:
	s_waitcnt vmcnt(5)
	s_delay_alu instid0(VALU_DEP_1) | instskip(SKIP_3) | instid1(SALU_CYCLE_1)
	v_dual_mov_b32 v0, v40 :: v_dual_mov_b32 v1, v81
	s_getpc_b64 s[0:1]
	s_add_u32 s0, s0, _ZN12_GLOBAL__N_111calc_igammaIfEET_S1_S1_@rel32@lo+4
	s_addc_u32 s1, s1, _ZN12_GLOBAL__N_111calc_igammaIfEET_S1_S1_@rel32@hi+12
	s_swappc_b64 s[30:31], s[0:1]
	v_mov_b32_e32 v73, v0
	s_cbranch_execz .LBB38_50
	s_branch .LBB38_51
.LBB38_49:
.LBB38_50:
	s_waitcnt vmcnt(5)
	s_delay_alu instid0(VALU_DEP_1) | instskip(SKIP_3) | instid1(SALU_CYCLE_1)
	v_dual_mov_b32 v0, v40 :: v_dual_mov_b32 v1, v81
	s_getpc_b64 s[0:1]
	s_add_u32 s0, s0, _ZN12_GLOBAL__N_112calc_igammacIfEET_S1_S1_@rel32@lo+4
	s_addc_u32 s1, s1, _ZN12_GLOBAL__N_112calc_igammacIfEET_S1_S1_@rel32@hi+12
	s_swappc_b64 s[30:31], s[0:1]
	v_mov_b32_e32 v73, v0
.LBB38_51:
	v_cvt_f32_f16_e32 v40, v104
	s_and_b32 vcc_lo, exec_lo, s39
	s_cbranch_vccnz .LBB38_53
; %bb.52:
	s_waitcnt vmcnt(4)
	s_delay_alu instid0(VALU_DEP_1) | instskip(SKIP_3) | instid1(SALU_CYCLE_1)
	v_dual_mov_b32 v0, v40 :: v_dual_mov_b32 v1, v86
	s_getpc_b64 s[0:1]
	s_add_u32 s0, s0, _ZN12_GLOBAL__N_111calc_igammaIfEET_S1_S1_@rel32@lo+4
	s_addc_u32 s1, s1, _ZN12_GLOBAL__N_111calc_igammaIfEET_S1_S1_@rel32@hi+12
	s_swappc_b64 s[30:31], s[0:1]
	v_mov_b32_e32 v78, v0
	s_cbranch_execz .LBB38_54
	s_branch .LBB38_55
.LBB38_53:
                                        ; implicit-def: $vgpr78
.LBB38_54:
	s_waitcnt vmcnt(4)
	s_delay_alu instid0(VALU_DEP_1) | instskip(SKIP_3) | instid1(SALU_CYCLE_1)
	v_dual_mov_b32 v0, v40 :: v_dual_mov_b32 v1, v86
	s_getpc_b64 s[0:1]
	s_add_u32 s0, s0, _ZN12_GLOBAL__N_112calc_igammacIfEET_S1_S1_@rel32@lo+4
	s_addc_u32 s1, s1, _ZN12_GLOBAL__N_112calc_igammacIfEET_S1_S1_@rel32@hi+12
	s_swappc_b64 s[30:31], s[0:1]
	v_mov_b32_e32 v78, v0
.LBB38_55:
	v_lshrrev_b32_e32 v0, 16, v104
	s_and_b32 vcc_lo, exec_lo, s39
	s_delay_alu instid0(VALU_DEP_1)
	v_cvt_f32_f16_e32 v40, v0
	s_cbranch_vccnz .LBB38_57
; %bb.56:
	s_waitcnt vmcnt(4)
	s_delay_alu instid0(VALU_DEP_1) | instskip(SKIP_3) | instid1(SALU_CYCLE_1)
	v_dual_mov_b32 v0, v40 :: v_dual_mov_b32 v1, v87
	s_getpc_b64 s[0:1]
	s_add_u32 s0, s0, _ZN12_GLOBAL__N_111calc_igammaIfEET_S1_S1_@rel32@lo+4
	s_addc_u32 s1, s1, _ZN12_GLOBAL__N_111calc_igammaIfEET_S1_S1_@rel32@hi+12
	s_swappc_b64 s[30:31], s[0:1]
	v_mov_b32_e32 v79, v0
	s_cbranch_execz .LBB38_58
	s_branch .LBB38_59
.LBB38_57:
.LBB38_58:
	s_waitcnt vmcnt(4)
	s_delay_alu instid0(VALU_DEP_1) | instskip(SKIP_3) | instid1(SALU_CYCLE_1)
	v_dual_mov_b32 v0, v40 :: v_dual_mov_b32 v1, v87
	s_getpc_b64 s[0:1]
	s_add_u32 s0, s0, _ZN12_GLOBAL__N_112calc_igammacIfEET_S1_S1_@rel32@lo+4
	s_addc_u32 s1, s1, _ZN12_GLOBAL__N_112calc_igammacIfEET_S1_S1_@rel32@hi+12
	s_swappc_b64 s[30:31], s[0:1]
	v_mov_b32_e32 v79, v0
.LBB38_59:
	v_cvt_f32_f16_e32 v40, v105
	s_and_b32 vcc_lo, exec_lo, s39
	s_cbranch_vccnz .LBB38_61
; %bb.60:
	s_delay_alu instid0(VALU_DEP_1)
	v_mov_b32_e32 v0, v40
	s_waitcnt vmcnt(4)
	v_mov_b32_e32 v1, v88
	s_getpc_b64 s[0:1]
	s_add_u32 s0, s0, _ZN12_GLOBAL__N_111calc_igammaIfEET_S1_S1_@rel32@lo+4
	s_addc_u32 s1, s1, _ZN12_GLOBAL__N_111calc_igammaIfEET_S1_S1_@rel32@hi+12
	s_delay_alu instid0(SALU_CYCLE_1)
	s_swappc_b64 s[30:31], s[0:1]
	v_mov_b32_e32 v80, v0
	s_cbranch_execz .LBB38_62
	s_branch .LBB38_63
.LBB38_61:
.LBB38_62:
	s_delay_alu instid0(VALU_DEP_1)
	v_mov_b32_e32 v0, v40
	s_waitcnt vmcnt(4)
	v_mov_b32_e32 v1, v88
	s_getpc_b64 s[0:1]
	s_add_u32 s0, s0, _ZN12_GLOBAL__N_112calc_igammacIfEET_S1_S1_@rel32@lo+4
	s_addc_u32 s1, s1, _ZN12_GLOBAL__N_112calc_igammacIfEET_S1_S1_@rel32@hi+12
	s_delay_alu instid0(SALU_CYCLE_1)
	s_swappc_b64 s[30:31], s[0:1]
	v_mov_b32_e32 v80, v0
.LBB38_63:
	v_lshrrev_b32_e32 v0, 16, v105
	s_and_b32 vcc_lo, exec_lo, s39
	s_delay_alu instid0(VALU_DEP_1)
	v_cvt_f32_f16_e32 v40, v0
	s_cbranch_vccnz .LBB38_65
; %bb.64:
	s_waitcnt vmcnt(4)
	s_delay_alu instid0(VALU_DEP_1) | instskip(SKIP_3) | instid1(SALU_CYCLE_1)
	v_dual_mov_b32 v0, v40 :: v_dual_mov_b32 v1, v89
	s_getpc_b64 s[0:1]
	s_add_u32 s0, s0, _ZN12_GLOBAL__N_111calc_igammaIfEET_S1_S1_@rel32@lo+4
	s_addc_u32 s1, s1, _ZN12_GLOBAL__N_111calc_igammaIfEET_S1_S1_@rel32@hi+12
	s_swappc_b64 s[30:31], s[0:1]
	v_mov_b32_e32 v81, v0
	s_cbranch_execz .LBB38_66
	s_branch .LBB38_67
.LBB38_65:
.LBB38_66:
	s_waitcnt vmcnt(4)
	s_delay_alu instid0(VALU_DEP_1) | instskip(SKIP_3) | instid1(SALU_CYCLE_1)
	v_dual_mov_b32 v0, v40 :: v_dual_mov_b32 v1, v89
	s_getpc_b64 s[0:1]
	s_add_u32 s0, s0, _ZN12_GLOBAL__N_112calc_igammacIfEET_S1_S1_@rel32@lo+4
	s_addc_u32 s1, s1, _ZN12_GLOBAL__N_112calc_igammacIfEET_S1_S1_@rel32@hi+12
	s_swappc_b64 s[30:31], s[0:1]
	v_mov_b32_e32 v81, v0
.LBB38_67:
	s_waitcnt vmcnt(9)
	v_cvt_f32_f16_e32 v40, v98
	s_and_b32 vcc_lo, exec_lo, s39
	s_cbranch_vccnz .LBB38_69
; %bb.68:
	s_waitcnt vmcnt(2)
	s_delay_alu instid0(VALU_DEP_1) | instskip(SKIP_3) | instid1(SALU_CYCLE_1)
	v_dual_mov_b32 v0, v40 :: v_dual_mov_b32 v1, v82
	s_getpc_b64 s[0:1]
	s_add_u32 s0, s0, _ZN12_GLOBAL__N_111calc_igammaIfEET_S1_S1_@rel32@lo+4
	s_addc_u32 s1, s1, _ZN12_GLOBAL__N_111calc_igammaIfEET_S1_S1_@rel32@hi+12
	s_swappc_b64 s[30:31], s[0:1]
	v_mov_b32_e32 v86, v0
	s_cbranch_execz .LBB38_70
	s_branch .LBB38_71
.LBB38_69:
                                        ; implicit-def: $vgpr86
.LBB38_70:
	s_waitcnt vmcnt(2)
	s_delay_alu instid0(VALU_DEP_1) | instskip(SKIP_3) | instid1(SALU_CYCLE_1)
	v_dual_mov_b32 v0, v40 :: v_dual_mov_b32 v1, v82
	s_getpc_b64 s[0:1]
	s_add_u32 s0, s0, _ZN12_GLOBAL__N_112calc_igammacIfEET_S1_S1_@rel32@lo+4
	s_addc_u32 s1, s1, _ZN12_GLOBAL__N_112calc_igammacIfEET_S1_S1_@rel32@hi+12
	s_swappc_b64 s[30:31], s[0:1]
	v_mov_b32_e32 v86, v0
.LBB38_71:
	v_lshrrev_b32_e32 v0, 16, v98
	s_and_b32 vcc_lo, exec_lo, s39
	s_delay_alu instid0(VALU_DEP_1)
	v_cvt_f32_f16_e32 v40, v0
	s_cbranch_vccnz .LBB38_73
; %bb.72:
	s_waitcnt vmcnt(2)
	s_delay_alu instid0(VALU_DEP_1) | instskip(SKIP_3) | instid1(SALU_CYCLE_1)
	v_dual_mov_b32 v0, v40 :: v_dual_mov_b32 v1, v83
	s_getpc_b64 s[0:1]
	s_add_u32 s0, s0, _ZN12_GLOBAL__N_111calc_igammaIfEET_S1_S1_@rel32@lo+4
	s_addc_u32 s1, s1, _ZN12_GLOBAL__N_111calc_igammaIfEET_S1_S1_@rel32@hi+12
	s_swappc_b64 s[30:31], s[0:1]
	v_mov_b32_e32 v87, v0
	s_cbranch_execz .LBB38_74
	s_branch .LBB38_75
.LBB38_73:
.LBB38_74:
	s_waitcnt vmcnt(2)
	s_delay_alu instid0(VALU_DEP_1) | instskip(SKIP_3) | instid1(SALU_CYCLE_1)
	v_dual_mov_b32 v0, v40 :: v_dual_mov_b32 v1, v83
	s_getpc_b64 s[0:1]
	s_add_u32 s0, s0, _ZN12_GLOBAL__N_112calc_igammacIfEET_S1_S1_@rel32@lo+4
	s_addc_u32 s1, s1, _ZN12_GLOBAL__N_112calc_igammacIfEET_S1_S1_@rel32@hi+12
	s_swappc_b64 s[30:31], s[0:1]
	v_mov_b32_e32 v87, v0
.LBB38_75:
	v_cvt_f32_f16_e32 v40, v99
	s_and_b32 vcc_lo, exec_lo, s39
	s_cbranch_vccnz .LBB38_77
; %bb.76:
	s_delay_alu instid0(VALU_DEP_1)
	v_mov_b32_e32 v0, v40
	s_waitcnt vmcnt(2)
	v_mov_b32_e32 v1, v84
	s_getpc_b64 s[0:1]
	s_add_u32 s0, s0, _ZN12_GLOBAL__N_111calc_igammaIfEET_S1_S1_@rel32@lo+4
	s_addc_u32 s1, s1, _ZN12_GLOBAL__N_111calc_igammaIfEET_S1_S1_@rel32@hi+12
	s_delay_alu instid0(SALU_CYCLE_1)
	s_swappc_b64 s[30:31], s[0:1]
	v_mov_b32_e32 v88, v0
	s_cbranch_execz .LBB38_78
	s_branch .LBB38_79
.LBB38_77:
.LBB38_78:
	s_delay_alu instid0(VALU_DEP_1)
	v_mov_b32_e32 v0, v40
	s_waitcnt vmcnt(2)
	v_mov_b32_e32 v1, v84
	s_getpc_b64 s[0:1]
	s_add_u32 s0, s0, _ZN12_GLOBAL__N_112calc_igammacIfEET_S1_S1_@rel32@lo+4
	s_addc_u32 s1, s1, _ZN12_GLOBAL__N_112calc_igammacIfEET_S1_S1_@rel32@hi+12
	s_delay_alu instid0(SALU_CYCLE_1)
	s_swappc_b64 s[30:31], s[0:1]
	v_mov_b32_e32 v88, v0
.LBB38_79:
	v_lshrrev_b32_e32 v0, 16, v99
	s_and_b32 vcc_lo, exec_lo, s39
	s_delay_alu instid0(VALU_DEP_1)
	v_cvt_f32_f16_e32 v40, v0
	s_cbranch_vccnz .LBB38_81
; %bb.80:
	s_waitcnt vmcnt(2)
	s_delay_alu instid0(VALU_DEP_1) | instskip(SKIP_3) | instid1(SALU_CYCLE_1)
	v_dual_mov_b32 v0, v40 :: v_dual_mov_b32 v1, v85
	s_getpc_b64 s[0:1]
	s_add_u32 s0, s0, _ZN12_GLOBAL__N_111calc_igammaIfEET_S1_S1_@rel32@lo+4
	s_addc_u32 s1, s1, _ZN12_GLOBAL__N_111calc_igammaIfEET_S1_S1_@rel32@hi+12
	s_swappc_b64 s[30:31], s[0:1]
	v_mov_b32_e32 v89, v0
	s_cbranch_execz .LBB38_82
	s_branch .LBB38_83
.LBB38_81:
.LBB38_82:
	s_waitcnt vmcnt(2)
	s_delay_alu instid0(VALU_DEP_1) | instskip(SKIP_3) | instid1(SALU_CYCLE_1)
	v_dual_mov_b32 v0, v40 :: v_dual_mov_b32 v1, v85
	s_getpc_b64 s[0:1]
	s_add_u32 s0, s0, _ZN12_GLOBAL__N_112calc_igammacIfEET_S1_S1_@rel32@lo+4
	s_addc_u32 s1, s1, _ZN12_GLOBAL__N_112calc_igammacIfEET_S1_S1_@rel32@hi+12
	s_swappc_b64 s[30:31], s[0:1]
	v_mov_b32_e32 v89, v0
.LBB38_83:
	v_cvt_f32_f16_e32 v40, v100
	s_and_b32 vcc_lo, exec_lo, s39
	s_cbranch_vccnz .LBB38_85
; %bb.84:
	s_waitcnt vmcnt(3)
	s_delay_alu instid0(VALU_DEP_1) | instskip(SKIP_3) | instid1(SALU_CYCLE_1)
	v_dual_mov_b32 v0, v40 :: v_dual_mov_b32 v1, v74
	s_getpc_b64 s[0:1]
	s_add_u32 s0, s0, _ZN12_GLOBAL__N_111calc_igammaIfEET_S1_S1_@rel32@lo+4
	s_addc_u32 s1, s1, _ZN12_GLOBAL__N_111calc_igammaIfEET_S1_S1_@rel32@hi+12
	s_swappc_b64 s[30:31], s[0:1]
	v_mov_b32_e32 v82, v0
	s_cbranch_execz .LBB38_86
	s_branch .LBB38_87
.LBB38_85:
                                        ; implicit-def: $vgpr82
.LBB38_86:
	s_waitcnt vmcnt(3)
	s_delay_alu instid0(VALU_DEP_1) | instskip(SKIP_3) | instid1(SALU_CYCLE_1)
	v_dual_mov_b32 v0, v40 :: v_dual_mov_b32 v1, v74
	s_getpc_b64 s[0:1]
	s_add_u32 s0, s0, _ZN12_GLOBAL__N_112calc_igammacIfEET_S1_S1_@rel32@lo+4
	s_addc_u32 s1, s1, _ZN12_GLOBAL__N_112calc_igammacIfEET_S1_S1_@rel32@hi+12
	s_swappc_b64 s[30:31], s[0:1]
	v_mov_b32_e32 v82, v0
.LBB38_87:
	v_lshrrev_b32_e32 v0, 16, v100
	s_and_b32 vcc_lo, exec_lo, s39
	s_delay_alu instid0(VALU_DEP_1)
	v_cvt_f32_f16_e32 v40, v0
	s_cbranch_vccnz .LBB38_89
; %bb.88:
	s_waitcnt vmcnt(3)
	s_delay_alu instid0(VALU_DEP_1) | instskip(SKIP_3) | instid1(SALU_CYCLE_1)
	v_dual_mov_b32 v0, v40 :: v_dual_mov_b32 v1, v75
	s_getpc_b64 s[0:1]
	s_add_u32 s0, s0, _ZN12_GLOBAL__N_111calc_igammaIfEET_S1_S1_@rel32@lo+4
	s_addc_u32 s1, s1, _ZN12_GLOBAL__N_111calc_igammaIfEET_S1_S1_@rel32@hi+12
	s_swappc_b64 s[30:31], s[0:1]
	v_mov_b32_e32 v83, v0
	s_cbranch_execz .LBB38_90
	s_branch .LBB38_91
.LBB38_89:
.LBB38_90:
	s_waitcnt vmcnt(3)
	s_delay_alu instid0(VALU_DEP_1) | instskip(SKIP_3) | instid1(SALU_CYCLE_1)
	v_dual_mov_b32 v0, v40 :: v_dual_mov_b32 v1, v75
	s_getpc_b64 s[0:1]
	s_add_u32 s0, s0, _ZN12_GLOBAL__N_112calc_igammacIfEET_S1_S1_@rel32@lo+4
	s_addc_u32 s1, s1, _ZN12_GLOBAL__N_112calc_igammacIfEET_S1_S1_@rel32@hi+12
	s_swappc_b64 s[30:31], s[0:1]
	v_mov_b32_e32 v83, v0
.LBB38_91:
	v_cvt_f32_f16_e32 v40, v101
	s_and_b32 vcc_lo, exec_lo, s39
	s_cbranch_vccnz .LBB38_93
; %bb.92:
	s_delay_alu instid0(VALU_DEP_1)
	v_mov_b32_e32 v0, v40
	s_waitcnt vmcnt(3)
	v_mov_b32_e32 v1, v76
	s_getpc_b64 s[0:1]
	s_add_u32 s0, s0, _ZN12_GLOBAL__N_111calc_igammaIfEET_S1_S1_@rel32@lo+4
	s_addc_u32 s1, s1, _ZN12_GLOBAL__N_111calc_igammaIfEET_S1_S1_@rel32@hi+12
	s_delay_alu instid0(SALU_CYCLE_1)
	s_swappc_b64 s[30:31], s[0:1]
	v_mov_b32_e32 v84, v0
	s_cbranch_execz .LBB38_94
	s_branch .LBB38_95
.LBB38_93:
.LBB38_94:
	s_delay_alu instid0(VALU_DEP_1)
	v_mov_b32_e32 v0, v40
	s_waitcnt vmcnt(3)
	v_mov_b32_e32 v1, v76
	s_getpc_b64 s[0:1]
	s_add_u32 s0, s0, _ZN12_GLOBAL__N_112calc_igammacIfEET_S1_S1_@rel32@lo+4
	s_addc_u32 s1, s1, _ZN12_GLOBAL__N_112calc_igammacIfEET_S1_S1_@rel32@hi+12
	s_delay_alu instid0(SALU_CYCLE_1)
	s_swappc_b64 s[30:31], s[0:1]
	v_mov_b32_e32 v84, v0
.LBB38_95:
	v_lshrrev_b32_e32 v0, 16, v101
	s_and_b32 vcc_lo, exec_lo, s39
	s_delay_alu instid0(VALU_DEP_1)
	v_cvt_f32_f16_e32 v40, v0
	s_cbranch_vccnz .LBB38_97
; %bb.96:
	s_waitcnt vmcnt(3)
	s_delay_alu instid0(VALU_DEP_1) | instskip(SKIP_3) | instid1(SALU_CYCLE_1)
	v_dual_mov_b32 v0, v40 :: v_dual_mov_b32 v1, v77
	s_getpc_b64 s[0:1]
	s_add_u32 s0, s0, _ZN12_GLOBAL__N_111calc_igammaIfEET_S1_S1_@rel32@lo+4
	s_addc_u32 s1, s1, _ZN12_GLOBAL__N_111calc_igammaIfEET_S1_S1_@rel32@hi+12
	s_swappc_b64 s[30:31], s[0:1]
	v_mov_b32_e32 v85, v0
	s_cbranch_execz .LBB38_98
	s_branch .LBB38_99
.LBB38_97:
.LBB38_98:
	s_waitcnt vmcnt(3)
	s_delay_alu instid0(VALU_DEP_1) | instskip(SKIP_3) | instid1(SALU_CYCLE_1)
	v_dual_mov_b32 v0, v40 :: v_dual_mov_b32 v1, v77
	s_getpc_b64 s[0:1]
	s_add_u32 s0, s0, _ZN12_GLOBAL__N_112calc_igammacIfEET_S1_S1_@rel32@lo+4
	s_addc_u32 s1, s1, _ZN12_GLOBAL__N_112calc_igammacIfEET_S1_S1_@rel32@hi+12
	s_swappc_b64 s[30:31], s[0:1]
	v_mov_b32_e32 v85, v0
.LBB38_99:
	s_waitcnt vmcnt(8)
	v_cvt_f32_f16_e32 v40, v94
	s_and_b32 vcc_lo, exec_lo, s39
	s_cbranch_vccnz .LBB38_101
; %bb.100:
	s_delay_alu instid0(VALU_DEP_1)
	v_mov_b32_e32 v0, v40
	s_waitcnt vmcnt(1)
	v_mov_b32_e32 v1, v60
	s_getpc_b64 s[0:1]
	s_add_u32 s0, s0, _ZN12_GLOBAL__N_111calc_igammaIfEET_S1_S1_@rel32@lo+4
	s_addc_u32 s1, s1, _ZN12_GLOBAL__N_111calc_igammaIfEET_S1_S1_@rel32@hi+12
	s_delay_alu instid0(SALU_CYCLE_1)
	s_swappc_b64 s[30:31], s[0:1]
	v_mov_b32_e32 v74, v0
	s_cbranch_execz .LBB38_102
	s_branch .LBB38_103
.LBB38_101:
                                        ; implicit-def: $vgpr74
.LBB38_102:
	s_delay_alu instid0(VALU_DEP_1)
	v_mov_b32_e32 v0, v40
	s_waitcnt vmcnt(1)
	v_mov_b32_e32 v1, v60
	s_getpc_b64 s[0:1]
	s_add_u32 s0, s0, _ZN12_GLOBAL__N_112calc_igammacIfEET_S1_S1_@rel32@lo+4
	s_addc_u32 s1, s1, _ZN12_GLOBAL__N_112calc_igammacIfEET_S1_S1_@rel32@hi+12
	s_delay_alu instid0(SALU_CYCLE_1)
	s_swappc_b64 s[30:31], s[0:1]
	v_mov_b32_e32 v74, v0
.LBB38_103:
	v_lshrrev_b32_e32 v0, 16, v94
	s_and_b32 vcc_lo, exec_lo, s39
	s_delay_alu instid0(VALU_DEP_1)
	v_cvt_f32_f16_e32 v40, v0
	s_cbranch_vccnz .LBB38_105
; %bb.104:
	s_waitcnt vmcnt(1)
	s_delay_alu instid0(VALU_DEP_1) | instskip(SKIP_3) | instid1(SALU_CYCLE_1)
	v_dual_mov_b32 v0, v40 :: v_dual_mov_b32 v1, v61
	s_getpc_b64 s[0:1]
	s_add_u32 s0, s0, _ZN12_GLOBAL__N_111calc_igammaIfEET_S1_S1_@rel32@lo+4
	s_addc_u32 s1, s1, _ZN12_GLOBAL__N_111calc_igammaIfEET_S1_S1_@rel32@hi+12
	s_swappc_b64 s[30:31], s[0:1]
	v_mov_b32_e32 v75, v0
	s_cbranch_execz .LBB38_106
	s_branch .LBB38_107
.LBB38_105:
.LBB38_106:
	s_waitcnt vmcnt(1)
	s_delay_alu instid0(VALU_DEP_1) | instskip(SKIP_3) | instid1(SALU_CYCLE_1)
	v_dual_mov_b32 v0, v40 :: v_dual_mov_b32 v1, v61
	s_getpc_b64 s[0:1]
	s_add_u32 s0, s0, _ZN12_GLOBAL__N_112calc_igammacIfEET_S1_S1_@rel32@lo+4
	s_addc_u32 s1, s1, _ZN12_GLOBAL__N_112calc_igammacIfEET_S1_S1_@rel32@hi+12
	s_swappc_b64 s[30:31], s[0:1]
	v_mov_b32_e32 v75, v0
.LBB38_107:
	v_cvt_f32_f16_e32 v40, v95
	s_and_b32 vcc_lo, exec_lo, s39
	s_cbranch_vccnz .LBB38_109
; %bb.108:
	s_waitcnt vmcnt(1)
	s_delay_alu instid0(VALU_DEP_1) | instskip(SKIP_3) | instid1(SALU_CYCLE_1)
	v_dual_mov_b32 v0, v40 :: v_dual_mov_b32 v1, v62
	s_getpc_b64 s[0:1]
	s_add_u32 s0, s0, _ZN12_GLOBAL__N_111calc_igammaIfEET_S1_S1_@rel32@lo+4
	s_addc_u32 s1, s1, _ZN12_GLOBAL__N_111calc_igammaIfEET_S1_S1_@rel32@hi+12
	s_swappc_b64 s[30:31], s[0:1]
	v_mov_b32_e32 v76, v0
	s_cbranch_execz .LBB38_110
	s_branch .LBB38_111
.LBB38_109:
.LBB38_110:
	s_waitcnt vmcnt(1)
	s_delay_alu instid0(VALU_DEP_1) | instskip(SKIP_3) | instid1(SALU_CYCLE_1)
	v_dual_mov_b32 v0, v40 :: v_dual_mov_b32 v1, v62
	s_getpc_b64 s[0:1]
	s_add_u32 s0, s0, _ZN12_GLOBAL__N_112calc_igammacIfEET_S1_S1_@rel32@lo+4
	s_addc_u32 s1, s1, _ZN12_GLOBAL__N_112calc_igammacIfEET_S1_S1_@rel32@hi+12
	s_swappc_b64 s[30:31], s[0:1]
	v_mov_b32_e32 v76, v0
.LBB38_111:
	v_lshrrev_b32_e32 v0, 16, v95
	s_and_b32 vcc_lo, exec_lo, s39
	s_delay_alu instid0(VALU_DEP_1)
	v_cvt_f32_f16_e32 v40, v0
	s_cbranch_vccnz .LBB38_113
; %bb.112:
	s_waitcnt vmcnt(1)
	s_delay_alu instid0(VALU_DEP_1) | instskip(SKIP_3) | instid1(SALU_CYCLE_1)
	v_dual_mov_b32 v0, v40 :: v_dual_mov_b32 v1, v63
	s_getpc_b64 s[0:1]
	s_add_u32 s0, s0, _ZN12_GLOBAL__N_111calc_igammaIfEET_S1_S1_@rel32@lo+4
	s_addc_u32 s1, s1, _ZN12_GLOBAL__N_111calc_igammaIfEET_S1_S1_@rel32@hi+12
	s_swappc_b64 s[30:31], s[0:1]
	v_mov_b32_e32 v77, v0
	s_cbranch_execz .LBB38_114
	s_branch .LBB38_115
.LBB38_113:
.LBB38_114:
	s_waitcnt vmcnt(1)
	s_delay_alu instid0(VALU_DEP_1) | instskip(SKIP_3) | instid1(SALU_CYCLE_1)
	v_dual_mov_b32 v0, v40 :: v_dual_mov_b32 v1, v63
	s_getpc_b64 s[0:1]
	s_add_u32 s0, s0, _ZN12_GLOBAL__N_112calc_igammacIfEET_S1_S1_@rel32@lo+4
	s_addc_u32 s1, s1, _ZN12_GLOBAL__N_112calc_igammacIfEET_S1_S1_@rel32@hi+12
	s_swappc_b64 s[30:31], s[0:1]
	v_mov_b32_e32 v77, v0
.LBB38_115:
	v_cvt_f32_f16_e32 v40, v96
	s_and_b32 vcc_lo, exec_lo, s39
	s_cbranch_vccnz .LBB38_117
; %bb.116:
	s_waitcnt vmcnt(0)
	s_delay_alu instid0(VALU_DEP_1) | instskip(SKIP_3) | instid1(SALU_CYCLE_1)
	v_dual_mov_b32 v0, v40 :: v_dual_mov_b32 v1, v42
	s_getpc_b64 s[0:1]
	s_add_u32 s0, s0, _ZN12_GLOBAL__N_111calc_igammaIfEET_S1_S1_@rel32@lo+4
	s_addc_u32 s1, s1, _ZN12_GLOBAL__N_111calc_igammaIfEET_S1_S1_@rel32@hi+12
	s_swappc_b64 s[30:31], s[0:1]
	v_mov_b32_e32 v60, v0
	s_cbranch_execz .LBB38_118
	s_branch .LBB38_119
.LBB38_117:
                                        ; implicit-def: $vgpr60
.LBB38_118:
	s_waitcnt vmcnt(0)
	s_delay_alu instid0(VALU_DEP_1) | instskip(SKIP_3) | instid1(SALU_CYCLE_1)
	v_dual_mov_b32 v0, v40 :: v_dual_mov_b32 v1, v42
	s_getpc_b64 s[0:1]
	s_add_u32 s0, s0, _ZN12_GLOBAL__N_112calc_igammacIfEET_S1_S1_@rel32@lo+4
	s_addc_u32 s1, s1, _ZN12_GLOBAL__N_112calc_igammacIfEET_S1_S1_@rel32@hi+12
	s_swappc_b64 s[30:31], s[0:1]
	v_mov_b32_e32 v60, v0
.LBB38_119:
	v_lshrrev_b32_e32 v0, 16, v96
	s_and_b32 vcc_lo, exec_lo, s39
	s_delay_alu instid0(VALU_DEP_1)
	v_cvt_f32_f16_e32 v40, v0
	s_cbranch_vccnz .LBB38_121
; %bb.120:
	s_waitcnt vmcnt(0)
	s_delay_alu instid0(VALU_DEP_1) | instskip(SKIP_3) | instid1(SALU_CYCLE_1)
	v_dual_mov_b32 v0, v40 :: v_dual_mov_b32 v1, v43
	s_getpc_b64 s[0:1]
	s_add_u32 s0, s0, _ZN12_GLOBAL__N_111calc_igammaIfEET_S1_S1_@rel32@lo+4
	s_addc_u32 s1, s1, _ZN12_GLOBAL__N_111calc_igammaIfEET_S1_S1_@rel32@hi+12
	s_swappc_b64 s[30:31], s[0:1]
	v_mov_b32_e32 v61, v0
	s_cbranch_execz .LBB38_122
	s_branch .LBB38_123
.LBB38_121:
.LBB38_122:
	s_waitcnt vmcnt(0)
	s_delay_alu instid0(VALU_DEP_1) | instskip(SKIP_3) | instid1(SALU_CYCLE_1)
	v_dual_mov_b32 v0, v40 :: v_dual_mov_b32 v1, v43
	s_getpc_b64 s[0:1]
	s_add_u32 s0, s0, _ZN12_GLOBAL__N_112calc_igammacIfEET_S1_S1_@rel32@lo+4
	s_addc_u32 s1, s1, _ZN12_GLOBAL__N_112calc_igammacIfEET_S1_S1_@rel32@hi+12
	s_swappc_b64 s[30:31], s[0:1]
	v_mov_b32_e32 v61, v0
.LBB38_123:
	v_cvt_f32_f16_e32 v40, v97
	s_and_b32 vcc_lo, exec_lo, s39
	s_cbranch_vccnz .LBB38_125
; %bb.124:
	s_delay_alu instid0(VALU_DEP_1)
	v_mov_b32_e32 v0, v40
	s_waitcnt vmcnt(0)
	v_mov_b32_e32 v1, v44
	s_getpc_b64 s[0:1]
	s_add_u32 s0, s0, _ZN12_GLOBAL__N_111calc_igammaIfEET_S1_S1_@rel32@lo+4
	s_addc_u32 s1, s1, _ZN12_GLOBAL__N_111calc_igammaIfEET_S1_S1_@rel32@hi+12
	s_delay_alu instid0(SALU_CYCLE_1)
	s_swappc_b64 s[30:31], s[0:1]
	v_mov_b32_e32 v62, v0
	s_cbranch_execz .LBB38_126
	s_branch .LBB38_127
.LBB38_125:
.LBB38_126:
	s_delay_alu instid0(VALU_DEP_1)
	v_mov_b32_e32 v0, v40
	s_waitcnt vmcnt(0)
	v_mov_b32_e32 v1, v44
	s_getpc_b64 s[0:1]
	s_add_u32 s0, s0, _ZN12_GLOBAL__N_112calc_igammacIfEET_S1_S1_@rel32@lo+4
	s_addc_u32 s1, s1, _ZN12_GLOBAL__N_112calc_igammacIfEET_S1_S1_@rel32@hi+12
	s_delay_alu instid0(SALU_CYCLE_1)
	s_swappc_b64 s[30:31], s[0:1]
	v_mov_b32_e32 v62, v0
.LBB38_127:
	v_lshrrev_b32_e32 v0, 16, v97
	s_and_b32 vcc_lo, exec_lo, s39
	s_delay_alu instid0(VALU_DEP_1)
	v_cvt_f32_f16_e32 v40, v0
	s_cbranch_vccnz .LBB38_129
; %bb.128:
	s_waitcnt vmcnt(0)
	s_delay_alu instid0(VALU_DEP_1) | instskip(SKIP_3) | instid1(SALU_CYCLE_1)
	v_dual_mov_b32 v0, v40 :: v_dual_mov_b32 v1, v45
	s_getpc_b64 s[0:1]
	s_add_u32 s0, s0, _ZN12_GLOBAL__N_111calc_igammaIfEET_S1_S1_@rel32@lo+4
	s_addc_u32 s1, s1, _ZN12_GLOBAL__N_111calc_igammaIfEET_S1_S1_@rel32@hi+12
	s_swappc_b64 s[30:31], s[0:1]
	v_mov_b32_e32 v63, v0
	s_cbranch_execz .LBB38_130
	s_branch .LBB38_131
.LBB38_129:
.LBB38_130:
	s_waitcnt vmcnt(0)
	s_delay_alu instid0(VALU_DEP_1) | instskip(SKIP_3) | instid1(SALU_CYCLE_1)
	v_dual_mov_b32 v0, v40 :: v_dual_mov_b32 v1, v45
	s_getpc_b64 s[0:1]
	s_add_u32 s0, s0, _ZN12_GLOBAL__N_112calc_igammacIfEET_S1_S1_@rel32@lo+4
	s_addc_u32 s1, s1, _ZN12_GLOBAL__N_112calc_igammacIfEET_S1_S1_@rel32@hi+12
	s_swappc_b64 s[30:31], s[0:1]
	v_mov_b32_e32 v63, v0
.LBB38_131:
	s_add_u32 s2, s40, s46
	s_addc_u32 s3, s41, s47
	v_add_co_u32 v2, s0, s2, v110
	s_delay_alu instid0(VALU_DEP_1) | instskip(NEXT) | instid1(VALU_DEP_2)
	v_add_co_ci_u32_e64 v3, null, s3, 0, s0
	v_add_co_u32 v0, vcc_lo, 0x4000, v2
	s_delay_alu instid0(VALU_DEP_2)
	v_add_co_ci_u32_e32 v1, vcc_lo, 0, v3, vcc_lo
	v_add_co_u32 v2, vcc_lo, 0xc000, v2
	v_add_co_ci_u32_e32 v3, vcc_lo, 0, v3, vcc_lo
	global_store_b128 v110, v[56:59], s[2:3]
	s_waitcnt vmcnt(7)
	s_clause 0x1
	global_store_b128 v110, v[66:69], s[2:3] offset:16
	global_store_b128 v[0:1], v[70:73], off
	s_waitcnt vmcnt(5)
	global_store_b128 v[0:1], v[78:81], off offset:16
	s_waitcnt vmcnt(4)
	global_store_b128 v47, v[86:89], s[2:3]
	s_waitcnt vmcnt(2)
	s_clause 0x1
	global_store_b128 v47, v[82:85], s[2:3] offset:16
	global_store_b128 v[2:3], v[74:77], off
	s_waitcnt vmcnt(1)
	global_store_b128 v[2:3], v[60:63], off offset:16
	s_branch .LBB38_2
.LBB38_132:
	s_clause 0x1
	s_load_b32 s6, s[36:37], 0x24
	s_load_b128 s[0:3], s[36:37], 0x28
	v_cndmask_b32_e64 v0, 0, 1, s49
	v_dual_mov_b32 v31, v46 :: v_dual_mov_b32 v2, s41
	v_dual_mov_b32 v1, s40 :: v_dual_mov_b32 v4, s43
	;; [unrolled: 1-line block ×3, first 2 shown]
	v_mov_b32_e32 v5, s44
	v_mov_b32_e32 v7, s48
	s_add_u32 s8, s36, 56
	s_addc_u32 s9, s37, 0
	s_mov_b32 s12, s38
	s_getpc_b64 s[4:5]
	s_add_u32 s4, s4, _ZN2at6native25elementwise_kernel_helperILb1EN12_GLOBAL__N_110CalcIgammaIfEENS0_6memory8policies11unroll_baseILi512ESt5arrayIPcLm3EE23TrivialOffsetCalculatorILi2EjESB_ILi1EjENS5_12LoadWithCastILi2EEENS5_13StoreWithCastILi1EEELi32ELi1EEEEEvT0_T1_@rel32@lo+4
	s_addc_u32 s5, s5, _ZN2at6native25elementwise_kernel_helperILb1EN12_GLOBAL__N_110CalcIgammaIfEENS0_6memory8policies11unroll_baseILi512ESt5arrayIPcLm3EE23TrivialOffsetCalculatorILi2EjESB_ILi1EjENS5_12LoadWithCastILi2EEENS5_13StoreWithCastILi1EEELi32ELi1EEEEEvT0_T1_@rel32@hi+12
	s_waitcnt lgkmcnt(0)
	v_lshrrev_b16 v9, 8, s6
	v_mov_b32_e32 v10, s0
	v_dual_mov_b32 v8, s6 :: v_dual_mov_b32 v11, s1
	v_dual_mov_b32 v12, s2 :: v_dual_mov_b32 v13, s3
	s_swappc_b64 s[30:31], s[4:5]
	s_endpgm
	.section	.rodata,"a",@progbits
	.p2align	6, 0x0
	.amdhsa_kernel _ZN2at6native39vectorized_templated_elementwise_kernelILi8EN12_GLOBAL__N_110CalcIgammaIfEESt5arrayIPcLm3EE23TrivialOffsetCalculatorILi2EjES8_ILi1EjENS0_6memory12LoadWithCastILi2EEENSB_13StoreWithCastILi1EEEfJN3c104HalfEfEEEviT0_T1_T2_T3_T4_T5_
		.amdhsa_group_segment_fixed_size 0
		.amdhsa_private_segment_fixed_size 448
		.amdhsa_kernarg_size 312
		.amdhsa_user_sgpr_count 15
		.amdhsa_user_sgpr_dispatch_ptr 0
		.amdhsa_user_sgpr_queue_ptr 0
		.amdhsa_user_sgpr_kernarg_segment_ptr 1
		.amdhsa_user_sgpr_dispatch_id 0
		.amdhsa_user_sgpr_private_segment_size 0
		.amdhsa_wavefront_size32 1
		.amdhsa_uses_dynamic_stack 0
		.amdhsa_enable_private_segment 1
		.amdhsa_system_sgpr_workgroup_id_x 1
		.amdhsa_system_sgpr_workgroup_id_y 0
		.amdhsa_system_sgpr_workgroup_id_z 0
		.amdhsa_system_sgpr_workgroup_info 0
		.amdhsa_system_vgpr_workitem_id 0
		.amdhsa_next_free_vgpr 147
		.amdhsa_next_free_sgpr 77
		.amdhsa_reserve_vcc 1
		.amdhsa_float_round_mode_32 0
		.amdhsa_float_round_mode_16_64 0
		.amdhsa_float_denorm_mode_32 3
		.amdhsa_float_denorm_mode_16_64 3
		.amdhsa_dx10_clamp 1
		.amdhsa_ieee_mode 1
		.amdhsa_fp16_overflow 0
		.amdhsa_workgroup_processor_mode 1
		.amdhsa_memory_ordered 1
		.amdhsa_forward_progress 0
		.amdhsa_shared_vgpr_count 0
		.amdhsa_exception_fp_ieee_invalid_op 0
		.amdhsa_exception_fp_denorm_src 0
		.amdhsa_exception_fp_ieee_div_zero 0
		.amdhsa_exception_fp_ieee_overflow 0
		.amdhsa_exception_fp_ieee_underflow 0
		.amdhsa_exception_fp_ieee_inexact 0
		.amdhsa_exception_int_div_zero 0
	.end_amdhsa_kernel
	.section	.text._ZN2at6native39vectorized_templated_elementwise_kernelILi8EN12_GLOBAL__N_110CalcIgammaIfEESt5arrayIPcLm3EE23TrivialOffsetCalculatorILi2EjES8_ILi1EjENS0_6memory12LoadWithCastILi2EEENSB_13StoreWithCastILi1EEEfJN3c104HalfEfEEEviT0_T1_T2_T3_T4_T5_,"axG",@progbits,_ZN2at6native39vectorized_templated_elementwise_kernelILi8EN12_GLOBAL__N_110CalcIgammaIfEESt5arrayIPcLm3EE23TrivialOffsetCalculatorILi2EjES8_ILi1EjENS0_6memory12LoadWithCastILi2EEENSB_13StoreWithCastILi1EEEfJN3c104HalfEfEEEviT0_T1_T2_T3_T4_T5_,comdat
.Lfunc_end38:
	.size	_ZN2at6native39vectorized_templated_elementwise_kernelILi8EN12_GLOBAL__N_110CalcIgammaIfEESt5arrayIPcLm3EE23TrivialOffsetCalculatorILi2EjES8_ILi1EjENS0_6memory12LoadWithCastILi2EEENSB_13StoreWithCastILi1EEEfJN3c104HalfEfEEEviT0_T1_T2_T3_T4_T5_, .Lfunc_end38-_ZN2at6native39vectorized_templated_elementwise_kernelILi8EN12_GLOBAL__N_110CalcIgammaIfEESt5arrayIPcLm3EE23TrivialOffsetCalculatorILi2EjES8_ILi1EjENS0_6memory12LoadWithCastILi2EEENSB_13StoreWithCastILi1EEEfJN3c104HalfEfEEEviT0_T1_T2_T3_T4_T5_
                                        ; -- End function
	.section	.AMDGPU.csdata,"",@progbits
; Kernel info:
; codeLenInByte = 4372
; NumSgprs: 79
; NumVgprs: 147
; ScratchSize: 448
; MemoryBound: 0
; FloatMode: 240
; IeeeMode: 1
; LDSByteSize: 0 bytes/workgroup (compile time only)
; SGPRBlocks: 9
; VGPRBlocks: 18
; NumSGPRsForWavesPerEU: 79
; NumVGPRsForWavesPerEU: 147
; Occupancy: 9
; WaveLimiterHint : 0
; COMPUTE_PGM_RSRC2:SCRATCH_EN: 1
; COMPUTE_PGM_RSRC2:USER_SGPR: 15
; COMPUTE_PGM_RSRC2:TRAP_HANDLER: 0
; COMPUTE_PGM_RSRC2:TGID_X_EN: 1
; COMPUTE_PGM_RSRC2:TGID_Y_EN: 0
; COMPUTE_PGM_RSRC2:TGID_Z_EN: 0
; COMPUTE_PGM_RSRC2:TIDIG_COMP_CNT: 0
	.section	.text._ZN2at6native39vectorized_templated_elementwise_kernelILi4EN12_GLOBAL__N_110CalcIgammaIfEESt5arrayIPcLm3EE23TrivialOffsetCalculatorILi2EjES8_ILi1EjENS0_6memory12LoadWithCastILi2EEENSB_13StoreWithCastILi1EEEfJN3c104HalfEfEEEviT0_T1_T2_T3_T4_T5_,"axG",@progbits,_ZN2at6native39vectorized_templated_elementwise_kernelILi4EN12_GLOBAL__N_110CalcIgammaIfEESt5arrayIPcLm3EE23TrivialOffsetCalculatorILi2EjES8_ILi1EjENS0_6memory12LoadWithCastILi2EEENSB_13StoreWithCastILi1EEEfJN3c104HalfEfEEEviT0_T1_T2_T3_T4_T5_,comdat
	.globl	_ZN2at6native39vectorized_templated_elementwise_kernelILi4EN12_GLOBAL__N_110CalcIgammaIfEESt5arrayIPcLm3EE23TrivialOffsetCalculatorILi2EjES8_ILi1EjENS0_6memory12LoadWithCastILi2EEENSB_13StoreWithCastILi1EEEfJN3c104HalfEfEEEviT0_T1_T2_T3_T4_T5_ ; -- Begin function _ZN2at6native39vectorized_templated_elementwise_kernelILi4EN12_GLOBAL__N_110CalcIgammaIfEESt5arrayIPcLm3EE23TrivialOffsetCalculatorILi2EjES8_ILi1EjENS0_6memory12LoadWithCastILi2EEENSB_13StoreWithCastILi1EEEfJN3c104HalfEfEEEviT0_T1_T2_T3_T4_T5_
	.p2align	8
	.type	_ZN2at6native39vectorized_templated_elementwise_kernelILi4EN12_GLOBAL__N_110CalcIgammaIfEESt5arrayIPcLm3EE23TrivialOffsetCalculatorILi2EjES8_ILi1EjENS0_6memory12LoadWithCastILi2EEENSB_13StoreWithCastILi1EEEfJN3c104HalfEfEEEviT0_T1_T2_T3_T4_T5_,@function
_ZN2at6native39vectorized_templated_elementwise_kernelILi4EN12_GLOBAL__N_110CalcIgammaIfEESt5arrayIPcLm3EE23TrivialOffsetCalculatorILi2EjES8_ILi1EjENS0_6memory12LoadWithCastILi2EEENSB_13StoreWithCastILi1EEEfJN3c104HalfEfEEEviT0_T1_T2_T3_T4_T5_: ; @_ZN2at6native39vectorized_templated_elementwise_kernelILi4EN12_GLOBAL__N_110CalcIgammaIfEESt5arrayIPcLm3EE23TrivialOffsetCalculatorILi2EjES8_ILi1EjENS0_6memory12LoadWithCastILi2EEENSB_13StoreWithCastILi1EEEfJN3c104HalfEfEEEviT0_T1_T2_T3_T4_T5_
; %bb.0:
	s_mov_b64 s[36:37], s[0:1]
	s_clause 0x1
	s_load_b64 s[2:3], s[0:1], 0x0
	s_load_b32 s0, s[0:1], 0x38
	s_clause 0x1
	s_load_b64 s[44:45], s[36:37], 0x18
	s_load_b128 s[40:43], s[36:37], 0x8
	v_mov_b32_e32 v47, v0
	s_mov_b32 s38, s15
	s_mov_b32 s32, 0
	s_waitcnt lgkmcnt(0)
	s_bitcmp1_b32 s3, 0
	s_cselect_b32 s49, -1, 0
	s_not_b32 s1, s15
	s_delay_alu instid0(SALU_CYCLE_1) | instskip(SKIP_2) | instid1(SALU_CYCLE_1)
	s_add_i32 s0, s0, s1
	s_mov_b32 s1, -1
	s_lshl_b32 s0, s0, 14
	s_sub_i32 s48, s2, s0
	s_delay_alu instid0(SALU_CYCLE_1)
	s_cmpk_gt_i32 s48, 0x3fff
	s_cbranch_scc1 .LBB39_3
; %bb.1:
	s_and_b32 vcc_lo, exec_lo, s1
	s_cbranch_vccnz .LBB39_132
.LBB39_2:
	s_endpgm
.LBB39_3:
	s_ashr_i32 s1, s0, 31
	v_lshlrev_b32_e32 v4, 3, v47
	s_lshl_b64 s[2:3], s[0:1], 1
	s_xor_b32 s50, s49, -1
	s_add_u32 s2, s42, s2
	s_addc_u32 s3, s43, s3
	v_add_co_u32 v5, s4, s2, v4
	s_delay_alu instid0(VALU_DEP_1) | instskip(SKIP_1) | instid1(VALU_DEP_3)
	v_add_co_ci_u32_e64 v6, null, s3, 0, s4
	v_or_b32_e32 v7, 0x400, v47
	v_add_co_u32 v0, vcc_lo, 0x1000, v5
	s_delay_alu instid0(VALU_DEP_3)
	v_add_co_ci_u32_e32 v1, vcc_lo, 0, v6, vcc_lo
	v_add_co_u32 v2, vcc_lo, 0x3000, v5
	v_lshlrev_b32_e32 v104, 4, v47
	v_lshlrev_b32_e32 v8, 3, v7
	s_lshl_b64 s[46:47], s[0:1], 2
	v_add_co_ci_u32_e32 v3, vcc_lo, 0, v6, vcc_lo
	v_or_b32_e32 v9, 0x800, v47
	s_add_u32 s0, s44, s46
	s_clause 0x3
	global_load_b64 v[60:61], v4, s[2:3]
	global_load_b64 v[62:63], v[0:1], off
	global_load_b64 v[100:101], v8, s[2:3]
	global_load_b64 v[98:99], v[2:3], off
	v_add_co_u32 v0, vcc_lo, 0x5000, v5
	v_or_b32_e32 v10, 0xc00, v47
	s_addc_u32 s1, s45, s47
	v_add_co_u32 v12, s4, s0, v104
	v_add_co_ci_u32_e32 v1, vcc_lo, 0, v6, vcc_lo
	v_add_co_ci_u32_e64 v13, null, s1, 0, s4
	v_add_co_u32 v2, vcc_lo, 0x7000, v5
	v_lshlrev_b32_e32 v8, 3, v9
	v_add_co_ci_u32_e32 v3, vcc_lo, 0, v6, vcc_lo
	v_lshlrev_b32_e32 v11, 3, v10
	v_add_co_u32 v4, vcc_lo, 0x2000, v12
	v_add_co_ci_u32_e32 v5, vcc_lo, 0, v13, vcc_lo
	s_clause 0x3
	global_load_b64 v[96:97], v8, s[2:3]
	global_load_b64 v[94:95], v[0:1], off
	global_load_b64 v[92:93], v11, s[2:3]
	global_load_b64 v[90:91], v[2:3], off
	s_clause 0x1
	global_load_b128 v[43:46], v104, s[0:1]
	global_load_b128 v[70:73], v[4:5], off
	v_add_co_u32 v0, vcc_lo, 0x6000, v12
	v_add_co_ci_u32_e32 v1, vcc_lo, 0, v13, vcc_lo
	v_lshlrev_b32_e32 v105, 4, v7
	v_add_co_u32 v2, vcc_lo, 0xa000, v12
	v_lshlrev_b32_e32 v102, 4, v9
	v_add_co_ci_u32_e32 v3, vcc_lo, 0, v13, vcc_lo
	v_add_co_u32 v4, vcc_lo, 0xe000, v12
	v_lshlrev_b32_e32 v103, 4, v10
	v_add_co_ci_u32_e32 v5, vcc_lo, 0, v13, vcc_lo
	s_clause 0x5
	global_load_b128 v[78:81], v105, s[0:1]
	global_load_b128 v[86:89], v[0:1], off
	global_load_b128 v[82:85], v102, s[0:1]
	global_load_b128 v[74:77], v[2:3], off
	;; [unrolled: 2-line block ×3, first 2 shown]
	s_and_b32 vcc_lo, exec_lo, s50
	s_mov_b32 s39, 0
	s_waitcnt vmcnt(15)
	v_cvt_f32_f16_e32 v40, v60
	s_cbranch_vccz .LBB39_5
; %bb.4:
	s_waitcnt vmcnt(7)
	s_delay_alu instid0(VALU_DEP_1) | instskip(SKIP_3) | instid1(SALU_CYCLE_1)
	v_dual_mov_b32 v0, v40 :: v_dual_mov_b32 v1, v43
	s_getpc_b64 s[0:1]
	s_add_u32 s0, s0, _ZN12_GLOBAL__N_111calc_igammaIfEET_S1_S1_@rel32@lo+4
	s_addc_u32 s1, s1, _ZN12_GLOBAL__N_111calc_igammaIfEET_S1_S1_@rel32@hi+12
	s_swappc_b64 s[30:31], s[0:1]
	v_mov_b32_e32 v42, v0
	s_and_not1_b32 vcc_lo, exec_lo, s39
	s_cbranch_vccz .LBB39_6
	s_branch .LBB39_7
.LBB39_5:
                                        ; implicit-def: $vgpr42
.LBB39_6:
	s_waitcnt vmcnt(7)
	s_delay_alu instid0(VALU_DEP_1) | instskip(SKIP_3) | instid1(SALU_CYCLE_1)
	v_dual_mov_b32 v0, v40 :: v_dual_mov_b32 v1, v43
	s_getpc_b64 s[0:1]
	s_add_u32 s0, s0, _ZN12_GLOBAL__N_112calc_igammacIfEET_S1_S1_@rel32@lo+4
	s_addc_u32 s1, s1, _ZN12_GLOBAL__N_112calc_igammacIfEET_S1_S1_@rel32@hi+12
	s_swappc_b64 s[30:31], s[0:1]
	v_mov_b32_e32 v42, v0
.LBB39_7:
	v_cndmask_b32_e64 v0, 0, 1, s50
	v_lshrrev_b32_e32 v1, 16, v60
	s_and_not1_b32 vcc_lo, exec_lo, s50
	s_delay_alu instid0(VALU_DEP_2) | instskip(NEXT) | instid1(VALU_DEP_2)
	v_cmp_ne_u32_e64 s39, 1, v0
	v_cvt_f32_f16_e32 v40, v1
	s_cbranch_vccnz .LBB39_9
; %bb.8:
	s_delay_alu instid0(VALU_DEP_1)
	v_mov_b32_e32 v0, v40
	s_waitcnt vmcnt(7)
	v_mov_b32_e32 v1, v44
	s_getpc_b64 s[0:1]
	s_add_u32 s0, s0, _ZN12_GLOBAL__N_111calc_igammaIfEET_S1_S1_@rel32@lo+4
	s_addc_u32 s1, s1, _ZN12_GLOBAL__N_111calc_igammaIfEET_S1_S1_@rel32@hi+12
	s_delay_alu instid0(SALU_CYCLE_1)
	s_swappc_b64 s[30:31], s[0:1]
	v_mov_b32_e32 v43, v0
	s_cbranch_execz .LBB39_10
	s_branch .LBB39_11
.LBB39_9:
.LBB39_10:
	s_delay_alu instid0(VALU_DEP_1)
	v_mov_b32_e32 v0, v40
	s_waitcnt vmcnt(7)
	v_mov_b32_e32 v1, v44
	s_getpc_b64 s[0:1]
	s_add_u32 s0, s0, _ZN12_GLOBAL__N_112calc_igammacIfEET_S1_S1_@rel32@lo+4
	s_addc_u32 s1, s1, _ZN12_GLOBAL__N_112calc_igammacIfEET_S1_S1_@rel32@hi+12
	s_delay_alu instid0(SALU_CYCLE_1)
	s_swappc_b64 s[30:31], s[0:1]
	v_mov_b32_e32 v43, v0
.LBB39_11:
	v_cvt_f32_f16_e32 v40, v61
	s_and_b32 vcc_lo, exec_lo, s39
	s_cbranch_vccnz .LBB39_13
; %bb.12:
	s_waitcnt vmcnt(7)
	s_delay_alu instid0(VALU_DEP_1) | instskip(SKIP_3) | instid1(SALU_CYCLE_1)
	v_dual_mov_b32 v0, v40 :: v_dual_mov_b32 v1, v45
	s_getpc_b64 s[0:1]
	s_add_u32 s0, s0, _ZN12_GLOBAL__N_111calc_igammaIfEET_S1_S1_@rel32@lo+4
	s_addc_u32 s1, s1, _ZN12_GLOBAL__N_111calc_igammaIfEET_S1_S1_@rel32@hi+12
	s_swappc_b64 s[30:31], s[0:1]
	v_mov_b32_e32 v44, v0
	s_cbranch_execz .LBB39_14
	s_branch .LBB39_15
.LBB39_13:
.LBB39_14:
	s_waitcnt vmcnt(7)
	s_delay_alu instid0(VALU_DEP_1) | instskip(SKIP_3) | instid1(SALU_CYCLE_1)
	v_dual_mov_b32 v0, v40 :: v_dual_mov_b32 v1, v45
	s_getpc_b64 s[0:1]
	s_add_u32 s0, s0, _ZN12_GLOBAL__N_112calc_igammacIfEET_S1_S1_@rel32@lo+4
	s_addc_u32 s1, s1, _ZN12_GLOBAL__N_112calc_igammacIfEET_S1_S1_@rel32@hi+12
	s_swappc_b64 s[30:31], s[0:1]
	v_mov_b32_e32 v44, v0
.LBB39_15:
	v_lshrrev_b32_e32 v0, 16, v61
	s_and_b32 vcc_lo, exec_lo, s39
	s_delay_alu instid0(VALU_DEP_1)
	v_cvt_f32_f16_e32 v40, v0
	s_cbranch_vccnz .LBB39_17
; %bb.16:
	s_waitcnt vmcnt(7)
	s_delay_alu instid0(VALU_DEP_1) | instskip(SKIP_3) | instid1(SALU_CYCLE_1)
	v_dual_mov_b32 v0, v40 :: v_dual_mov_b32 v1, v46
	s_getpc_b64 s[0:1]
	s_add_u32 s0, s0, _ZN12_GLOBAL__N_111calc_igammaIfEET_S1_S1_@rel32@lo+4
	s_addc_u32 s1, s1, _ZN12_GLOBAL__N_111calc_igammaIfEET_S1_S1_@rel32@hi+12
	s_swappc_b64 s[30:31], s[0:1]
	v_mov_b32_e32 v45, v0
	s_cbranch_execz .LBB39_18
	s_branch .LBB39_19
.LBB39_17:
.LBB39_18:
	s_waitcnt vmcnt(7)
	s_delay_alu instid0(VALU_DEP_1) | instskip(SKIP_3) | instid1(SALU_CYCLE_1)
	v_dual_mov_b32 v0, v40 :: v_dual_mov_b32 v1, v46
	s_getpc_b64 s[0:1]
	s_add_u32 s0, s0, _ZN12_GLOBAL__N_112calc_igammacIfEET_S1_S1_@rel32@lo+4
	s_addc_u32 s1, s1, _ZN12_GLOBAL__N_112calc_igammacIfEET_S1_S1_@rel32@hi+12
	s_swappc_b64 s[30:31], s[0:1]
	v_mov_b32_e32 v45, v0
.LBB39_19:
	s_waitcnt vmcnt(14)
	v_cvt_f32_f16_e32 v40, v62
	s_and_b32 vcc_lo, exec_lo, s39
	s_cbranch_vccnz .LBB39_21
; %bb.20:
	s_waitcnt vmcnt(6)
	s_delay_alu instid0(VALU_DEP_1) | instskip(SKIP_3) | instid1(SALU_CYCLE_1)
	v_dual_mov_b32 v0, v40 :: v_dual_mov_b32 v1, v70
	s_getpc_b64 s[0:1]
	s_add_u32 s0, s0, _ZN12_GLOBAL__N_111calc_igammaIfEET_S1_S1_@rel32@lo+4
	s_addc_u32 s1, s1, _ZN12_GLOBAL__N_111calc_igammaIfEET_S1_S1_@rel32@hi+12
	s_swappc_b64 s[30:31], s[0:1]
	v_mov_b32_e32 v60, v0
	s_cbranch_execz .LBB39_22
	s_branch .LBB39_23
.LBB39_21:
                                        ; implicit-def: $vgpr60
.LBB39_22:
	s_waitcnt vmcnt(6)
	s_delay_alu instid0(VALU_DEP_1) | instskip(SKIP_3) | instid1(SALU_CYCLE_1)
	v_dual_mov_b32 v0, v40 :: v_dual_mov_b32 v1, v70
	s_getpc_b64 s[0:1]
	s_add_u32 s0, s0, _ZN12_GLOBAL__N_112calc_igammacIfEET_S1_S1_@rel32@lo+4
	s_addc_u32 s1, s1, _ZN12_GLOBAL__N_112calc_igammacIfEET_S1_S1_@rel32@hi+12
	s_swappc_b64 s[30:31], s[0:1]
	v_mov_b32_e32 v60, v0
.LBB39_23:
	v_lshrrev_b32_e32 v0, 16, v62
	s_and_b32 vcc_lo, exec_lo, s39
	s_delay_alu instid0(VALU_DEP_1)
	v_cvt_f32_f16_e32 v40, v0
	s_cbranch_vccnz .LBB39_25
; %bb.24:
	s_waitcnt vmcnt(6)
	s_delay_alu instid0(VALU_DEP_1) | instskip(SKIP_3) | instid1(SALU_CYCLE_1)
	v_dual_mov_b32 v0, v40 :: v_dual_mov_b32 v1, v71
	s_getpc_b64 s[0:1]
	s_add_u32 s0, s0, _ZN12_GLOBAL__N_111calc_igammaIfEET_S1_S1_@rel32@lo+4
	s_addc_u32 s1, s1, _ZN12_GLOBAL__N_111calc_igammaIfEET_S1_S1_@rel32@hi+12
	s_swappc_b64 s[30:31], s[0:1]
	v_mov_b32_e32 v61, v0
	s_cbranch_execz .LBB39_26
	s_branch .LBB39_27
.LBB39_25:
.LBB39_26:
	s_waitcnt vmcnt(6)
	s_delay_alu instid0(VALU_DEP_1) | instskip(SKIP_3) | instid1(SALU_CYCLE_1)
	v_dual_mov_b32 v0, v40 :: v_dual_mov_b32 v1, v71
	s_getpc_b64 s[0:1]
	s_add_u32 s0, s0, _ZN12_GLOBAL__N_112calc_igammacIfEET_S1_S1_@rel32@lo+4
	s_addc_u32 s1, s1, _ZN12_GLOBAL__N_112calc_igammacIfEET_S1_S1_@rel32@hi+12
	s_swappc_b64 s[30:31], s[0:1]
	v_mov_b32_e32 v61, v0
.LBB39_27:
	v_cvt_f32_f16_e32 v40, v63
	s_and_b32 vcc_lo, exec_lo, s39
	s_cbranch_vccnz .LBB39_29
; %bb.28:
	s_delay_alu instid0(VALU_DEP_1)
	v_mov_b32_e32 v0, v40
	s_waitcnt vmcnt(6)
	v_mov_b32_e32 v1, v72
	s_getpc_b64 s[0:1]
	s_add_u32 s0, s0, _ZN12_GLOBAL__N_111calc_igammaIfEET_S1_S1_@rel32@lo+4
	s_addc_u32 s1, s1, _ZN12_GLOBAL__N_111calc_igammaIfEET_S1_S1_@rel32@hi+12
	s_delay_alu instid0(SALU_CYCLE_1)
	s_swappc_b64 s[30:31], s[0:1]
	v_mov_b32_e32 v62, v0
	s_cbranch_execz .LBB39_30
	s_branch .LBB39_31
.LBB39_29:
.LBB39_30:
	s_delay_alu instid0(VALU_DEP_1)
	v_mov_b32_e32 v0, v40
	s_waitcnt vmcnt(6)
	v_mov_b32_e32 v1, v72
	s_getpc_b64 s[0:1]
	s_add_u32 s0, s0, _ZN12_GLOBAL__N_112calc_igammacIfEET_S1_S1_@rel32@lo+4
	s_addc_u32 s1, s1, _ZN12_GLOBAL__N_112calc_igammacIfEET_S1_S1_@rel32@hi+12
	s_delay_alu instid0(SALU_CYCLE_1)
	s_swappc_b64 s[30:31], s[0:1]
	v_mov_b32_e32 v62, v0
.LBB39_31:
	v_lshrrev_b32_e32 v0, 16, v63
	s_and_b32 vcc_lo, exec_lo, s39
	s_delay_alu instid0(VALU_DEP_1)
	v_cvt_f32_f16_e32 v40, v0
	s_cbranch_vccnz .LBB39_33
; %bb.32:
	s_waitcnt vmcnt(6)
	s_delay_alu instid0(VALU_DEP_1) | instskip(SKIP_3) | instid1(SALU_CYCLE_1)
	v_dual_mov_b32 v0, v40 :: v_dual_mov_b32 v1, v73
	s_getpc_b64 s[0:1]
	s_add_u32 s0, s0, _ZN12_GLOBAL__N_111calc_igammaIfEET_S1_S1_@rel32@lo+4
	s_addc_u32 s1, s1, _ZN12_GLOBAL__N_111calc_igammaIfEET_S1_S1_@rel32@hi+12
	s_swappc_b64 s[30:31], s[0:1]
	v_mov_b32_e32 v63, v0
	s_cbranch_execz .LBB39_34
	s_branch .LBB39_35
.LBB39_33:
.LBB39_34:
	s_waitcnt vmcnt(6)
	s_delay_alu instid0(VALU_DEP_1) | instskip(SKIP_3) | instid1(SALU_CYCLE_1)
	v_dual_mov_b32 v0, v40 :: v_dual_mov_b32 v1, v73
	s_getpc_b64 s[0:1]
	s_add_u32 s0, s0, _ZN12_GLOBAL__N_112calc_igammacIfEET_S1_S1_@rel32@lo+4
	s_addc_u32 s1, s1, _ZN12_GLOBAL__N_112calc_igammacIfEET_S1_S1_@rel32@hi+12
	s_swappc_b64 s[30:31], s[0:1]
	v_mov_b32_e32 v63, v0
.LBB39_35:
	s_waitcnt vmcnt(13)
	v_cvt_f32_f16_e32 v40, v100
	s_and_b32 vcc_lo, exec_lo, s39
	s_cbranch_vccnz .LBB39_37
; %bb.36:
	s_waitcnt vmcnt(5)
	s_delay_alu instid0(VALU_DEP_1) | instskip(SKIP_3) | instid1(SALU_CYCLE_1)
	v_dual_mov_b32 v0, v40 :: v_dual_mov_b32 v1, v78
	s_getpc_b64 s[0:1]
	s_add_u32 s0, s0, _ZN12_GLOBAL__N_111calc_igammaIfEET_S1_S1_@rel32@lo+4
	s_addc_u32 s1, s1, _ZN12_GLOBAL__N_111calc_igammaIfEET_S1_S1_@rel32@hi+12
	s_swappc_b64 s[30:31], s[0:1]
	v_mov_b32_e32 v70, v0
	s_cbranch_execz .LBB39_38
	s_branch .LBB39_39
.LBB39_37:
                                        ; implicit-def: $vgpr70
.LBB39_38:
	s_waitcnt vmcnt(5)
	s_delay_alu instid0(VALU_DEP_1) | instskip(SKIP_3) | instid1(SALU_CYCLE_1)
	v_dual_mov_b32 v0, v40 :: v_dual_mov_b32 v1, v78
	s_getpc_b64 s[0:1]
	s_add_u32 s0, s0, _ZN12_GLOBAL__N_112calc_igammacIfEET_S1_S1_@rel32@lo+4
	s_addc_u32 s1, s1, _ZN12_GLOBAL__N_112calc_igammacIfEET_S1_S1_@rel32@hi+12
	s_swappc_b64 s[30:31], s[0:1]
	v_mov_b32_e32 v70, v0
.LBB39_39:
	v_lshrrev_b32_e32 v0, 16, v100
	s_and_b32 vcc_lo, exec_lo, s39
	s_delay_alu instid0(VALU_DEP_1)
	v_cvt_f32_f16_e32 v40, v0
	s_cbranch_vccnz .LBB39_41
; %bb.40:
	s_waitcnt vmcnt(5)
	s_delay_alu instid0(VALU_DEP_1) | instskip(SKIP_3) | instid1(SALU_CYCLE_1)
	v_dual_mov_b32 v0, v40 :: v_dual_mov_b32 v1, v79
	s_getpc_b64 s[0:1]
	s_add_u32 s0, s0, _ZN12_GLOBAL__N_111calc_igammaIfEET_S1_S1_@rel32@lo+4
	s_addc_u32 s1, s1, _ZN12_GLOBAL__N_111calc_igammaIfEET_S1_S1_@rel32@hi+12
	s_swappc_b64 s[30:31], s[0:1]
	v_mov_b32_e32 v71, v0
	s_cbranch_execz .LBB39_42
	s_branch .LBB39_43
.LBB39_41:
.LBB39_42:
	s_waitcnt vmcnt(5)
	s_delay_alu instid0(VALU_DEP_1) | instskip(SKIP_3) | instid1(SALU_CYCLE_1)
	v_dual_mov_b32 v0, v40 :: v_dual_mov_b32 v1, v79
	s_getpc_b64 s[0:1]
	s_add_u32 s0, s0, _ZN12_GLOBAL__N_112calc_igammacIfEET_S1_S1_@rel32@lo+4
	s_addc_u32 s1, s1, _ZN12_GLOBAL__N_112calc_igammacIfEET_S1_S1_@rel32@hi+12
	s_swappc_b64 s[30:31], s[0:1]
	v_mov_b32_e32 v71, v0
.LBB39_43:
	v_cvt_f32_f16_e32 v40, v101
	s_and_b32 vcc_lo, exec_lo, s39
	s_cbranch_vccnz .LBB39_45
; %bb.44:
	s_delay_alu instid0(VALU_DEP_1)
	v_mov_b32_e32 v0, v40
	s_waitcnt vmcnt(5)
	v_mov_b32_e32 v1, v80
	s_getpc_b64 s[0:1]
	s_add_u32 s0, s0, _ZN12_GLOBAL__N_111calc_igammaIfEET_S1_S1_@rel32@lo+4
	s_addc_u32 s1, s1, _ZN12_GLOBAL__N_111calc_igammaIfEET_S1_S1_@rel32@hi+12
	s_delay_alu instid0(SALU_CYCLE_1)
	s_swappc_b64 s[30:31], s[0:1]
	v_mov_b32_e32 v72, v0
	s_cbranch_execz .LBB39_46
	s_branch .LBB39_47
.LBB39_45:
.LBB39_46:
	s_delay_alu instid0(VALU_DEP_1)
	v_mov_b32_e32 v0, v40
	s_waitcnt vmcnt(5)
	v_mov_b32_e32 v1, v80
	s_getpc_b64 s[0:1]
	s_add_u32 s0, s0, _ZN12_GLOBAL__N_112calc_igammacIfEET_S1_S1_@rel32@lo+4
	s_addc_u32 s1, s1, _ZN12_GLOBAL__N_112calc_igammacIfEET_S1_S1_@rel32@hi+12
	s_delay_alu instid0(SALU_CYCLE_1)
	s_swappc_b64 s[30:31], s[0:1]
	v_mov_b32_e32 v72, v0
.LBB39_47:
	v_lshrrev_b32_e32 v0, 16, v101
	s_and_b32 vcc_lo, exec_lo, s39
	s_delay_alu instid0(VALU_DEP_1)
	v_cvt_f32_f16_e32 v40, v0
	s_cbranch_vccnz .LBB39_49
; %bb.48:
	s_waitcnt vmcnt(5)
	s_delay_alu instid0(VALU_DEP_1) | instskip(SKIP_3) | instid1(SALU_CYCLE_1)
	v_dual_mov_b32 v0, v40 :: v_dual_mov_b32 v1, v81
	s_getpc_b64 s[0:1]
	s_add_u32 s0, s0, _ZN12_GLOBAL__N_111calc_igammaIfEET_S1_S1_@rel32@lo+4
	s_addc_u32 s1, s1, _ZN12_GLOBAL__N_111calc_igammaIfEET_S1_S1_@rel32@hi+12
	s_swappc_b64 s[30:31], s[0:1]
	v_mov_b32_e32 v73, v0
	s_cbranch_execz .LBB39_50
	s_branch .LBB39_51
.LBB39_49:
.LBB39_50:
	s_waitcnt vmcnt(5)
	s_delay_alu instid0(VALU_DEP_1) | instskip(SKIP_3) | instid1(SALU_CYCLE_1)
	v_dual_mov_b32 v0, v40 :: v_dual_mov_b32 v1, v81
	s_getpc_b64 s[0:1]
	s_add_u32 s0, s0, _ZN12_GLOBAL__N_112calc_igammacIfEET_S1_S1_@rel32@lo+4
	s_addc_u32 s1, s1, _ZN12_GLOBAL__N_112calc_igammacIfEET_S1_S1_@rel32@hi+12
	s_swappc_b64 s[30:31], s[0:1]
	v_mov_b32_e32 v73, v0
.LBB39_51:
	s_waitcnt vmcnt(12)
	v_cvt_f32_f16_e32 v40, v98
	s_and_b32 vcc_lo, exec_lo, s39
	s_cbranch_vccnz .LBB39_53
; %bb.52:
	s_waitcnt vmcnt(4)
	s_delay_alu instid0(VALU_DEP_1) | instskip(SKIP_3) | instid1(SALU_CYCLE_1)
	v_dual_mov_b32 v0, v40 :: v_dual_mov_b32 v1, v86
	s_getpc_b64 s[0:1]
	s_add_u32 s0, s0, _ZN12_GLOBAL__N_111calc_igammaIfEET_S1_S1_@rel32@lo+4
	s_addc_u32 s1, s1, _ZN12_GLOBAL__N_111calc_igammaIfEET_S1_S1_@rel32@hi+12
	s_swappc_b64 s[30:31], s[0:1]
	v_mov_b32_e32 v78, v0
	s_cbranch_execz .LBB39_54
	s_branch .LBB39_55
.LBB39_53:
                                        ; implicit-def: $vgpr78
.LBB39_54:
	s_waitcnt vmcnt(4)
	s_delay_alu instid0(VALU_DEP_1) | instskip(SKIP_3) | instid1(SALU_CYCLE_1)
	v_dual_mov_b32 v0, v40 :: v_dual_mov_b32 v1, v86
	s_getpc_b64 s[0:1]
	s_add_u32 s0, s0, _ZN12_GLOBAL__N_112calc_igammacIfEET_S1_S1_@rel32@lo+4
	s_addc_u32 s1, s1, _ZN12_GLOBAL__N_112calc_igammacIfEET_S1_S1_@rel32@hi+12
	s_swappc_b64 s[30:31], s[0:1]
	v_mov_b32_e32 v78, v0
.LBB39_55:
	v_lshrrev_b32_e32 v0, 16, v98
	s_and_b32 vcc_lo, exec_lo, s39
	s_delay_alu instid0(VALU_DEP_1)
	v_cvt_f32_f16_e32 v40, v0
	s_cbranch_vccnz .LBB39_57
; %bb.56:
	s_waitcnt vmcnt(4)
	s_delay_alu instid0(VALU_DEP_1) | instskip(SKIP_3) | instid1(SALU_CYCLE_1)
	v_dual_mov_b32 v0, v40 :: v_dual_mov_b32 v1, v87
	s_getpc_b64 s[0:1]
	s_add_u32 s0, s0, _ZN12_GLOBAL__N_111calc_igammaIfEET_S1_S1_@rel32@lo+4
	s_addc_u32 s1, s1, _ZN12_GLOBAL__N_111calc_igammaIfEET_S1_S1_@rel32@hi+12
	s_swappc_b64 s[30:31], s[0:1]
	v_mov_b32_e32 v79, v0
	s_cbranch_execz .LBB39_58
	s_branch .LBB39_59
.LBB39_57:
.LBB39_58:
	s_waitcnt vmcnt(4)
	s_delay_alu instid0(VALU_DEP_1) | instskip(SKIP_3) | instid1(SALU_CYCLE_1)
	v_dual_mov_b32 v0, v40 :: v_dual_mov_b32 v1, v87
	s_getpc_b64 s[0:1]
	s_add_u32 s0, s0, _ZN12_GLOBAL__N_112calc_igammacIfEET_S1_S1_@rel32@lo+4
	s_addc_u32 s1, s1, _ZN12_GLOBAL__N_112calc_igammacIfEET_S1_S1_@rel32@hi+12
	s_swappc_b64 s[30:31], s[0:1]
	v_mov_b32_e32 v79, v0
.LBB39_59:
	v_cvt_f32_f16_e32 v40, v99
	s_and_b32 vcc_lo, exec_lo, s39
	s_cbranch_vccnz .LBB39_61
; %bb.60:
	s_delay_alu instid0(VALU_DEP_1)
	v_mov_b32_e32 v0, v40
	s_waitcnt vmcnt(4)
	v_mov_b32_e32 v1, v88
	s_getpc_b64 s[0:1]
	s_add_u32 s0, s0, _ZN12_GLOBAL__N_111calc_igammaIfEET_S1_S1_@rel32@lo+4
	s_addc_u32 s1, s1, _ZN12_GLOBAL__N_111calc_igammaIfEET_S1_S1_@rel32@hi+12
	s_delay_alu instid0(SALU_CYCLE_1)
	s_swappc_b64 s[30:31], s[0:1]
	v_mov_b32_e32 v80, v0
	s_cbranch_execz .LBB39_62
	s_branch .LBB39_63
.LBB39_61:
.LBB39_62:
	s_delay_alu instid0(VALU_DEP_1)
	v_mov_b32_e32 v0, v40
	s_waitcnt vmcnt(4)
	v_mov_b32_e32 v1, v88
	s_getpc_b64 s[0:1]
	s_add_u32 s0, s0, _ZN12_GLOBAL__N_112calc_igammacIfEET_S1_S1_@rel32@lo+4
	s_addc_u32 s1, s1, _ZN12_GLOBAL__N_112calc_igammacIfEET_S1_S1_@rel32@hi+12
	s_delay_alu instid0(SALU_CYCLE_1)
	s_swappc_b64 s[30:31], s[0:1]
	v_mov_b32_e32 v80, v0
.LBB39_63:
	v_lshrrev_b32_e32 v0, 16, v99
	s_and_b32 vcc_lo, exec_lo, s39
	s_delay_alu instid0(VALU_DEP_1)
	v_cvt_f32_f16_e32 v40, v0
	s_cbranch_vccnz .LBB39_65
; %bb.64:
	s_waitcnt vmcnt(4)
	s_delay_alu instid0(VALU_DEP_1) | instskip(SKIP_3) | instid1(SALU_CYCLE_1)
	v_dual_mov_b32 v0, v40 :: v_dual_mov_b32 v1, v89
	s_getpc_b64 s[0:1]
	s_add_u32 s0, s0, _ZN12_GLOBAL__N_111calc_igammaIfEET_S1_S1_@rel32@lo+4
	s_addc_u32 s1, s1, _ZN12_GLOBAL__N_111calc_igammaIfEET_S1_S1_@rel32@hi+12
	s_swappc_b64 s[30:31], s[0:1]
	v_mov_b32_e32 v81, v0
	s_cbranch_execz .LBB39_66
	s_branch .LBB39_67
.LBB39_65:
.LBB39_66:
	s_waitcnt vmcnt(4)
	s_delay_alu instid0(VALU_DEP_1) | instskip(SKIP_3) | instid1(SALU_CYCLE_1)
	v_dual_mov_b32 v0, v40 :: v_dual_mov_b32 v1, v89
	s_getpc_b64 s[0:1]
	s_add_u32 s0, s0, _ZN12_GLOBAL__N_112calc_igammacIfEET_S1_S1_@rel32@lo+4
	s_addc_u32 s1, s1, _ZN12_GLOBAL__N_112calc_igammacIfEET_S1_S1_@rel32@hi+12
	s_swappc_b64 s[30:31], s[0:1]
	v_mov_b32_e32 v81, v0
.LBB39_67:
	s_waitcnt vmcnt(11)
	v_cvt_f32_f16_e32 v40, v96
	s_and_b32 vcc_lo, exec_lo, s39
	s_cbranch_vccnz .LBB39_69
; %bb.68:
	s_waitcnt vmcnt(3)
	s_delay_alu instid0(VALU_DEP_1) | instskip(SKIP_3) | instid1(SALU_CYCLE_1)
	v_dual_mov_b32 v0, v40 :: v_dual_mov_b32 v1, v82
	s_getpc_b64 s[0:1]
	s_add_u32 s0, s0, _ZN12_GLOBAL__N_111calc_igammaIfEET_S1_S1_@rel32@lo+4
	s_addc_u32 s1, s1, _ZN12_GLOBAL__N_111calc_igammaIfEET_S1_S1_@rel32@hi+12
	s_swappc_b64 s[30:31], s[0:1]
	v_mov_b32_e32 v86, v0
	s_cbranch_execz .LBB39_70
	s_branch .LBB39_71
.LBB39_69:
                                        ; implicit-def: $vgpr86
.LBB39_70:
	s_waitcnt vmcnt(3)
	s_delay_alu instid0(VALU_DEP_1) | instskip(SKIP_3) | instid1(SALU_CYCLE_1)
	v_dual_mov_b32 v0, v40 :: v_dual_mov_b32 v1, v82
	s_getpc_b64 s[0:1]
	s_add_u32 s0, s0, _ZN12_GLOBAL__N_112calc_igammacIfEET_S1_S1_@rel32@lo+4
	s_addc_u32 s1, s1, _ZN12_GLOBAL__N_112calc_igammacIfEET_S1_S1_@rel32@hi+12
	s_swappc_b64 s[30:31], s[0:1]
	v_mov_b32_e32 v86, v0
.LBB39_71:
	v_lshrrev_b32_e32 v0, 16, v96
	s_and_b32 vcc_lo, exec_lo, s39
	s_delay_alu instid0(VALU_DEP_1)
	v_cvt_f32_f16_e32 v40, v0
	s_cbranch_vccnz .LBB39_73
; %bb.72:
	s_waitcnt vmcnt(3)
	s_delay_alu instid0(VALU_DEP_1) | instskip(SKIP_3) | instid1(SALU_CYCLE_1)
	v_dual_mov_b32 v0, v40 :: v_dual_mov_b32 v1, v83
	s_getpc_b64 s[0:1]
	s_add_u32 s0, s0, _ZN12_GLOBAL__N_111calc_igammaIfEET_S1_S1_@rel32@lo+4
	s_addc_u32 s1, s1, _ZN12_GLOBAL__N_111calc_igammaIfEET_S1_S1_@rel32@hi+12
	s_swappc_b64 s[30:31], s[0:1]
	v_mov_b32_e32 v87, v0
	s_cbranch_execz .LBB39_74
	s_branch .LBB39_75
.LBB39_73:
.LBB39_74:
	s_waitcnt vmcnt(3)
	s_delay_alu instid0(VALU_DEP_1) | instskip(SKIP_3) | instid1(SALU_CYCLE_1)
	v_dual_mov_b32 v0, v40 :: v_dual_mov_b32 v1, v83
	s_getpc_b64 s[0:1]
	s_add_u32 s0, s0, _ZN12_GLOBAL__N_112calc_igammacIfEET_S1_S1_@rel32@lo+4
	s_addc_u32 s1, s1, _ZN12_GLOBAL__N_112calc_igammacIfEET_S1_S1_@rel32@hi+12
	s_swappc_b64 s[30:31], s[0:1]
	v_mov_b32_e32 v87, v0
.LBB39_75:
	v_cvt_f32_f16_e32 v40, v97
	s_and_b32 vcc_lo, exec_lo, s39
	s_cbranch_vccnz .LBB39_77
; %bb.76:
	s_delay_alu instid0(VALU_DEP_1)
	v_mov_b32_e32 v0, v40
	s_waitcnt vmcnt(3)
	v_mov_b32_e32 v1, v84
	s_getpc_b64 s[0:1]
	s_add_u32 s0, s0, _ZN12_GLOBAL__N_111calc_igammaIfEET_S1_S1_@rel32@lo+4
	s_addc_u32 s1, s1, _ZN12_GLOBAL__N_111calc_igammaIfEET_S1_S1_@rel32@hi+12
	s_delay_alu instid0(SALU_CYCLE_1)
	s_swappc_b64 s[30:31], s[0:1]
	v_mov_b32_e32 v88, v0
	s_cbranch_execz .LBB39_78
	s_branch .LBB39_79
.LBB39_77:
.LBB39_78:
	s_delay_alu instid0(VALU_DEP_1)
	v_mov_b32_e32 v0, v40
	s_waitcnt vmcnt(3)
	v_mov_b32_e32 v1, v84
	s_getpc_b64 s[0:1]
	s_add_u32 s0, s0, _ZN12_GLOBAL__N_112calc_igammacIfEET_S1_S1_@rel32@lo+4
	s_addc_u32 s1, s1, _ZN12_GLOBAL__N_112calc_igammacIfEET_S1_S1_@rel32@hi+12
	s_delay_alu instid0(SALU_CYCLE_1)
	s_swappc_b64 s[30:31], s[0:1]
	v_mov_b32_e32 v88, v0
.LBB39_79:
	v_lshrrev_b32_e32 v0, 16, v97
	s_and_b32 vcc_lo, exec_lo, s39
	s_delay_alu instid0(VALU_DEP_1)
	v_cvt_f32_f16_e32 v40, v0
	s_cbranch_vccnz .LBB39_81
; %bb.80:
	s_waitcnt vmcnt(3)
	s_delay_alu instid0(VALU_DEP_1) | instskip(SKIP_3) | instid1(SALU_CYCLE_1)
	v_dual_mov_b32 v0, v40 :: v_dual_mov_b32 v1, v85
	s_getpc_b64 s[0:1]
	s_add_u32 s0, s0, _ZN12_GLOBAL__N_111calc_igammaIfEET_S1_S1_@rel32@lo+4
	s_addc_u32 s1, s1, _ZN12_GLOBAL__N_111calc_igammaIfEET_S1_S1_@rel32@hi+12
	s_swappc_b64 s[30:31], s[0:1]
	v_mov_b32_e32 v89, v0
	s_cbranch_execz .LBB39_82
	s_branch .LBB39_83
.LBB39_81:
.LBB39_82:
	s_waitcnt vmcnt(3)
	s_delay_alu instid0(VALU_DEP_1) | instskip(SKIP_3) | instid1(SALU_CYCLE_1)
	v_dual_mov_b32 v0, v40 :: v_dual_mov_b32 v1, v85
	s_getpc_b64 s[0:1]
	s_add_u32 s0, s0, _ZN12_GLOBAL__N_112calc_igammacIfEET_S1_S1_@rel32@lo+4
	s_addc_u32 s1, s1, _ZN12_GLOBAL__N_112calc_igammacIfEET_S1_S1_@rel32@hi+12
	s_swappc_b64 s[30:31], s[0:1]
	v_mov_b32_e32 v89, v0
.LBB39_83:
	s_waitcnt vmcnt(10)
	v_cvt_f32_f16_e32 v40, v94
	s_and_b32 vcc_lo, exec_lo, s39
	s_cbranch_vccnz .LBB39_85
; %bb.84:
	s_waitcnt vmcnt(2)
	s_delay_alu instid0(VALU_DEP_1) | instskip(SKIP_3) | instid1(SALU_CYCLE_1)
	v_dual_mov_b32 v0, v40 :: v_dual_mov_b32 v1, v74
	s_getpc_b64 s[0:1]
	s_add_u32 s0, s0, _ZN12_GLOBAL__N_111calc_igammaIfEET_S1_S1_@rel32@lo+4
	s_addc_u32 s1, s1, _ZN12_GLOBAL__N_111calc_igammaIfEET_S1_S1_@rel32@hi+12
	s_swappc_b64 s[30:31], s[0:1]
	v_mov_b32_e32 v82, v0
	s_cbranch_execz .LBB39_86
	s_branch .LBB39_87
.LBB39_85:
                                        ; implicit-def: $vgpr82
.LBB39_86:
	s_waitcnt vmcnt(2)
	s_delay_alu instid0(VALU_DEP_1) | instskip(SKIP_3) | instid1(SALU_CYCLE_1)
	v_dual_mov_b32 v0, v40 :: v_dual_mov_b32 v1, v74
	s_getpc_b64 s[0:1]
	s_add_u32 s0, s0, _ZN12_GLOBAL__N_112calc_igammacIfEET_S1_S1_@rel32@lo+4
	s_addc_u32 s1, s1, _ZN12_GLOBAL__N_112calc_igammacIfEET_S1_S1_@rel32@hi+12
	s_swappc_b64 s[30:31], s[0:1]
	v_mov_b32_e32 v82, v0
.LBB39_87:
	v_lshrrev_b32_e32 v0, 16, v94
	s_and_b32 vcc_lo, exec_lo, s39
	s_delay_alu instid0(VALU_DEP_1)
	v_cvt_f32_f16_e32 v40, v0
	s_cbranch_vccnz .LBB39_89
; %bb.88:
	s_waitcnt vmcnt(2)
	s_delay_alu instid0(VALU_DEP_1) | instskip(SKIP_3) | instid1(SALU_CYCLE_1)
	v_dual_mov_b32 v0, v40 :: v_dual_mov_b32 v1, v75
	s_getpc_b64 s[0:1]
	s_add_u32 s0, s0, _ZN12_GLOBAL__N_111calc_igammaIfEET_S1_S1_@rel32@lo+4
	s_addc_u32 s1, s1, _ZN12_GLOBAL__N_111calc_igammaIfEET_S1_S1_@rel32@hi+12
	s_swappc_b64 s[30:31], s[0:1]
	v_mov_b32_e32 v83, v0
	s_cbranch_execz .LBB39_90
	s_branch .LBB39_91
.LBB39_89:
.LBB39_90:
	s_waitcnt vmcnt(2)
	s_delay_alu instid0(VALU_DEP_1) | instskip(SKIP_3) | instid1(SALU_CYCLE_1)
	v_dual_mov_b32 v0, v40 :: v_dual_mov_b32 v1, v75
	s_getpc_b64 s[0:1]
	s_add_u32 s0, s0, _ZN12_GLOBAL__N_112calc_igammacIfEET_S1_S1_@rel32@lo+4
	s_addc_u32 s1, s1, _ZN12_GLOBAL__N_112calc_igammacIfEET_S1_S1_@rel32@hi+12
	s_swappc_b64 s[30:31], s[0:1]
	v_mov_b32_e32 v83, v0
.LBB39_91:
	v_cvt_f32_f16_e32 v40, v95
	s_and_b32 vcc_lo, exec_lo, s39
	s_cbranch_vccnz .LBB39_93
; %bb.92:
	s_delay_alu instid0(VALU_DEP_1)
	v_mov_b32_e32 v0, v40
	s_waitcnt vmcnt(2)
	v_mov_b32_e32 v1, v76
	s_getpc_b64 s[0:1]
	s_add_u32 s0, s0, _ZN12_GLOBAL__N_111calc_igammaIfEET_S1_S1_@rel32@lo+4
	s_addc_u32 s1, s1, _ZN12_GLOBAL__N_111calc_igammaIfEET_S1_S1_@rel32@hi+12
	s_delay_alu instid0(SALU_CYCLE_1)
	s_swappc_b64 s[30:31], s[0:1]
	v_mov_b32_e32 v84, v0
	s_cbranch_execz .LBB39_94
	s_branch .LBB39_95
.LBB39_93:
.LBB39_94:
	s_delay_alu instid0(VALU_DEP_1)
	v_mov_b32_e32 v0, v40
	s_waitcnt vmcnt(2)
	v_mov_b32_e32 v1, v76
	s_getpc_b64 s[0:1]
	s_add_u32 s0, s0, _ZN12_GLOBAL__N_112calc_igammacIfEET_S1_S1_@rel32@lo+4
	s_addc_u32 s1, s1, _ZN12_GLOBAL__N_112calc_igammacIfEET_S1_S1_@rel32@hi+12
	s_delay_alu instid0(SALU_CYCLE_1)
	s_swappc_b64 s[30:31], s[0:1]
	v_mov_b32_e32 v84, v0
.LBB39_95:
	v_lshrrev_b32_e32 v0, 16, v95
	s_and_b32 vcc_lo, exec_lo, s39
	s_delay_alu instid0(VALU_DEP_1)
	v_cvt_f32_f16_e32 v40, v0
	s_cbranch_vccnz .LBB39_97
; %bb.96:
	s_waitcnt vmcnt(2)
	s_delay_alu instid0(VALU_DEP_1) | instskip(SKIP_3) | instid1(SALU_CYCLE_1)
	v_dual_mov_b32 v0, v40 :: v_dual_mov_b32 v1, v77
	s_getpc_b64 s[0:1]
	s_add_u32 s0, s0, _ZN12_GLOBAL__N_111calc_igammaIfEET_S1_S1_@rel32@lo+4
	s_addc_u32 s1, s1, _ZN12_GLOBAL__N_111calc_igammaIfEET_S1_S1_@rel32@hi+12
	s_swappc_b64 s[30:31], s[0:1]
	v_mov_b32_e32 v85, v0
	s_cbranch_execz .LBB39_98
	s_branch .LBB39_99
.LBB39_97:
.LBB39_98:
	s_waitcnt vmcnt(2)
	s_delay_alu instid0(VALU_DEP_1) | instskip(SKIP_3) | instid1(SALU_CYCLE_1)
	v_dual_mov_b32 v0, v40 :: v_dual_mov_b32 v1, v77
	s_getpc_b64 s[0:1]
	s_add_u32 s0, s0, _ZN12_GLOBAL__N_112calc_igammacIfEET_S1_S1_@rel32@lo+4
	s_addc_u32 s1, s1, _ZN12_GLOBAL__N_112calc_igammacIfEET_S1_S1_@rel32@hi+12
	s_swappc_b64 s[30:31], s[0:1]
	v_mov_b32_e32 v85, v0
.LBB39_99:
	s_waitcnt vmcnt(9)
	v_cvt_f32_f16_e32 v40, v92
	s_and_b32 vcc_lo, exec_lo, s39
	s_cbranch_vccnz .LBB39_101
; %bb.100:
	s_waitcnt vmcnt(1)
	s_delay_alu instid0(VALU_DEP_1) | instskip(SKIP_3) | instid1(SALU_CYCLE_1)
	v_dual_mov_b32 v0, v40 :: v_dual_mov_b32 v1, v66
	s_getpc_b64 s[0:1]
	s_add_u32 s0, s0, _ZN12_GLOBAL__N_111calc_igammaIfEET_S1_S1_@rel32@lo+4
	s_addc_u32 s1, s1, _ZN12_GLOBAL__N_111calc_igammaIfEET_S1_S1_@rel32@hi+12
	s_swappc_b64 s[30:31], s[0:1]
	v_mov_b32_e32 v74, v0
	s_cbranch_execz .LBB39_102
	s_branch .LBB39_103
.LBB39_101:
                                        ; implicit-def: $vgpr74
.LBB39_102:
	s_waitcnt vmcnt(1)
	s_delay_alu instid0(VALU_DEP_1) | instskip(SKIP_3) | instid1(SALU_CYCLE_1)
	v_dual_mov_b32 v0, v40 :: v_dual_mov_b32 v1, v66
	s_getpc_b64 s[0:1]
	s_add_u32 s0, s0, _ZN12_GLOBAL__N_112calc_igammacIfEET_S1_S1_@rel32@lo+4
	s_addc_u32 s1, s1, _ZN12_GLOBAL__N_112calc_igammacIfEET_S1_S1_@rel32@hi+12
	s_swappc_b64 s[30:31], s[0:1]
	v_mov_b32_e32 v74, v0
.LBB39_103:
	v_lshrrev_b32_e32 v0, 16, v92
	s_and_b32 vcc_lo, exec_lo, s39
	s_delay_alu instid0(VALU_DEP_1)
	v_cvt_f32_f16_e32 v40, v0
	s_cbranch_vccnz .LBB39_105
; %bb.104:
	s_waitcnt vmcnt(1)
	s_delay_alu instid0(VALU_DEP_1) | instskip(SKIP_3) | instid1(SALU_CYCLE_1)
	v_dual_mov_b32 v0, v40 :: v_dual_mov_b32 v1, v67
	s_getpc_b64 s[0:1]
	s_add_u32 s0, s0, _ZN12_GLOBAL__N_111calc_igammaIfEET_S1_S1_@rel32@lo+4
	s_addc_u32 s1, s1, _ZN12_GLOBAL__N_111calc_igammaIfEET_S1_S1_@rel32@hi+12
	s_swappc_b64 s[30:31], s[0:1]
	v_mov_b32_e32 v75, v0
	s_cbranch_execz .LBB39_106
	s_branch .LBB39_107
.LBB39_105:
.LBB39_106:
	s_waitcnt vmcnt(1)
	s_delay_alu instid0(VALU_DEP_1) | instskip(SKIP_3) | instid1(SALU_CYCLE_1)
	v_dual_mov_b32 v0, v40 :: v_dual_mov_b32 v1, v67
	s_getpc_b64 s[0:1]
	s_add_u32 s0, s0, _ZN12_GLOBAL__N_112calc_igammacIfEET_S1_S1_@rel32@lo+4
	s_addc_u32 s1, s1, _ZN12_GLOBAL__N_112calc_igammacIfEET_S1_S1_@rel32@hi+12
	s_swappc_b64 s[30:31], s[0:1]
	v_mov_b32_e32 v75, v0
.LBB39_107:
	v_cvt_f32_f16_e32 v40, v93
	s_and_b32 vcc_lo, exec_lo, s39
	s_cbranch_vccnz .LBB39_109
; %bb.108:
	s_delay_alu instid0(VALU_DEP_1)
	v_mov_b32_e32 v0, v40
	s_waitcnt vmcnt(1)
	v_mov_b32_e32 v1, v68
	s_getpc_b64 s[0:1]
	s_add_u32 s0, s0, _ZN12_GLOBAL__N_111calc_igammaIfEET_S1_S1_@rel32@lo+4
	s_addc_u32 s1, s1, _ZN12_GLOBAL__N_111calc_igammaIfEET_S1_S1_@rel32@hi+12
	s_delay_alu instid0(SALU_CYCLE_1)
	s_swappc_b64 s[30:31], s[0:1]
	v_mov_b32_e32 v76, v0
	s_cbranch_execz .LBB39_110
	s_branch .LBB39_111
.LBB39_109:
.LBB39_110:
	s_delay_alu instid0(VALU_DEP_1)
	v_mov_b32_e32 v0, v40
	s_waitcnt vmcnt(1)
	v_mov_b32_e32 v1, v68
	s_getpc_b64 s[0:1]
	s_add_u32 s0, s0, _ZN12_GLOBAL__N_112calc_igammacIfEET_S1_S1_@rel32@lo+4
	s_addc_u32 s1, s1, _ZN12_GLOBAL__N_112calc_igammacIfEET_S1_S1_@rel32@hi+12
	s_delay_alu instid0(SALU_CYCLE_1)
	s_swappc_b64 s[30:31], s[0:1]
	v_mov_b32_e32 v76, v0
.LBB39_111:
	v_lshrrev_b32_e32 v0, 16, v93
	s_and_b32 vcc_lo, exec_lo, s39
	s_delay_alu instid0(VALU_DEP_1)
	v_cvt_f32_f16_e32 v40, v0
	s_cbranch_vccnz .LBB39_113
; %bb.112:
	s_waitcnt vmcnt(1)
	s_delay_alu instid0(VALU_DEP_1) | instskip(SKIP_3) | instid1(SALU_CYCLE_1)
	v_dual_mov_b32 v0, v40 :: v_dual_mov_b32 v1, v69
	s_getpc_b64 s[0:1]
	s_add_u32 s0, s0, _ZN12_GLOBAL__N_111calc_igammaIfEET_S1_S1_@rel32@lo+4
	s_addc_u32 s1, s1, _ZN12_GLOBAL__N_111calc_igammaIfEET_S1_S1_@rel32@hi+12
	s_swappc_b64 s[30:31], s[0:1]
	v_mov_b32_e32 v77, v0
	s_cbranch_execz .LBB39_114
	s_branch .LBB39_115
.LBB39_113:
.LBB39_114:
	s_waitcnt vmcnt(1)
	s_delay_alu instid0(VALU_DEP_1) | instskip(SKIP_3) | instid1(SALU_CYCLE_1)
	v_dual_mov_b32 v0, v40 :: v_dual_mov_b32 v1, v69
	s_getpc_b64 s[0:1]
	s_add_u32 s0, s0, _ZN12_GLOBAL__N_112calc_igammacIfEET_S1_S1_@rel32@lo+4
	s_addc_u32 s1, s1, _ZN12_GLOBAL__N_112calc_igammacIfEET_S1_S1_@rel32@hi+12
	s_swappc_b64 s[30:31], s[0:1]
	v_mov_b32_e32 v77, v0
.LBB39_115:
	s_waitcnt vmcnt(8)
	v_cvt_f32_f16_e32 v40, v90
	s_and_b32 vcc_lo, exec_lo, s39
	s_cbranch_vccnz .LBB39_117
; %bb.116:
	s_delay_alu instid0(VALU_DEP_1)
	v_mov_b32_e32 v0, v40
	s_waitcnt vmcnt(0)
	v_mov_b32_e32 v1, v56
	s_getpc_b64 s[0:1]
	s_add_u32 s0, s0, _ZN12_GLOBAL__N_111calc_igammaIfEET_S1_S1_@rel32@lo+4
	s_addc_u32 s1, s1, _ZN12_GLOBAL__N_111calc_igammaIfEET_S1_S1_@rel32@hi+12
	s_delay_alu instid0(SALU_CYCLE_1)
	s_swappc_b64 s[30:31], s[0:1]
	v_mov_b32_e32 v66, v0
	s_cbranch_execz .LBB39_118
	s_branch .LBB39_119
.LBB39_117:
                                        ; implicit-def: $vgpr66
.LBB39_118:
	s_delay_alu instid0(VALU_DEP_1)
	v_mov_b32_e32 v0, v40
	s_waitcnt vmcnt(0)
	v_mov_b32_e32 v1, v56
	s_getpc_b64 s[0:1]
	s_add_u32 s0, s0, _ZN12_GLOBAL__N_112calc_igammacIfEET_S1_S1_@rel32@lo+4
	s_addc_u32 s1, s1, _ZN12_GLOBAL__N_112calc_igammacIfEET_S1_S1_@rel32@hi+12
	s_delay_alu instid0(SALU_CYCLE_1)
	s_swappc_b64 s[30:31], s[0:1]
	v_mov_b32_e32 v66, v0
.LBB39_119:
	v_lshrrev_b32_e32 v0, 16, v90
	s_and_b32 vcc_lo, exec_lo, s39
	s_delay_alu instid0(VALU_DEP_1)
	v_cvt_f32_f16_e32 v40, v0
	s_cbranch_vccnz .LBB39_121
; %bb.120:
	s_waitcnt vmcnt(0)
	s_delay_alu instid0(VALU_DEP_1) | instskip(SKIP_3) | instid1(SALU_CYCLE_1)
	v_dual_mov_b32 v0, v40 :: v_dual_mov_b32 v1, v57
	s_getpc_b64 s[0:1]
	s_add_u32 s0, s0, _ZN12_GLOBAL__N_111calc_igammaIfEET_S1_S1_@rel32@lo+4
	s_addc_u32 s1, s1, _ZN12_GLOBAL__N_111calc_igammaIfEET_S1_S1_@rel32@hi+12
	s_swappc_b64 s[30:31], s[0:1]
	v_mov_b32_e32 v67, v0
	s_cbranch_execz .LBB39_122
	s_branch .LBB39_123
.LBB39_121:
.LBB39_122:
	s_waitcnt vmcnt(0)
	s_delay_alu instid0(VALU_DEP_1) | instskip(SKIP_3) | instid1(SALU_CYCLE_1)
	v_dual_mov_b32 v0, v40 :: v_dual_mov_b32 v1, v57
	s_getpc_b64 s[0:1]
	s_add_u32 s0, s0, _ZN12_GLOBAL__N_112calc_igammacIfEET_S1_S1_@rel32@lo+4
	s_addc_u32 s1, s1, _ZN12_GLOBAL__N_112calc_igammacIfEET_S1_S1_@rel32@hi+12
	s_swappc_b64 s[30:31], s[0:1]
	v_mov_b32_e32 v67, v0
.LBB39_123:
	v_cvt_f32_f16_e32 v40, v91
	s_and_b32 vcc_lo, exec_lo, s39
	s_cbranch_vccnz .LBB39_125
; %bb.124:
	s_waitcnt vmcnt(0)
	s_delay_alu instid0(VALU_DEP_1) | instskip(SKIP_3) | instid1(SALU_CYCLE_1)
	v_dual_mov_b32 v0, v40 :: v_dual_mov_b32 v1, v58
	s_getpc_b64 s[0:1]
	s_add_u32 s0, s0, _ZN12_GLOBAL__N_111calc_igammaIfEET_S1_S1_@rel32@lo+4
	s_addc_u32 s1, s1, _ZN12_GLOBAL__N_111calc_igammaIfEET_S1_S1_@rel32@hi+12
	s_swappc_b64 s[30:31], s[0:1]
	v_mov_b32_e32 v68, v0
	s_cbranch_execz .LBB39_126
	s_branch .LBB39_127
.LBB39_125:
.LBB39_126:
	s_waitcnt vmcnt(0)
	s_delay_alu instid0(VALU_DEP_1) | instskip(SKIP_3) | instid1(SALU_CYCLE_1)
	v_dual_mov_b32 v0, v40 :: v_dual_mov_b32 v1, v58
	s_getpc_b64 s[0:1]
	s_add_u32 s0, s0, _ZN12_GLOBAL__N_112calc_igammacIfEET_S1_S1_@rel32@lo+4
	s_addc_u32 s1, s1, _ZN12_GLOBAL__N_112calc_igammacIfEET_S1_S1_@rel32@hi+12
	s_swappc_b64 s[30:31], s[0:1]
	v_mov_b32_e32 v68, v0
.LBB39_127:
	v_lshrrev_b32_e32 v0, 16, v91
	s_and_b32 vcc_lo, exec_lo, s39
	s_delay_alu instid0(VALU_DEP_1)
	v_cvt_f32_f16_e32 v40, v0
	s_cbranch_vccnz .LBB39_129
; %bb.128:
	s_waitcnt vmcnt(0)
	s_delay_alu instid0(VALU_DEP_1) | instskip(SKIP_3) | instid1(SALU_CYCLE_1)
	v_dual_mov_b32 v0, v40 :: v_dual_mov_b32 v1, v59
	s_getpc_b64 s[0:1]
	s_add_u32 s0, s0, _ZN12_GLOBAL__N_111calc_igammaIfEET_S1_S1_@rel32@lo+4
	s_addc_u32 s1, s1, _ZN12_GLOBAL__N_111calc_igammaIfEET_S1_S1_@rel32@hi+12
	s_swappc_b64 s[30:31], s[0:1]
	v_mov_b32_e32 v69, v0
	s_cbranch_execz .LBB39_130
	s_branch .LBB39_131
.LBB39_129:
.LBB39_130:
	s_waitcnt vmcnt(0)
	s_delay_alu instid0(VALU_DEP_1) | instskip(SKIP_3) | instid1(SALU_CYCLE_1)
	v_dual_mov_b32 v0, v40 :: v_dual_mov_b32 v1, v59
	s_getpc_b64 s[0:1]
	s_add_u32 s0, s0, _ZN12_GLOBAL__N_112calc_igammacIfEET_S1_S1_@rel32@lo+4
	s_addc_u32 s1, s1, _ZN12_GLOBAL__N_112calc_igammacIfEET_S1_S1_@rel32@hi+12
	s_swappc_b64 s[30:31], s[0:1]
	v_mov_b32_e32 v69, v0
.LBB39_131:
	s_add_u32 s2, s40, s46
	s_addc_u32 s3, s41, s47
	v_add_co_u32 v6, s0, s2, v104
	s_delay_alu instid0(VALU_DEP_1) | instskip(NEXT) | instid1(VALU_DEP_2)
	v_add_co_ci_u32_e64 v7, null, s3, 0, s0
	v_add_co_u32 v0, vcc_lo, 0x2000, v6
	s_delay_alu instid0(VALU_DEP_2)
	v_add_co_ci_u32_e32 v1, vcc_lo, 0, v7, vcc_lo
	v_add_co_u32 v2, vcc_lo, 0x6000, v6
	v_add_co_ci_u32_e32 v3, vcc_lo, 0, v7, vcc_lo
	v_add_co_u32 v4, vcc_lo, 0xa000, v6
	;; [unrolled: 2-line block ×3, first 2 shown]
	s_waitcnt vmcnt(7)
	global_store_b128 v104, v[42:45], s[2:3]
	s_waitcnt vmcnt(6)
	global_store_b128 v105, v[70:73], s[2:3]
	v_add_co_ci_u32_e32 v7, vcc_lo, 0, v7, vcc_lo
	global_store_b128 v[0:1], v[60:63], off
	s_waitcnt vmcnt(5)
	global_store_b128 v[2:3], v[78:81], off
	s_waitcnt vmcnt(4)
	global_store_b128 v102, v[86:89], s[2:3]
	s_waitcnt vmcnt(2)
	s_clause 0x1
	global_store_b128 v103, v[74:77], s[2:3]
	global_store_b128 v[4:5], v[82:85], off
	s_waitcnt vmcnt(1)
	global_store_b128 v[6:7], v[66:69], off
	s_branch .LBB39_2
.LBB39_132:
	s_clause 0x1
	s_load_b32 s6, s[36:37], 0x24
	s_load_b128 s[0:3], s[36:37], 0x28
	v_cndmask_b32_e64 v0, 0, 1, s49
	v_dual_mov_b32 v31, v47 :: v_dual_mov_b32 v2, s41
	v_dual_mov_b32 v1, s40 :: v_dual_mov_b32 v4, s43
	;; [unrolled: 1-line block ×3, first 2 shown]
	v_mov_b32_e32 v5, s44
	v_mov_b32_e32 v7, s48
	s_add_u32 s8, s36, 56
	s_addc_u32 s9, s37, 0
	s_mov_b32 s12, s38
	s_getpc_b64 s[4:5]
	s_add_u32 s4, s4, _ZN2at6native25elementwise_kernel_helperILb1EN12_GLOBAL__N_110CalcIgammaIfEENS0_6memory8policies11unroll_baseILi512ESt5arrayIPcLm3EE23TrivialOffsetCalculatorILi2EjESB_ILi1EjENS5_12LoadWithCastILi2EEENS5_13StoreWithCastILi1EEELi32ELi1EEEEEvT0_T1_@rel32@lo+4
	s_addc_u32 s5, s5, _ZN2at6native25elementwise_kernel_helperILb1EN12_GLOBAL__N_110CalcIgammaIfEENS0_6memory8policies11unroll_baseILi512ESt5arrayIPcLm3EE23TrivialOffsetCalculatorILi2EjESB_ILi1EjENS5_12LoadWithCastILi2EEENS5_13StoreWithCastILi1EEELi32ELi1EEEEEvT0_T1_@rel32@hi+12
	s_waitcnt lgkmcnt(0)
	v_lshrrev_b16 v9, 8, s6
	v_mov_b32_e32 v10, s0
	v_dual_mov_b32 v8, s6 :: v_dual_mov_b32 v11, s1
	v_dual_mov_b32 v12, s2 :: v_dual_mov_b32 v13, s3
	s_swappc_b64 s[30:31], s[4:5]
	s_endpgm
	.section	.rodata,"a",@progbits
	.p2align	6, 0x0
	.amdhsa_kernel _ZN2at6native39vectorized_templated_elementwise_kernelILi4EN12_GLOBAL__N_110CalcIgammaIfEESt5arrayIPcLm3EE23TrivialOffsetCalculatorILi2EjES8_ILi1EjENS0_6memory12LoadWithCastILi2EEENSB_13StoreWithCastILi1EEEfJN3c104HalfEfEEEviT0_T1_T2_T3_T4_T5_
		.amdhsa_group_segment_fixed_size 0
		.amdhsa_private_segment_fixed_size 448
		.amdhsa_kernarg_size 312
		.amdhsa_user_sgpr_count 15
		.amdhsa_user_sgpr_dispatch_ptr 0
		.amdhsa_user_sgpr_queue_ptr 0
		.amdhsa_user_sgpr_kernarg_segment_ptr 1
		.amdhsa_user_sgpr_dispatch_id 0
		.amdhsa_user_sgpr_private_segment_size 0
		.amdhsa_wavefront_size32 1
		.amdhsa_uses_dynamic_stack 0
		.amdhsa_enable_private_segment 1
		.amdhsa_system_sgpr_workgroup_id_x 1
		.amdhsa_system_sgpr_workgroup_id_y 0
		.amdhsa_system_sgpr_workgroup_id_z 0
		.amdhsa_system_sgpr_workgroup_info 0
		.amdhsa_system_vgpr_workitem_id 0
		.amdhsa_next_free_vgpr 147
		.amdhsa_next_free_sgpr 77
		.amdhsa_reserve_vcc 1
		.amdhsa_float_round_mode_32 0
		.amdhsa_float_round_mode_16_64 0
		.amdhsa_float_denorm_mode_32 3
		.amdhsa_float_denorm_mode_16_64 3
		.amdhsa_dx10_clamp 1
		.amdhsa_ieee_mode 1
		.amdhsa_fp16_overflow 0
		.amdhsa_workgroup_processor_mode 1
		.amdhsa_memory_ordered 1
		.amdhsa_forward_progress 0
		.amdhsa_shared_vgpr_count 0
		.amdhsa_exception_fp_ieee_invalid_op 0
		.amdhsa_exception_fp_denorm_src 0
		.amdhsa_exception_fp_ieee_div_zero 0
		.amdhsa_exception_fp_ieee_overflow 0
		.amdhsa_exception_fp_ieee_underflow 0
		.amdhsa_exception_fp_ieee_inexact 0
		.amdhsa_exception_int_div_zero 0
	.end_amdhsa_kernel
	.section	.text._ZN2at6native39vectorized_templated_elementwise_kernelILi4EN12_GLOBAL__N_110CalcIgammaIfEESt5arrayIPcLm3EE23TrivialOffsetCalculatorILi2EjES8_ILi1EjENS0_6memory12LoadWithCastILi2EEENSB_13StoreWithCastILi1EEEfJN3c104HalfEfEEEviT0_T1_T2_T3_T4_T5_,"axG",@progbits,_ZN2at6native39vectorized_templated_elementwise_kernelILi4EN12_GLOBAL__N_110CalcIgammaIfEESt5arrayIPcLm3EE23TrivialOffsetCalculatorILi2EjES8_ILi1EjENS0_6memory12LoadWithCastILi2EEENSB_13StoreWithCastILi1EEEfJN3c104HalfEfEEEviT0_T1_T2_T3_T4_T5_,comdat
.Lfunc_end39:
	.size	_ZN2at6native39vectorized_templated_elementwise_kernelILi4EN12_GLOBAL__N_110CalcIgammaIfEESt5arrayIPcLm3EE23TrivialOffsetCalculatorILi2EjES8_ILi1EjENS0_6memory12LoadWithCastILi2EEENSB_13StoreWithCastILi1EEEfJN3c104HalfEfEEEviT0_T1_T2_T3_T4_T5_, .Lfunc_end39-_ZN2at6native39vectorized_templated_elementwise_kernelILi4EN12_GLOBAL__N_110CalcIgammaIfEESt5arrayIPcLm3EE23TrivialOffsetCalculatorILi2EjES8_ILi1EjENS0_6memory12LoadWithCastILi2EEENSB_13StoreWithCastILi1EEEfJN3c104HalfEfEEEviT0_T1_T2_T3_T4_T5_
                                        ; -- End function
	.section	.AMDGPU.csdata,"",@progbits
; Kernel info:
; codeLenInByte = 4544
; NumSgprs: 79
; NumVgprs: 147
; ScratchSize: 448
; MemoryBound: 0
; FloatMode: 240
; IeeeMode: 1
; LDSByteSize: 0 bytes/workgroup (compile time only)
; SGPRBlocks: 9
; VGPRBlocks: 18
; NumSGPRsForWavesPerEU: 79
; NumVGPRsForWavesPerEU: 147
; Occupancy: 9
; WaveLimiterHint : 0
; COMPUTE_PGM_RSRC2:SCRATCH_EN: 1
; COMPUTE_PGM_RSRC2:USER_SGPR: 15
; COMPUTE_PGM_RSRC2:TRAP_HANDLER: 0
; COMPUTE_PGM_RSRC2:TGID_X_EN: 1
; COMPUTE_PGM_RSRC2:TGID_Y_EN: 0
; COMPUTE_PGM_RSRC2:TGID_Z_EN: 0
; COMPUTE_PGM_RSRC2:TIDIG_COMP_CNT: 0
	.section	.text._ZN2at6native39vectorized_templated_elementwise_kernelILi2EN12_GLOBAL__N_110CalcIgammaIfEESt5arrayIPcLm3EE23TrivialOffsetCalculatorILi2EjES8_ILi1EjENS0_6memory12LoadWithCastILi2EEENSB_13StoreWithCastILi1EEEfJN3c104HalfEfEEEviT0_T1_T2_T3_T4_T5_,"axG",@progbits,_ZN2at6native39vectorized_templated_elementwise_kernelILi2EN12_GLOBAL__N_110CalcIgammaIfEESt5arrayIPcLm3EE23TrivialOffsetCalculatorILi2EjES8_ILi1EjENS0_6memory12LoadWithCastILi2EEENSB_13StoreWithCastILi1EEEfJN3c104HalfEfEEEviT0_T1_T2_T3_T4_T5_,comdat
	.globl	_ZN2at6native39vectorized_templated_elementwise_kernelILi2EN12_GLOBAL__N_110CalcIgammaIfEESt5arrayIPcLm3EE23TrivialOffsetCalculatorILi2EjES8_ILi1EjENS0_6memory12LoadWithCastILi2EEENSB_13StoreWithCastILi1EEEfJN3c104HalfEfEEEviT0_T1_T2_T3_T4_T5_ ; -- Begin function _ZN2at6native39vectorized_templated_elementwise_kernelILi2EN12_GLOBAL__N_110CalcIgammaIfEESt5arrayIPcLm3EE23TrivialOffsetCalculatorILi2EjES8_ILi1EjENS0_6memory12LoadWithCastILi2EEENSB_13StoreWithCastILi1EEEfJN3c104HalfEfEEEviT0_T1_T2_T3_T4_T5_
	.p2align	8
	.type	_ZN2at6native39vectorized_templated_elementwise_kernelILi2EN12_GLOBAL__N_110CalcIgammaIfEESt5arrayIPcLm3EE23TrivialOffsetCalculatorILi2EjES8_ILi1EjENS0_6memory12LoadWithCastILi2EEENSB_13StoreWithCastILi1EEEfJN3c104HalfEfEEEviT0_T1_T2_T3_T4_T5_,@function
_ZN2at6native39vectorized_templated_elementwise_kernelILi2EN12_GLOBAL__N_110CalcIgammaIfEESt5arrayIPcLm3EE23TrivialOffsetCalculatorILi2EjES8_ILi1EjENS0_6memory12LoadWithCastILi2EEENSB_13StoreWithCastILi1EEEfJN3c104HalfEfEEEviT0_T1_T2_T3_T4_T5_: ; @_ZN2at6native39vectorized_templated_elementwise_kernelILi2EN12_GLOBAL__N_110CalcIgammaIfEESt5arrayIPcLm3EE23TrivialOffsetCalculatorILi2EjES8_ILi1EjENS0_6memory12LoadWithCastILi2EEENSB_13StoreWithCastILi1EEEfJN3c104HalfEfEEEviT0_T1_T2_T3_T4_T5_
; %bb.0:
	s_mov_b64 s[36:37], s[0:1]
	s_clause 0x1
	s_load_b64 s[2:3], s[0:1], 0x0
	s_load_b32 s0, s[0:1], 0x38
	s_clause 0x1
	s_load_b64 s[44:45], s[36:37], 0x18
	s_load_b128 s[40:43], s[36:37], 0x8
	v_mov_b32_e32 v86, v0
	s_mov_b32 s38, s15
	s_mov_b32 s32, 0
	s_waitcnt lgkmcnt(0)
	s_bitcmp1_b32 s3, 0
	s_cselect_b32 s49, -1, 0
	s_not_b32 s1, s15
	s_delay_alu instid0(SALU_CYCLE_1) | instskip(SKIP_2) | instid1(SALU_CYCLE_1)
	s_add_i32 s0, s0, s1
	s_mov_b32 s1, -1
	s_lshl_b32 s0, s0, 14
	s_sub_i32 s48, s2, s0
	s_delay_alu instid0(SALU_CYCLE_1)
	s_cmpk_gt_i32 s48, 0x3fff
	s_cbranch_scc1 .LBB40_3
; %bb.1:
	s_and_b32 vcc_lo, exec_lo, s1
	s_cbranch_vccnz .LBB40_132
.LBB40_2:
	s_endpgm
.LBB40_3:
	s_ashr_i32 s1, s0, 31
	v_lshlrev_b32_e32 v6, 2, v86
	s_lshl_b64 s[2:3], s[0:1], 1
	s_xor_b32 s50, s49, -1
	s_add_u32 s2, s42, s2
	s_addc_u32 s3, s43, s3
	v_add_co_u32 v7, s4, s2, v6
	s_delay_alu instid0(VALU_DEP_1) | instskip(SKIP_1) | instid1(VALU_DEP_3)
	v_add_co_ci_u32_e64 v9, null, s3, 0, s4
	v_or_b32_e32 v8, 0x400, v86
	v_add_co_u32 v0, vcc_lo, 0x1000, v7
	s_delay_alu instid0(VALU_DEP_3)
	v_add_co_ci_u32_e32 v1, vcc_lo, 0, v9, vcc_lo
	v_or_b32_e32 v11, 0x800, v86
	v_add_co_u32 v2, vcc_lo, 0x2000, v7
	v_or_b32_e32 v13, 0xc00, v86
	v_add_co_ci_u32_e32 v3, vcc_lo, 0, v9, vcc_lo
	v_lshlrev_b32_e32 v10, 2, v8
	v_add_co_u32 v4, vcc_lo, 0x3000, v7
	v_lshlrev_b32_e32 v12, 2, v11
	v_add_co_ci_u32_e32 v5, vcc_lo, 0, v9, vcc_lo
	v_lshlrev_b32_e32 v14, 2, v13
	s_clause 0x7
	global_load_b32 v43, v6, s[2:3]
	global_load_b32 v109, v6, s[2:3] offset:2048
	global_load_b32 v108, v10, s[2:3]
	global_load_b32 v107, v[0:1], off offset:2048
	global_load_b32 v106, v12, s[2:3]
	global_load_b32 v105, v[2:3], off offset:2048
	;; [unrolled: 2-line block ×3, first 2 shown]
	v_add_co_u32 v0, vcc_lo, 0x4000, v7
	v_add_co_ci_u32_e32 v1, vcc_lo, 0, v9, vcc_lo
	v_add_co_u32 v2, vcc_lo, 0x5000, v7
	v_add_co_ci_u32_e32 v3, vcc_lo, 0, v9, vcc_lo
	v_or_b32_e32 v15, 0x1000, v86
	v_add_co_u32 v4, vcc_lo, 0x6000, v7
	v_lshlrev_b32_e32 v87, 3, v86
	s_lshl_b64 s[46:47], s[0:1], 2
	v_or_b32_e32 v12, 0x1400, v86
	v_add_co_ci_u32_e32 v5, vcc_lo, 0, v9, vcc_lo
	v_add_co_u32 v6, vcc_lo, 0x7000, v7
	s_add_u32 s0, s44, s46
	v_or_b32_e32 v16, 0x1800, v86
	v_lshlrev_b32_e32 v10, 2, v15
	v_or_b32_e32 v18, 0x1c00, v86
	v_add_co_ci_u32_e32 v7, vcc_lo, 0, v9, vcc_lo
	s_addc_u32 s1, s45, s47
	v_add_co_u32 v9, s4, s0, v87
	v_lshlrev_b32_e32 v14, 2, v12
	v_add_co_ci_u32_e64 v20, null, s1, 0, s4
	v_lshlrev_b32_e32 v17, 2, v16
	v_lshlrev_b32_e32 v19, 2, v18
	s_clause 0x7
	global_load_b32 v102, v10, s[2:3]
	global_load_b32 v101, v[0:1], off offset:2048
	global_load_b32 v100, v14, s[2:3]
	global_load_b32 v99, v[2:3], off offset:2048
	;; [unrolled: 2-line block ×4, first 2 shown]
	v_add_co_u32 v0, vcc_lo, 0x1000, v9
	v_add_co_ci_u32_e32 v1, vcc_lo, 0, v20, vcc_lo
	v_add_co_u32 v2, vcc_lo, 0x3000, v9
	v_add_co_ci_u32_e32 v3, vcc_lo, 0, v20, vcc_lo
	;; [unrolled: 2-line block ×3, first 2 shown]
	v_lshlrev_b32_e32 v91, 3, v8
	v_add_co_u32 v6, vcc_lo, 0x7000, v9
	v_lshlrev_b32_e32 v93, 3, v11
	v_add_co_ci_u32_e32 v7, vcc_lo, 0, v20, vcc_lo
	v_lshlrev_b32_e32 v94, 3, v13
	s_clause 0x7
	global_load_b64 v[46:47], v87, s[0:1]
	global_load_b64 v[58:59], v[0:1], off
	global_load_b64 v[62:63], v91, s[0:1]
	global_load_b64 v[68:69], v[2:3], off
	;; [unrolled: 2-line block ×4, first 2 shown]
	v_add_co_u32 v0, vcc_lo, 0x9000, v9
	v_add_co_ci_u32_e32 v1, vcc_lo, 0, v20, vcc_lo
	v_add_co_u32 v2, vcc_lo, 0xb000, v9
	v_add_co_ci_u32_e32 v3, vcc_lo, 0, v20, vcc_lo
	v_lshlrev_b32_e32 v88, 3, v15
	v_add_co_u32 v4, vcc_lo, 0xd000, v9
	v_lshlrev_b32_e32 v89, 3, v12
	v_add_co_ci_u32_e32 v5, vcc_lo, 0, v20, vcc_lo
	v_add_co_u32 v6, vcc_lo, 0xf000, v9
	v_lshlrev_b32_e32 v90, 3, v16
	v_lshlrev_b32_e32 v92, 3, v18
	v_add_co_ci_u32_e32 v7, vcc_lo, 0, v20, vcc_lo
	s_clause 0x7
	global_load_b64 v[82:83], v88, s[0:1]
	global_load_b64 v[78:79], v[0:1], off
	global_load_b64 v[74:75], v89, s[0:1]
	global_load_b64 v[70:71], v[2:3], off
	;; [unrolled: 2-line block ×4, first 2 shown]
	s_and_b32 vcc_lo, exec_lo, s50
	s_mov_b32 s39, 0
	s_waitcnt vmcnt(31)
	v_cvt_f32_f16_e32 v40, v43
	s_cbranch_vccz .LBB40_5
; %bb.4:
	s_waitcnt vmcnt(15)
	s_delay_alu instid0(VALU_DEP_1) | instskip(SKIP_3) | instid1(SALU_CYCLE_1)
	v_dual_mov_b32 v0, v40 :: v_dual_mov_b32 v1, v46
	s_getpc_b64 s[0:1]
	s_add_u32 s0, s0, _ZN12_GLOBAL__N_111calc_igammaIfEET_S1_S1_@rel32@lo+4
	s_addc_u32 s1, s1, _ZN12_GLOBAL__N_111calc_igammaIfEET_S1_S1_@rel32@hi+12
	s_swappc_b64 s[30:31], s[0:1]
	v_mov_b32_e32 v42, v0
	s_and_not1_b32 vcc_lo, exec_lo, s39
	s_cbranch_vccz .LBB40_6
	s_branch .LBB40_7
.LBB40_5:
                                        ; implicit-def: $vgpr42
.LBB40_6:
	s_waitcnt vmcnt(15)
	s_delay_alu instid0(VALU_DEP_1) | instskip(SKIP_3) | instid1(SALU_CYCLE_1)
	v_dual_mov_b32 v0, v40 :: v_dual_mov_b32 v1, v46
	s_getpc_b64 s[0:1]
	s_add_u32 s0, s0, _ZN12_GLOBAL__N_112calc_igammacIfEET_S1_S1_@rel32@lo+4
	s_addc_u32 s1, s1, _ZN12_GLOBAL__N_112calc_igammacIfEET_S1_S1_@rel32@hi+12
	s_swappc_b64 s[30:31], s[0:1]
	v_mov_b32_e32 v42, v0
.LBB40_7:
	v_cndmask_b32_e64 v0, 0, 1, s50
	v_lshrrev_b32_e32 v1, 16, v43
	s_and_not1_b32 vcc_lo, exec_lo, s50
	s_delay_alu instid0(VALU_DEP_2) | instskip(NEXT) | instid1(VALU_DEP_2)
	v_cmp_ne_u32_e64 s39, 1, v0
	v_cvt_f32_f16_e32 v40, v1
	s_cbranch_vccnz .LBB40_9
; %bb.8:
	s_waitcnt vmcnt(15)
	s_delay_alu instid0(VALU_DEP_1) | instskip(SKIP_3) | instid1(SALU_CYCLE_1)
	v_dual_mov_b32 v0, v40 :: v_dual_mov_b32 v1, v47
	s_getpc_b64 s[0:1]
	s_add_u32 s0, s0, _ZN12_GLOBAL__N_111calc_igammaIfEET_S1_S1_@rel32@lo+4
	s_addc_u32 s1, s1, _ZN12_GLOBAL__N_111calc_igammaIfEET_S1_S1_@rel32@hi+12
	s_swappc_b64 s[30:31], s[0:1]
	v_mov_b32_e32 v43, v0
	s_cbranch_execz .LBB40_10
	s_branch .LBB40_11
.LBB40_9:
.LBB40_10:
	s_waitcnt vmcnt(15)
	s_delay_alu instid0(VALU_DEP_1) | instskip(SKIP_3) | instid1(SALU_CYCLE_1)
	v_dual_mov_b32 v0, v40 :: v_dual_mov_b32 v1, v47
	s_getpc_b64 s[0:1]
	s_add_u32 s0, s0, _ZN12_GLOBAL__N_112calc_igammacIfEET_S1_S1_@rel32@lo+4
	s_addc_u32 s1, s1, _ZN12_GLOBAL__N_112calc_igammacIfEET_S1_S1_@rel32@hi+12
	s_swappc_b64 s[30:31], s[0:1]
	v_mov_b32_e32 v43, v0
.LBB40_11:
	s_waitcnt vmcnt(30)
	v_cvt_f32_f16_e32 v40, v109
	s_and_b32 vcc_lo, exec_lo, s39
	s_cbranch_vccnz .LBB40_13
; %bb.12:
	s_waitcnt vmcnt(14)
	s_delay_alu instid0(VALU_DEP_1) | instskip(SKIP_3) | instid1(SALU_CYCLE_1)
	v_dual_mov_b32 v0, v40 :: v_dual_mov_b32 v1, v58
	s_getpc_b64 s[0:1]
	s_add_u32 s0, s0, _ZN12_GLOBAL__N_111calc_igammaIfEET_S1_S1_@rel32@lo+4
	s_addc_u32 s1, s1, _ZN12_GLOBAL__N_111calc_igammaIfEET_S1_S1_@rel32@hi+12
	s_swappc_b64 s[30:31], s[0:1]
	v_mov_b32_e32 v46, v0
	s_cbranch_execz .LBB40_14
	s_branch .LBB40_15
.LBB40_13:
                                        ; implicit-def: $vgpr46
.LBB40_14:
	s_waitcnt vmcnt(14)
	s_delay_alu instid0(VALU_DEP_1) | instskip(SKIP_3) | instid1(SALU_CYCLE_1)
	v_dual_mov_b32 v0, v40 :: v_dual_mov_b32 v1, v58
	s_getpc_b64 s[0:1]
	s_add_u32 s0, s0, _ZN12_GLOBAL__N_112calc_igammacIfEET_S1_S1_@rel32@lo+4
	s_addc_u32 s1, s1, _ZN12_GLOBAL__N_112calc_igammacIfEET_S1_S1_@rel32@hi+12
	s_swappc_b64 s[30:31], s[0:1]
	v_mov_b32_e32 v46, v0
.LBB40_15:
	v_lshrrev_b32_e32 v0, 16, v109
	s_and_b32 vcc_lo, exec_lo, s39
	s_delay_alu instid0(VALU_DEP_1)
	v_cvt_f32_f16_e32 v40, v0
	s_cbranch_vccnz .LBB40_17
; %bb.16:
	s_waitcnt vmcnt(14)
	s_delay_alu instid0(VALU_DEP_1) | instskip(SKIP_3) | instid1(SALU_CYCLE_1)
	v_dual_mov_b32 v0, v40 :: v_dual_mov_b32 v1, v59
	s_getpc_b64 s[0:1]
	s_add_u32 s0, s0, _ZN12_GLOBAL__N_111calc_igammaIfEET_S1_S1_@rel32@lo+4
	s_addc_u32 s1, s1, _ZN12_GLOBAL__N_111calc_igammaIfEET_S1_S1_@rel32@hi+12
	s_swappc_b64 s[30:31], s[0:1]
	v_mov_b32_e32 v47, v0
	s_cbranch_execz .LBB40_18
	s_branch .LBB40_19
.LBB40_17:
.LBB40_18:
	s_waitcnt vmcnt(14)
	s_delay_alu instid0(VALU_DEP_1) | instskip(SKIP_3) | instid1(SALU_CYCLE_1)
	v_dual_mov_b32 v0, v40 :: v_dual_mov_b32 v1, v59
	s_getpc_b64 s[0:1]
	s_add_u32 s0, s0, _ZN12_GLOBAL__N_112calc_igammacIfEET_S1_S1_@rel32@lo+4
	s_addc_u32 s1, s1, _ZN12_GLOBAL__N_112calc_igammacIfEET_S1_S1_@rel32@hi+12
	s_swappc_b64 s[30:31], s[0:1]
	v_mov_b32_e32 v47, v0
.LBB40_19:
	s_waitcnt vmcnt(29)
	v_cvt_f32_f16_e32 v40, v108
	s_and_b32 vcc_lo, exec_lo, s39
	s_cbranch_vccnz .LBB40_21
; %bb.20:
	s_waitcnt vmcnt(13)
	s_delay_alu instid0(VALU_DEP_1) | instskip(SKIP_3) | instid1(SALU_CYCLE_1)
	v_dual_mov_b32 v0, v40 :: v_dual_mov_b32 v1, v62
	s_getpc_b64 s[0:1]
	s_add_u32 s0, s0, _ZN12_GLOBAL__N_111calc_igammaIfEET_S1_S1_@rel32@lo+4
	s_addc_u32 s1, s1, _ZN12_GLOBAL__N_111calc_igammaIfEET_S1_S1_@rel32@hi+12
	s_swappc_b64 s[30:31], s[0:1]
	v_mov_b32_e32 v58, v0
	s_cbranch_execz .LBB40_22
	s_branch .LBB40_23
.LBB40_21:
                                        ; implicit-def: $vgpr58
.LBB40_22:
	s_waitcnt vmcnt(13)
	s_delay_alu instid0(VALU_DEP_1) | instskip(SKIP_3) | instid1(SALU_CYCLE_1)
	v_dual_mov_b32 v0, v40 :: v_dual_mov_b32 v1, v62
	s_getpc_b64 s[0:1]
	s_add_u32 s0, s0, _ZN12_GLOBAL__N_112calc_igammacIfEET_S1_S1_@rel32@lo+4
	s_addc_u32 s1, s1, _ZN12_GLOBAL__N_112calc_igammacIfEET_S1_S1_@rel32@hi+12
	s_swappc_b64 s[30:31], s[0:1]
	v_mov_b32_e32 v58, v0
.LBB40_23:
	v_lshrrev_b32_e32 v0, 16, v108
	s_and_b32 vcc_lo, exec_lo, s39
	s_delay_alu instid0(VALU_DEP_1)
	v_cvt_f32_f16_e32 v40, v0
	s_cbranch_vccnz .LBB40_25
; %bb.24:
	s_waitcnt vmcnt(13)
	s_delay_alu instid0(VALU_DEP_1) | instskip(SKIP_3) | instid1(SALU_CYCLE_1)
	v_dual_mov_b32 v0, v40 :: v_dual_mov_b32 v1, v63
	s_getpc_b64 s[0:1]
	s_add_u32 s0, s0, _ZN12_GLOBAL__N_111calc_igammaIfEET_S1_S1_@rel32@lo+4
	s_addc_u32 s1, s1, _ZN12_GLOBAL__N_111calc_igammaIfEET_S1_S1_@rel32@hi+12
	s_swappc_b64 s[30:31], s[0:1]
	v_mov_b32_e32 v59, v0
	s_cbranch_execz .LBB40_26
	s_branch .LBB40_27
.LBB40_25:
.LBB40_26:
	s_waitcnt vmcnt(13)
	s_delay_alu instid0(VALU_DEP_1) | instskip(SKIP_3) | instid1(SALU_CYCLE_1)
	v_dual_mov_b32 v0, v40 :: v_dual_mov_b32 v1, v63
	s_getpc_b64 s[0:1]
	s_add_u32 s0, s0, _ZN12_GLOBAL__N_112calc_igammacIfEET_S1_S1_@rel32@lo+4
	s_addc_u32 s1, s1, _ZN12_GLOBAL__N_112calc_igammacIfEET_S1_S1_@rel32@hi+12
	s_swappc_b64 s[30:31], s[0:1]
	v_mov_b32_e32 v59, v0
.LBB40_27:
	s_waitcnt vmcnt(28)
	v_cvt_f32_f16_e32 v40, v107
	s_and_b32 vcc_lo, exec_lo, s39
	s_cbranch_vccnz .LBB40_29
; %bb.28:
	s_delay_alu instid0(VALU_DEP_1)
	v_mov_b32_e32 v0, v40
	s_waitcnt vmcnt(12)
	v_mov_b32_e32 v1, v68
	s_getpc_b64 s[0:1]
	s_add_u32 s0, s0, _ZN12_GLOBAL__N_111calc_igammaIfEET_S1_S1_@rel32@lo+4
	s_addc_u32 s1, s1, _ZN12_GLOBAL__N_111calc_igammaIfEET_S1_S1_@rel32@hi+12
	s_delay_alu instid0(SALU_CYCLE_1)
	s_swappc_b64 s[30:31], s[0:1]
	v_mov_b32_e32 v62, v0
	s_cbranch_execz .LBB40_30
	s_branch .LBB40_31
.LBB40_29:
                                        ; implicit-def: $vgpr62
.LBB40_30:
	s_delay_alu instid0(VALU_DEP_1)
	v_mov_b32_e32 v0, v40
	s_waitcnt vmcnt(12)
	v_mov_b32_e32 v1, v68
	s_getpc_b64 s[0:1]
	s_add_u32 s0, s0, _ZN12_GLOBAL__N_112calc_igammacIfEET_S1_S1_@rel32@lo+4
	s_addc_u32 s1, s1, _ZN12_GLOBAL__N_112calc_igammacIfEET_S1_S1_@rel32@hi+12
	s_delay_alu instid0(SALU_CYCLE_1)
	s_swappc_b64 s[30:31], s[0:1]
	v_mov_b32_e32 v62, v0
.LBB40_31:
	v_lshrrev_b32_e32 v0, 16, v107
	s_and_b32 vcc_lo, exec_lo, s39
	s_delay_alu instid0(VALU_DEP_1)
	v_cvt_f32_f16_e32 v40, v0
	s_cbranch_vccnz .LBB40_33
; %bb.32:
	s_waitcnt vmcnt(12)
	s_delay_alu instid0(VALU_DEP_1) | instskip(SKIP_3) | instid1(SALU_CYCLE_1)
	v_dual_mov_b32 v0, v40 :: v_dual_mov_b32 v1, v69
	s_getpc_b64 s[0:1]
	s_add_u32 s0, s0, _ZN12_GLOBAL__N_111calc_igammaIfEET_S1_S1_@rel32@lo+4
	s_addc_u32 s1, s1, _ZN12_GLOBAL__N_111calc_igammaIfEET_S1_S1_@rel32@hi+12
	s_swappc_b64 s[30:31], s[0:1]
	v_mov_b32_e32 v63, v0
	s_cbranch_execz .LBB40_34
	s_branch .LBB40_35
.LBB40_33:
.LBB40_34:
	s_waitcnt vmcnt(12)
	s_delay_alu instid0(VALU_DEP_1) | instskip(SKIP_3) | instid1(SALU_CYCLE_1)
	v_dual_mov_b32 v0, v40 :: v_dual_mov_b32 v1, v69
	s_getpc_b64 s[0:1]
	s_add_u32 s0, s0, _ZN12_GLOBAL__N_112calc_igammacIfEET_S1_S1_@rel32@lo+4
	s_addc_u32 s1, s1, _ZN12_GLOBAL__N_112calc_igammacIfEET_S1_S1_@rel32@hi+12
	s_swappc_b64 s[30:31], s[0:1]
	v_mov_b32_e32 v63, v0
.LBB40_35:
	s_waitcnt vmcnt(27)
	v_cvt_f32_f16_e32 v40, v106
	s_and_b32 vcc_lo, exec_lo, s39
	s_cbranch_vccnz .LBB40_37
; %bb.36:
	s_delay_alu instid0(VALU_DEP_1)
	v_mov_b32_e32 v0, v40
	s_waitcnt vmcnt(11)
	v_mov_b32_e32 v1, v72
	s_getpc_b64 s[0:1]
	s_add_u32 s0, s0, _ZN12_GLOBAL__N_111calc_igammaIfEET_S1_S1_@rel32@lo+4
	s_addc_u32 s1, s1, _ZN12_GLOBAL__N_111calc_igammaIfEET_S1_S1_@rel32@hi+12
	s_delay_alu instid0(SALU_CYCLE_1)
	s_swappc_b64 s[30:31], s[0:1]
	v_mov_b32_e32 v68, v0
	s_cbranch_execz .LBB40_38
	s_branch .LBB40_39
.LBB40_37:
                                        ; implicit-def: $vgpr68
.LBB40_38:
	s_delay_alu instid0(VALU_DEP_1)
	v_mov_b32_e32 v0, v40
	s_waitcnt vmcnt(11)
	v_mov_b32_e32 v1, v72
	s_getpc_b64 s[0:1]
	s_add_u32 s0, s0, _ZN12_GLOBAL__N_112calc_igammacIfEET_S1_S1_@rel32@lo+4
	s_addc_u32 s1, s1, _ZN12_GLOBAL__N_112calc_igammacIfEET_S1_S1_@rel32@hi+12
	s_delay_alu instid0(SALU_CYCLE_1)
	s_swappc_b64 s[30:31], s[0:1]
	v_mov_b32_e32 v68, v0
.LBB40_39:
	v_lshrrev_b32_e32 v0, 16, v106
	s_and_b32 vcc_lo, exec_lo, s39
	s_delay_alu instid0(VALU_DEP_1)
	v_cvt_f32_f16_e32 v40, v0
	s_cbranch_vccnz .LBB40_41
; %bb.40:
	s_waitcnt vmcnt(11)
	s_delay_alu instid0(VALU_DEP_1) | instskip(SKIP_3) | instid1(SALU_CYCLE_1)
	v_dual_mov_b32 v0, v40 :: v_dual_mov_b32 v1, v73
	s_getpc_b64 s[0:1]
	s_add_u32 s0, s0, _ZN12_GLOBAL__N_111calc_igammaIfEET_S1_S1_@rel32@lo+4
	s_addc_u32 s1, s1, _ZN12_GLOBAL__N_111calc_igammaIfEET_S1_S1_@rel32@hi+12
	s_swappc_b64 s[30:31], s[0:1]
	v_mov_b32_e32 v69, v0
	s_cbranch_execz .LBB40_42
	s_branch .LBB40_43
.LBB40_41:
.LBB40_42:
	s_waitcnt vmcnt(11)
	s_delay_alu instid0(VALU_DEP_1) | instskip(SKIP_3) | instid1(SALU_CYCLE_1)
	v_dual_mov_b32 v0, v40 :: v_dual_mov_b32 v1, v73
	s_getpc_b64 s[0:1]
	s_add_u32 s0, s0, _ZN12_GLOBAL__N_112calc_igammacIfEET_S1_S1_@rel32@lo+4
	s_addc_u32 s1, s1, _ZN12_GLOBAL__N_112calc_igammacIfEET_S1_S1_@rel32@hi+12
	s_swappc_b64 s[30:31], s[0:1]
	v_mov_b32_e32 v69, v0
.LBB40_43:
	s_waitcnt vmcnt(26)
	v_cvt_f32_f16_e32 v40, v105
	s_and_b32 vcc_lo, exec_lo, s39
	s_cbranch_vccnz .LBB40_45
; %bb.44:
	s_delay_alu instid0(VALU_DEP_1)
	v_mov_b32_e32 v0, v40
	s_waitcnt vmcnt(10)
	v_mov_b32_e32 v1, v76
	s_getpc_b64 s[0:1]
	s_add_u32 s0, s0, _ZN12_GLOBAL__N_111calc_igammaIfEET_S1_S1_@rel32@lo+4
	s_addc_u32 s1, s1, _ZN12_GLOBAL__N_111calc_igammaIfEET_S1_S1_@rel32@hi+12
	s_delay_alu instid0(SALU_CYCLE_1)
	s_swappc_b64 s[30:31], s[0:1]
	v_mov_b32_e32 v72, v0
	s_cbranch_execz .LBB40_46
	s_branch .LBB40_47
.LBB40_45:
                                        ; implicit-def: $vgpr72
.LBB40_46:
	s_delay_alu instid0(VALU_DEP_1)
	v_mov_b32_e32 v0, v40
	s_waitcnt vmcnt(10)
	v_mov_b32_e32 v1, v76
	s_getpc_b64 s[0:1]
	s_add_u32 s0, s0, _ZN12_GLOBAL__N_112calc_igammacIfEET_S1_S1_@rel32@lo+4
	s_addc_u32 s1, s1, _ZN12_GLOBAL__N_112calc_igammacIfEET_S1_S1_@rel32@hi+12
	s_delay_alu instid0(SALU_CYCLE_1)
	s_swappc_b64 s[30:31], s[0:1]
	v_mov_b32_e32 v72, v0
.LBB40_47:
	v_lshrrev_b32_e32 v0, 16, v105
	s_and_b32 vcc_lo, exec_lo, s39
	s_delay_alu instid0(VALU_DEP_1)
	v_cvt_f32_f16_e32 v40, v0
	s_cbranch_vccnz .LBB40_49
; %bb.48:
	s_waitcnt vmcnt(10)
	s_delay_alu instid0(VALU_DEP_1) | instskip(SKIP_3) | instid1(SALU_CYCLE_1)
	v_dual_mov_b32 v0, v40 :: v_dual_mov_b32 v1, v77
	s_getpc_b64 s[0:1]
	s_add_u32 s0, s0, _ZN12_GLOBAL__N_111calc_igammaIfEET_S1_S1_@rel32@lo+4
	s_addc_u32 s1, s1, _ZN12_GLOBAL__N_111calc_igammaIfEET_S1_S1_@rel32@hi+12
	s_swappc_b64 s[30:31], s[0:1]
	v_mov_b32_e32 v73, v0
	s_cbranch_execz .LBB40_50
	s_branch .LBB40_51
.LBB40_49:
.LBB40_50:
	s_waitcnt vmcnt(10)
	s_delay_alu instid0(VALU_DEP_1) | instskip(SKIP_3) | instid1(SALU_CYCLE_1)
	v_dual_mov_b32 v0, v40 :: v_dual_mov_b32 v1, v77
	s_getpc_b64 s[0:1]
	s_add_u32 s0, s0, _ZN12_GLOBAL__N_112calc_igammacIfEET_S1_S1_@rel32@lo+4
	s_addc_u32 s1, s1, _ZN12_GLOBAL__N_112calc_igammacIfEET_S1_S1_@rel32@hi+12
	s_swappc_b64 s[30:31], s[0:1]
	v_mov_b32_e32 v73, v0
.LBB40_51:
	s_waitcnt vmcnt(25)
	v_cvt_f32_f16_e32 v40, v104
	s_and_b32 vcc_lo, exec_lo, s39
	s_cbranch_vccnz .LBB40_53
; %bb.52:
	s_delay_alu instid0(VALU_DEP_1)
	v_mov_b32_e32 v0, v40
	s_waitcnt vmcnt(9)
	v_mov_b32_e32 v1, v80
	s_getpc_b64 s[0:1]
	s_add_u32 s0, s0, _ZN12_GLOBAL__N_111calc_igammaIfEET_S1_S1_@rel32@lo+4
	s_addc_u32 s1, s1, _ZN12_GLOBAL__N_111calc_igammaIfEET_S1_S1_@rel32@hi+12
	s_delay_alu instid0(SALU_CYCLE_1)
	s_swappc_b64 s[30:31], s[0:1]
	v_mov_b32_e32 v76, v0
	s_cbranch_execz .LBB40_54
	s_branch .LBB40_55
.LBB40_53:
                                        ; implicit-def: $vgpr76
.LBB40_54:
	s_delay_alu instid0(VALU_DEP_1)
	v_mov_b32_e32 v0, v40
	s_waitcnt vmcnt(9)
	v_mov_b32_e32 v1, v80
	s_getpc_b64 s[0:1]
	s_add_u32 s0, s0, _ZN12_GLOBAL__N_112calc_igammacIfEET_S1_S1_@rel32@lo+4
	s_addc_u32 s1, s1, _ZN12_GLOBAL__N_112calc_igammacIfEET_S1_S1_@rel32@hi+12
	s_delay_alu instid0(SALU_CYCLE_1)
	s_swappc_b64 s[30:31], s[0:1]
	v_mov_b32_e32 v76, v0
.LBB40_55:
	v_lshrrev_b32_e32 v0, 16, v104
	s_and_b32 vcc_lo, exec_lo, s39
	s_delay_alu instid0(VALU_DEP_1)
	v_cvt_f32_f16_e32 v40, v0
	s_cbranch_vccnz .LBB40_57
; %bb.56:
	s_waitcnt vmcnt(9)
	s_delay_alu instid0(VALU_DEP_1) | instskip(SKIP_3) | instid1(SALU_CYCLE_1)
	v_dual_mov_b32 v0, v40 :: v_dual_mov_b32 v1, v81
	s_getpc_b64 s[0:1]
	s_add_u32 s0, s0, _ZN12_GLOBAL__N_111calc_igammaIfEET_S1_S1_@rel32@lo+4
	s_addc_u32 s1, s1, _ZN12_GLOBAL__N_111calc_igammaIfEET_S1_S1_@rel32@hi+12
	s_swappc_b64 s[30:31], s[0:1]
	v_mov_b32_e32 v77, v0
	s_cbranch_execz .LBB40_58
	s_branch .LBB40_59
.LBB40_57:
.LBB40_58:
	s_waitcnt vmcnt(9)
	s_delay_alu instid0(VALU_DEP_1) | instskip(SKIP_3) | instid1(SALU_CYCLE_1)
	v_dual_mov_b32 v0, v40 :: v_dual_mov_b32 v1, v81
	s_getpc_b64 s[0:1]
	s_add_u32 s0, s0, _ZN12_GLOBAL__N_112calc_igammacIfEET_S1_S1_@rel32@lo+4
	s_addc_u32 s1, s1, _ZN12_GLOBAL__N_112calc_igammacIfEET_S1_S1_@rel32@hi+12
	s_swappc_b64 s[30:31], s[0:1]
	v_mov_b32_e32 v77, v0
.LBB40_59:
	s_waitcnt vmcnt(24)
	v_cvt_f32_f16_e32 v40, v103
	s_and_b32 vcc_lo, exec_lo, s39
	s_cbranch_vccnz .LBB40_61
; %bb.60:
	s_delay_alu instid0(VALU_DEP_1)
	v_mov_b32_e32 v0, v40
	s_waitcnt vmcnt(8)
	v_mov_b32_e32 v1, v84
	s_getpc_b64 s[0:1]
	s_add_u32 s0, s0, _ZN12_GLOBAL__N_111calc_igammaIfEET_S1_S1_@rel32@lo+4
	s_addc_u32 s1, s1, _ZN12_GLOBAL__N_111calc_igammaIfEET_S1_S1_@rel32@hi+12
	s_delay_alu instid0(SALU_CYCLE_1)
	s_swappc_b64 s[30:31], s[0:1]
	v_mov_b32_e32 v80, v0
	s_cbranch_execz .LBB40_62
	s_branch .LBB40_63
.LBB40_61:
                                        ; implicit-def: $vgpr80
.LBB40_62:
	s_delay_alu instid0(VALU_DEP_1)
	v_mov_b32_e32 v0, v40
	s_waitcnt vmcnt(8)
	v_mov_b32_e32 v1, v84
	s_getpc_b64 s[0:1]
	s_add_u32 s0, s0, _ZN12_GLOBAL__N_112calc_igammacIfEET_S1_S1_@rel32@lo+4
	s_addc_u32 s1, s1, _ZN12_GLOBAL__N_112calc_igammacIfEET_S1_S1_@rel32@hi+12
	s_delay_alu instid0(SALU_CYCLE_1)
	s_swappc_b64 s[30:31], s[0:1]
	v_mov_b32_e32 v80, v0
.LBB40_63:
	v_lshrrev_b32_e32 v0, 16, v103
	s_and_b32 vcc_lo, exec_lo, s39
	s_delay_alu instid0(VALU_DEP_1)
	v_cvt_f32_f16_e32 v40, v0
	s_cbranch_vccnz .LBB40_65
; %bb.64:
	s_waitcnt vmcnt(8)
	s_delay_alu instid0(VALU_DEP_1) | instskip(SKIP_3) | instid1(SALU_CYCLE_1)
	v_dual_mov_b32 v0, v40 :: v_dual_mov_b32 v1, v85
	s_getpc_b64 s[0:1]
	s_add_u32 s0, s0, _ZN12_GLOBAL__N_111calc_igammaIfEET_S1_S1_@rel32@lo+4
	s_addc_u32 s1, s1, _ZN12_GLOBAL__N_111calc_igammaIfEET_S1_S1_@rel32@hi+12
	s_swappc_b64 s[30:31], s[0:1]
	v_mov_b32_e32 v81, v0
	s_cbranch_execz .LBB40_66
	s_branch .LBB40_67
.LBB40_65:
.LBB40_66:
	s_waitcnt vmcnt(8)
	s_delay_alu instid0(VALU_DEP_1) | instskip(SKIP_3) | instid1(SALU_CYCLE_1)
	v_dual_mov_b32 v0, v40 :: v_dual_mov_b32 v1, v85
	s_getpc_b64 s[0:1]
	s_add_u32 s0, s0, _ZN12_GLOBAL__N_112calc_igammacIfEET_S1_S1_@rel32@lo+4
	s_addc_u32 s1, s1, _ZN12_GLOBAL__N_112calc_igammacIfEET_S1_S1_@rel32@hi+12
	s_swappc_b64 s[30:31], s[0:1]
	v_mov_b32_e32 v81, v0
.LBB40_67:
	s_waitcnt vmcnt(23)
	v_cvt_f32_f16_e32 v40, v102
	s_and_b32 vcc_lo, exec_lo, s39
	s_cbranch_vccnz .LBB40_69
; %bb.68:
	s_waitcnt vmcnt(7)
	s_delay_alu instid0(VALU_DEP_1) | instskip(SKIP_3) | instid1(SALU_CYCLE_1)
	v_dual_mov_b32 v0, v40 :: v_dual_mov_b32 v1, v82
	s_getpc_b64 s[0:1]
	s_add_u32 s0, s0, _ZN12_GLOBAL__N_111calc_igammaIfEET_S1_S1_@rel32@lo+4
	s_addc_u32 s1, s1, _ZN12_GLOBAL__N_111calc_igammaIfEET_S1_S1_@rel32@hi+12
	s_swappc_b64 s[30:31], s[0:1]
	v_mov_b32_e32 v84, v0
	s_cbranch_execz .LBB40_70
	s_branch .LBB40_71
.LBB40_69:
                                        ; implicit-def: $vgpr84
.LBB40_70:
	s_waitcnt vmcnt(7)
	s_delay_alu instid0(VALU_DEP_1) | instskip(SKIP_3) | instid1(SALU_CYCLE_1)
	v_dual_mov_b32 v0, v40 :: v_dual_mov_b32 v1, v82
	s_getpc_b64 s[0:1]
	s_add_u32 s0, s0, _ZN12_GLOBAL__N_112calc_igammacIfEET_S1_S1_@rel32@lo+4
	s_addc_u32 s1, s1, _ZN12_GLOBAL__N_112calc_igammacIfEET_S1_S1_@rel32@hi+12
	s_swappc_b64 s[30:31], s[0:1]
	v_mov_b32_e32 v84, v0
.LBB40_71:
	v_lshrrev_b32_e32 v0, 16, v102
	s_and_b32 vcc_lo, exec_lo, s39
	s_delay_alu instid0(VALU_DEP_1)
	v_cvt_f32_f16_e32 v40, v0
	s_cbranch_vccnz .LBB40_73
; %bb.72:
	s_waitcnt vmcnt(7)
	s_delay_alu instid0(VALU_DEP_1) | instskip(SKIP_3) | instid1(SALU_CYCLE_1)
	v_dual_mov_b32 v0, v40 :: v_dual_mov_b32 v1, v83
	s_getpc_b64 s[0:1]
	s_add_u32 s0, s0, _ZN12_GLOBAL__N_111calc_igammaIfEET_S1_S1_@rel32@lo+4
	s_addc_u32 s1, s1, _ZN12_GLOBAL__N_111calc_igammaIfEET_S1_S1_@rel32@hi+12
	s_swappc_b64 s[30:31], s[0:1]
	v_mov_b32_e32 v85, v0
	s_cbranch_execz .LBB40_74
	s_branch .LBB40_75
.LBB40_73:
.LBB40_74:
	s_waitcnt vmcnt(7)
	s_delay_alu instid0(VALU_DEP_1) | instskip(SKIP_3) | instid1(SALU_CYCLE_1)
	v_dual_mov_b32 v0, v40 :: v_dual_mov_b32 v1, v83
	s_getpc_b64 s[0:1]
	s_add_u32 s0, s0, _ZN12_GLOBAL__N_112calc_igammacIfEET_S1_S1_@rel32@lo+4
	s_addc_u32 s1, s1, _ZN12_GLOBAL__N_112calc_igammacIfEET_S1_S1_@rel32@hi+12
	s_swappc_b64 s[30:31], s[0:1]
	v_mov_b32_e32 v85, v0
.LBB40_75:
	s_waitcnt vmcnt(22)
	v_cvt_f32_f16_e32 v40, v101
	s_and_b32 vcc_lo, exec_lo, s39
	s_cbranch_vccnz .LBB40_77
; %bb.76:
	s_waitcnt vmcnt(6)
	s_delay_alu instid0(VALU_DEP_1) | instskip(SKIP_3) | instid1(SALU_CYCLE_1)
	v_dual_mov_b32 v0, v40 :: v_dual_mov_b32 v1, v78
	s_getpc_b64 s[0:1]
	s_add_u32 s0, s0, _ZN12_GLOBAL__N_111calc_igammaIfEET_S1_S1_@rel32@lo+4
	s_addc_u32 s1, s1, _ZN12_GLOBAL__N_111calc_igammaIfEET_S1_S1_@rel32@hi+12
	s_swappc_b64 s[30:31], s[0:1]
	v_mov_b32_e32 v82, v0
	s_cbranch_execz .LBB40_78
	s_branch .LBB40_79
.LBB40_77:
                                        ; implicit-def: $vgpr82
.LBB40_78:
	s_waitcnt vmcnt(6)
	s_delay_alu instid0(VALU_DEP_1) | instskip(SKIP_3) | instid1(SALU_CYCLE_1)
	v_dual_mov_b32 v0, v40 :: v_dual_mov_b32 v1, v78
	s_getpc_b64 s[0:1]
	s_add_u32 s0, s0, _ZN12_GLOBAL__N_112calc_igammacIfEET_S1_S1_@rel32@lo+4
	s_addc_u32 s1, s1, _ZN12_GLOBAL__N_112calc_igammacIfEET_S1_S1_@rel32@hi+12
	s_swappc_b64 s[30:31], s[0:1]
	v_mov_b32_e32 v82, v0
.LBB40_79:
	v_lshrrev_b32_e32 v0, 16, v101
	s_and_b32 vcc_lo, exec_lo, s39
	s_delay_alu instid0(VALU_DEP_1)
	v_cvt_f32_f16_e32 v40, v0
	s_cbranch_vccnz .LBB40_81
; %bb.80:
	s_waitcnt vmcnt(6)
	s_delay_alu instid0(VALU_DEP_1) | instskip(SKIP_3) | instid1(SALU_CYCLE_1)
	v_dual_mov_b32 v0, v40 :: v_dual_mov_b32 v1, v79
	s_getpc_b64 s[0:1]
	s_add_u32 s0, s0, _ZN12_GLOBAL__N_111calc_igammaIfEET_S1_S1_@rel32@lo+4
	s_addc_u32 s1, s1, _ZN12_GLOBAL__N_111calc_igammaIfEET_S1_S1_@rel32@hi+12
	s_swappc_b64 s[30:31], s[0:1]
	v_mov_b32_e32 v83, v0
	s_cbranch_execz .LBB40_82
	s_branch .LBB40_83
.LBB40_81:
.LBB40_82:
	s_waitcnt vmcnt(6)
	s_delay_alu instid0(VALU_DEP_1) | instskip(SKIP_3) | instid1(SALU_CYCLE_1)
	v_dual_mov_b32 v0, v40 :: v_dual_mov_b32 v1, v79
	s_getpc_b64 s[0:1]
	s_add_u32 s0, s0, _ZN12_GLOBAL__N_112calc_igammacIfEET_S1_S1_@rel32@lo+4
	s_addc_u32 s1, s1, _ZN12_GLOBAL__N_112calc_igammacIfEET_S1_S1_@rel32@hi+12
	s_swappc_b64 s[30:31], s[0:1]
	v_mov_b32_e32 v83, v0
.LBB40_83:
	s_waitcnt vmcnt(21)
	v_cvt_f32_f16_e32 v40, v100
	s_and_b32 vcc_lo, exec_lo, s39
	s_cbranch_vccnz .LBB40_85
; %bb.84:
	s_waitcnt vmcnt(5)
	s_delay_alu instid0(VALU_DEP_1) | instskip(SKIP_3) | instid1(SALU_CYCLE_1)
	v_dual_mov_b32 v0, v40 :: v_dual_mov_b32 v1, v74
	s_getpc_b64 s[0:1]
	s_add_u32 s0, s0, _ZN12_GLOBAL__N_111calc_igammaIfEET_S1_S1_@rel32@lo+4
	s_addc_u32 s1, s1, _ZN12_GLOBAL__N_111calc_igammaIfEET_S1_S1_@rel32@hi+12
	s_swappc_b64 s[30:31], s[0:1]
	v_mov_b32_e32 v78, v0
	s_cbranch_execz .LBB40_86
	s_branch .LBB40_87
.LBB40_85:
                                        ; implicit-def: $vgpr78
.LBB40_86:
	s_waitcnt vmcnt(5)
	s_delay_alu instid0(VALU_DEP_1) | instskip(SKIP_3) | instid1(SALU_CYCLE_1)
	v_dual_mov_b32 v0, v40 :: v_dual_mov_b32 v1, v74
	s_getpc_b64 s[0:1]
	s_add_u32 s0, s0, _ZN12_GLOBAL__N_112calc_igammacIfEET_S1_S1_@rel32@lo+4
	s_addc_u32 s1, s1, _ZN12_GLOBAL__N_112calc_igammacIfEET_S1_S1_@rel32@hi+12
	s_swappc_b64 s[30:31], s[0:1]
	v_mov_b32_e32 v78, v0
.LBB40_87:
	v_lshrrev_b32_e32 v0, 16, v100
	s_and_b32 vcc_lo, exec_lo, s39
	s_delay_alu instid0(VALU_DEP_1)
	v_cvt_f32_f16_e32 v40, v0
	s_cbranch_vccnz .LBB40_89
; %bb.88:
	s_waitcnt vmcnt(5)
	s_delay_alu instid0(VALU_DEP_1) | instskip(SKIP_3) | instid1(SALU_CYCLE_1)
	v_dual_mov_b32 v0, v40 :: v_dual_mov_b32 v1, v75
	s_getpc_b64 s[0:1]
	s_add_u32 s0, s0, _ZN12_GLOBAL__N_111calc_igammaIfEET_S1_S1_@rel32@lo+4
	s_addc_u32 s1, s1, _ZN12_GLOBAL__N_111calc_igammaIfEET_S1_S1_@rel32@hi+12
	s_swappc_b64 s[30:31], s[0:1]
	v_mov_b32_e32 v79, v0
	s_cbranch_execz .LBB40_90
	s_branch .LBB40_91
.LBB40_89:
.LBB40_90:
	s_waitcnt vmcnt(5)
	s_delay_alu instid0(VALU_DEP_1) | instskip(SKIP_3) | instid1(SALU_CYCLE_1)
	v_dual_mov_b32 v0, v40 :: v_dual_mov_b32 v1, v75
	s_getpc_b64 s[0:1]
	s_add_u32 s0, s0, _ZN12_GLOBAL__N_112calc_igammacIfEET_S1_S1_@rel32@lo+4
	s_addc_u32 s1, s1, _ZN12_GLOBAL__N_112calc_igammacIfEET_S1_S1_@rel32@hi+12
	s_swappc_b64 s[30:31], s[0:1]
	v_mov_b32_e32 v79, v0
.LBB40_91:
	s_waitcnt vmcnt(20)
	v_cvt_f32_f16_e32 v40, v99
	s_and_b32 vcc_lo, exec_lo, s39
	s_cbranch_vccnz .LBB40_93
; %bb.92:
	s_waitcnt vmcnt(4)
	s_delay_alu instid0(VALU_DEP_1) | instskip(SKIP_3) | instid1(SALU_CYCLE_1)
	v_dual_mov_b32 v0, v40 :: v_dual_mov_b32 v1, v70
	s_getpc_b64 s[0:1]
	s_add_u32 s0, s0, _ZN12_GLOBAL__N_111calc_igammaIfEET_S1_S1_@rel32@lo+4
	s_addc_u32 s1, s1, _ZN12_GLOBAL__N_111calc_igammaIfEET_S1_S1_@rel32@hi+12
	s_swappc_b64 s[30:31], s[0:1]
	v_mov_b32_e32 v74, v0
	s_cbranch_execz .LBB40_94
	s_branch .LBB40_95
.LBB40_93:
                                        ; implicit-def: $vgpr74
.LBB40_94:
	s_waitcnt vmcnt(4)
	s_delay_alu instid0(VALU_DEP_1) | instskip(SKIP_3) | instid1(SALU_CYCLE_1)
	v_dual_mov_b32 v0, v40 :: v_dual_mov_b32 v1, v70
	s_getpc_b64 s[0:1]
	s_add_u32 s0, s0, _ZN12_GLOBAL__N_112calc_igammacIfEET_S1_S1_@rel32@lo+4
	s_addc_u32 s1, s1, _ZN12_GLOBAL__N_112calc_igammacIfEET_S1_S1_@rel32@hi+12
	s_swappc_b64 s[30:31], s[0:1]
	v_mov_b32_e32 v74, v0
.LBB40_95:
	v_lshrrev_b32_e32 v0, 16, v99
	s_and_b32 vcc_lo, exec_lo, s39
	s_delay_alu instid0(VALU_DEP_1)
	v_cvt_f32_f16_e32 v40, v0
	s_cbranch_vccnz .LBB40_97
; %bb.96:
	s_waitcnt vmcnt(4)
	s_delay_alu instid0(VALU_DEP_1) | instskip(SKIP_3) | instid1(SALU_CYCLE_1)
	v_dual_mov_b32 v0, v40 :: v_dual_mov_b32 v1, v71
	s_getpc_b64 s[0:1]
	s_add_u32 s0, s0, _ZN12_GLOBAL__N_111calc_igammaIfEET_S1_S1_@rel32@lo+4
	s_addc_u32 s1, s1, _ZN12_GLOBAL__N_111calc_igammaIfEET_S1_S1_@rel32@hi+12
	s_swappc_b64 s[30:31], s[0:1]
	v_mov_b32_e32 v75, v0
	s_cbranch_execz .LBB40_98
	s_branch .LBB40_99
.LBB40_97:
.LBB40_98:
	s_waitcnt vmcnt(4)
	s_delay_alu instid0(VALU_DEP_1) | instskip(SKIP_3) | instid1(SALU_CYCLE_1)
	v_dual_mov_b32 v0, v40 :: v_dual_mov_b32 v1, v71
	s_getpc_b64 s[0:1]
	s_add_u32 s0, s0, _ZN12_GLOBAL__N_112calc_igammacIfEET_S1_S1_@rel32@lo+4
	s_addc_u32 s1, s1, _ZN12_GLOBAL__N_112calc_igammacIfEET_S1_S1_@rel32@hi+12
	s_swappc_b64 s[30:31], s[0:1]
	v_mov_b32_e32 v75, v0
.LBB40_99:
	s_waitcnt vmcnt(19)
	v_cvt_f32_f16_e32 v40, v98
	s_and_b32 vcc_lo, exec_lo, s39
	s_cbranch_vccnz .LBB40_101
; %bb.100:
	s_waitcnt vmcnt(3)
	s_delay_alu instid0(VALU_DEP_1) | instskip(SKIP_3) | instid1(SALU_CYCLE_1)
	v_dual_mov_b32 v0, v40 :: v_dual_mov_b32 v1, v66
	s_getpc_b64 s[0:1]
	s_add_u32 s0, s0, _ZN12_GLOBAL__N_111calc_igammaIfEET_S1_S1_@rel32@lo+4
	s_addc_u32 s1, s1, _ZN12_GLOBAL__N_111calc_igammaIfEET_S1_S1_@rel32@hi+12
	s_swappc_b64 s[30:31], s[0:1]
	v_mov_b32_e32 v70, v0
	s_cbranch_execz .LBB40_102
	s_branch .LBB40_103
.LBB40_101:
                                        ; implicit-def: $vgpr70
.LBB40_102:
	s_waitcnt vmcnt(3)
	s_delay_alu instid0(VALU_DEP_1) | instskip(SKIP_3) | instid1(SALU_CYCLE_1)
	v_dual_mov_b32 v0, v40 :: v_dual_mov_b32 v1, v66
	s_getpc_b64 s[0:1]
	s_add_u32 s0, s0, _ZN12_GLOBAL__N_112calc_igammacIfEET_S1_S1_@rel32@lo+4
	s_addc_u32 s1, s1, _ZN12_GLOBAL__N_112calc_igammacIfEET_S1_S1_@rel32@hi+12
	s_swappc_b64 s[30:31], s[0:1]
	v_mov_b32_e32 v70, v0
.LBB40_103:
	v_lshrrev_b32_e32 v0, 16, v98
	s_and_b32 vcc_lo, exec_lo, s39
	s_delay_alu instid0(VALU_DEP_1)
	v_cvt_f32_f16_e32 v40, v0
	s_cbranch_vccnz .LBB40_105
; %bb.104:
	s_waitcnt vmcnt(3)
	s_delay_alu instid0(VALU_DEP_1) | instskip(SKIP_3) | instid1(SALU_CYCLE_1)
	v_dual_mov_b32 v0, v40 :: v_dual_mov_b32 v1, v67
	s_getpc_b64 s[0:1]
	s_add_u32 s0, s0, _ZN12_GLOBAL__N_111calc_igammaIfEET_S1_S1_@rel32@lo+4
	s_addc_u32 s1, s1, _ZN12_GLOBAL__N_111calc_igammaIfEET_S1_S1_@rel32@hi+12
	s_swappc_b64 s[30:31], s[0:1]
	v_mov_b32_e32 v71, v0
	s_cbranch_execz .LBB40_106
	s_branch .LBB40_107
.LBB40_105:
.LBB40_106:
	s_waitcnt vmcnt(3)
	s_delay_alu instid0(VALU_DEP_1) | instskip(SKIP_3) | instid1(SALU_CYCLE_1)
	v_dual_mov_b32 v0, v40 :: v_dual_mov_b32 v1, v67
	s_getpc_b64 s[0:1]
	s_add_u32 s0, s0, _ZN12_GLOBAL__N_112calc_igammacIfEET_S1_S1_@rel32@lo+4
	s_addc_u32 s1, s1, _ZN12_GLOBAL__N_112calc_igammacIfEET_S1_S1_@rel32@hi+12
	s_swappc_b64 s[30:31], s[0:1]
	v_mov_b32_e32 v71, v0
.LBB40_107:
	s_waitcnt vmcnt(18)
	v_cvt_f32_f16_e32 v40, v97
	s_and_b32 vcc_lo, exec_lo, s39
	s_cbranch_vccnz .LBB40_109
; %bb.108:
	s_delay_alu instid0(VALU_DEP_1)
	v_mov_b32_e32 v0, v40
	s_waitcnt vmcnt(2)
	v_mov_b32_e32 v1, v60
	s_getpc_b64 s[0:1]
	s_add_u32 s0, s0, _ZN12_GLOBAL__N_111calc_igammaIfEET_S1_S1_@rel32@lo+4
	s_addc_u32 s1, s1, _ZN12_GLOBAL__N_111calc_igammaIfEET_S1_S1_@rel32@hi+12
	s_delay_alu instid0(SALU_CYCLE_1)
	s_swappc_b64 s[30:31], s[0:1]
	v_mov_b32_e32 v66, v0
	s_cbranch_execz .LBB40_110
	s_branch .LBB40_111
.LBB40_109:
                                        ; implicit-def: $vgpr66
.LBB40_110:
	s_delay_alu instid0(VALU_DEP_1)
	v_mov_b32_e32 v0, v40
	s_waitcnt vmcnt(2)
	v_mov_b32_e32 v1, v60
	s_getpc_b64 s[0:1]
	s_add_u32 s0, s0, _ZN12_GLOBAL__N_112calc_igammacIfEET_S1_S1_@rel32@lo+4
	s_addc_u32 s1, s1, _ZN12_GLOBAL__N_112calc_igammacIfEET_S1_S1_@rel32@hi+12
	s_delay_alu instid0(SALU_CYCLE_1)
	s_swappc_b64 s[30:31], s[0:1]
	v_mov_b32_e32 v66, v0
.LBB40_111:
	v_lshrrev_b32_e32 v0, 16, v97
	s_and_b32 vcc_lo, exec_lo, s39
	s_delay_alu instid0(VALU_DEP_1)
	v_cvt_f32_f16_e32 v40, v0
	s_cbranch_vccnz .LBB40_113
; %bb.112:
	s_waitcnt vmcnt(2)
	s_delay_alu instid0(VALU_DEP_1) | instskip(SKIP_3) | instid1(SALU_CYCLE_1)
	v_dual_mov_b32 v0, v40 :: v_dual_mov_b32 v1, v61
	s_getpc_b64 s[0:1]
	s_add_u32 s0, s0, _ZN12_GLOBAL__N_111calc_igammaIfEET_S1_S1_@rel32@lo+4
	s_addc_u32 s1, s1, _ZN12_GLOBAL__N_111calc_igammaIfEET_S1_S1_@rel32@hi+12
	s_swappc_b64 s[30:31], s[0:1]
	v_mov_b32_e32 v67, v0
	s_cbranch_execz .LBB40_114
	s_branch .LBB40_115
.LBB40_113:
.LBB40_114:
	s_waitcnt vmcnt(2)
	s_delay_alu instid0(VALU_DEP_1) | instskip(SKIP_3) | instid1(SALU_CYCLE_1)
	v_dual_mov_b32 v0, v40 :: v_dual_mov_b32 v1, v61
	s_getpc_b64 s[0:1]
	s_add_u32 s0, s0, _ZN12_GLOBAL__N_112calc_igammacIfEET_S1_S1_@rel32@lo+4
	s_addc_u32 s1, s1, _ZN12_GLOBAL__N_112calc_igammacIfEET_S1_S1_@rel32@hi+12
	s_swappc_b64 s[30:31], s[0:1]
	v_mov_b32_e32 v67, v0
.LBB40_115:
	s_waitcnt vmcnt(17)
	v_cvt_f32_f16_e32 v40, v96
	s_and_b32 vcc_lo, exec_lo, s39
	s_cbranch_vccnz .LBB40_117
; %bb.116:
	s_delay_alu instid0(VALU_DEP_1)
	v_mov_b32_e32 v0, v40
	s_waitcnt vmcnt(1)
	v_mov_b32_e32 v1, v56
	s_getpc_b64 s[0:1]
	s_add_u32 s0, s0, _ZN12_GLOBAL__N_111calc_igammaIfEET_S1_S1_@rel32@lo+4
	s_addc_u32 s1, s1, _ZN12_GLOBAL__N_111calc_igammaIfEET_S1_S1_@rel32@hi+12
	s_delay_alu instid0(SALU_CYCLE_1)
	s_swappc_b64 s[30:31], s[0:1]
	v_mov_b32_e32 v60, v0
	s_cbranch_execz .LBB40_118
	s_branch .LBB40_119
.LBB40_117:
                                        ; implicit-def: $vgpr60
.LBB40_118:
	s_delay_alu instid0(VALU_DEP_1)
	v_mov_b32_e32 v0, v40
	s_waitcnt vmcnt(1)
	v_mov_b32_e32 v1, v56
	s_getpc_b64 s[0:1]
	s_add_u32 s0, s0, _ZN12_GLOBAL__N_112calc_igammacIfEET_S1_S1_@rel32@lo+4
	s_addc_u32 s1, s1, _ZN12_GLOBAL__N_112calc_igammacIfEET_S1_S1_@rel32@hi+12
	s_delay_alu instid0(SALU_CYCLE_1)
	s_swappc_b64 s[30:31], s[0:1]
	v_mov_b32_e32 v60, v0
.LBB40_119:
	v_lshrrev_b32_e32 v0, 16, v96
	s_and_b32 vcc_lo, exec_lo, s39
	s_delay_alu instid0(VALU_DEP_1)
	v_cvt_f32_f16_e32 v40, v0
	s_cbranch_vccnz .LBB40_121
; %bb.120:
	s_waitcnt vmcnt(1)
	s_delay_alu instid0(VALU_DEP_1) | instskip(SKIP_3) | instid1(SALU_CYCLE_1)
	v_dual_mov_b32 v0, v40 :: v_dual_mov_b32 v1, v57
	s_getpc_b64 s[0:1]
	s_add_u32 s0, s0, _ZN12_GLOBAL__N_111calc_igammaIfEET_S1_S1_@rel32@lo+4
	s_addc_u32 s1, s1, _ZN12_GLOBAL__N_111calc_igammaIfEET_S1_S1_@rel32@hi+12
	s_swappc_b64 s[30:31], s[0:1]
	v_mov_b32_e32 v61, v0
	s_cbranch_execz .LBB40_122
	s_branch .LBB40_123
.LBB40_121:
.LBB40_122:
	s_waitcnt vmcnt(1)
	s_delay_alu instid0(VALU_DEP_1) | instskip(SKIP_3) | instid1(SALU_CYCLE_1)
	v_dual_mov_b32 v0, v40 :: v_dual_mov_b32 v1, v57
	s_getpc_b64 s[0:1]
	s_add_u32 s0, s0, _ZN12_GLOBAL__N_112calc_igammacIfEET_S1_S1_@rel32@lo+4
	s_addc_u32 s1, s1, _ZN12_GLOBAL__N_112calc_igammacIfEET_S1_S1_@rel32@hi+12
	s_swappc_b64 s[30:31], s[0:1]
	v_mov_b32_e32 v61, v0
.LBB40_123:
	s_waitcnt vmcnt(16)
	v_cvt_f32_f16_e32 v40, v95
	s_and_b32 vcc_lo, exec_lo, s39
	s_cbranch_vccnz .LBB40_125
; %bb.124:
	s_delay_alu instid0(VALU_DEP_1)
	v_mov_b32_e32 v0, v40
	s_waitcnt vmcnt(0)
	v_mov_b32_e32 v1, v44
	s_getpc_b64 s[0:1]
	s_add_u32 s0, s0, _ZN12_GLOBAL__N_111calc_igammaIfEET_S1_S1_@rel32@lo+4
	s_addc_u32 s1, s1, _ZN12_GLOBAL__N_111calc_igammaIfEET_S1_S1_@rel32@hi+12
	s_delay_alu instid0(SALU_CYCLE_1)
	s_swappc_b64 s[30:31], s[0:1]
	v_mov_b32_e32 v56, v0
	s_cbranch_execz .LBB40_126
	s_branch .LBB40_127
.LBB40_125:
                                        ; implicit-def: $vgpr56
.LBB40_126:
	s_delay_alu instid0(VALU_DEP_1)
	v_mov_b32_e32 v0, v40
	s_waitcnt vmcnt(0)
	v_mov_b32_e32 v1, v44
	s_getpc_b64 s[0:1]
	s_add_u32 s0, s0, _ZN12_GLOBAL__N_112calc_igammacIfEET_S1_S1_@rel32@lo+4
	s_addc_u32 s1, s1, _ZN12_GLOBAL__N_112calc_igammacIfEET_S1_S1_@rel32@hi+12
	s_delay_alu instid0(SALU_CYCLE_1)
	s_swappc_b64 s[30:31], s[0:1]
	v_mov_b32_e32 v56, v0
.LBB40_127:
	v_lshrrev_b32_e32 v0, 16, v95
	s_and_b32 vcc_lo, exec_lo, s39
	s_delay_alu instid0(VALU_DEP_1)
	v_cvt_f32_f16_e32 v40, v0
	s_cbranch_vccnz .LBB40_129
; %bb.128:
	s_waitcnt vmcnt(0)
	s_delay_alu instid0(VALU_DEP_1) | instskip(SKIP_3) | instid1(SALU_CYCLE_1)
	v_dual_mov_b32 v0, v40 :: v_dual_mov_b32 v1, v45
	s_getpc_b64 s[0:1]
	s_add_u32 s0, s0, _ZN12_GLOBAL__N_111calc_igammaIfEET_S1_S1_@rel32@lo+4
	s_addc_u32 s1, s1, _ZN12_GLOBAL__N_111calc_igammaIfEET_S1_S1_@rel32@hi+12
	s_swappc_b64 s[30:31], s[0:1]
	v_mov_b32_e32 v57, v0
	s_cbranch_execz .LBB40_130
	s_branch .LBB40_131
.LBB40_129:
.LBB40_130:
	s_waitcnt vmcnt(0)
	s_delay_alu instid0(VALU_DEP_1) | instskip(SKIP_3) | instid1(SALU_CYCLE_1)
	v_dual_mov_b32 v0, v40 :: v_dual_mov_b32 v1, v45
	s_getpc_b64 s[0:1]
	s_add_u32 s0, s0, _ZN12_GLOBAL__N_112calc_igammacIfEET_S1_S1_@rel32@lo+4
	s_addc_u32 s1, s1, _ZN12_GLOBAL__N_112calc_igammacIfEET_S1_S1_@rel32@hi+12
	s_swappc_b64 s[30:31], s[0:1]
	v_mov_b32_e32 v57, v0
.LBB40_131:
	s_add_u32 s2, s40, s46
	s_addc_u32 s3, s41, s47
	v_add_co_u32 v8, s0, s2, v87
	s_delay_alu instid0(VALU_DEP_1) | instskip(NEXT) | instid1(VALU_DEP_2)
	v_add_co_ci_u32_e64 v9, null, s3, 0, s0
	v_add_co_u32 v0, vcc_lo, 0x1000, v8
	s_delay_alu instid0(VALU_DEP_2)
	v_add_co_ci_u32_e32 v1, vcc_lo, 0, v9, vcc_lo
	v_add_co_u32 v2, vcc_lo, 0x3000, v8
	v_add_co_ci_u32_e32 v3, vcc_lo, 0, v9, vcc_lo
	v_add_co_u32 v4, vcc_lo, 0x5000, v8
	v_add_co_ci_u32_e32 v5, vcc_lo, 0, v9, vcc_lo
	v_add_co_u32 v6, vcc_lo, 0x7000, v8
	v_add_co_ci_u32_e32 v7, vcc_lo, 0, v9, vcc_lo
	global_store_b64 v87, v[42:43], s[2:3]
	s_waitcnt vmcnt(14)
	global_store_b64 v91, v[58:59], s[2:3]
	s_waitcnt vmcnt(12)
	;; [unrolled: 2-line block ×3, first 2 shown]
	s_clause 0x3
	global_store_b64 v94, v[76:77], s[2:3]
	global_store_b64 v[0:1], v[46:47], off
	global_store_b64 v[2:3], v[62:63], off
	;; [unrolled: 1-line block ×3, first 2 shown]
	s_waitcnt vmcnt(9)
	global_store_b64 v[6:7], v[80:81], off
	v_add_co_u32 v0, vcc_lo, 0x9000, v8
	v_add_co_ci_u32_e32 v1, vcc_lo, 0, v9, vcc_lo
	v_add_co_u32 v2, vcc_lo, 0xb000, v8
	v_add_co_ci_u32_e32 v3, vcc_lo, 0, v9, vcc_lo
	;; [unrolled: 2-line block ×4, first 2 shown]
	s_waitcnt vmcnt(8)
	global_store_b64 v88, v[84:85], s[2:3]
	s_waitcnt vmcnt(6)
	global_store_b64 v89, v[78:79], s[2:3]
	;; [unrolled: 2-line block ×3, first 2 shown]
	s_waitcnt vmcnt(2)
	s_clause 0x3
	global_store_b64 v92, v[60:61], s[2:3]
	global_store_b64 v[0:1], v[82:83], off
	global_store_b64 v[2:3], v[74:75], off
	;; [unrolled: 1-line block ×3, first 2 shown]
	s_waitcnt vmcnt(1)
	global_store_b64 v[6:7], v[56:57], off
	s_branch .LBB40_2
.LBB40_132:
	s_clause 0x1
	s_load_b32 s6, s[36:37], 0x24
	s_load_b128 s[0:3], s[36:37], 0x28
	v_cndmask_b32_e64 v0, 0, 1, s49
	v_dual_mov_b32 v31, v86 :: v_dual_mov_b32 v2, s41
	v_dual_mov_b32 v1, s40 :: v_dual_mov_b32 v4, s43
	;; [unrolled: 1-line block ×3, first 2 shown]
	v_mov_b32_e32 v5, s44
	v_mov_b32_e32 v7, s48
	s_add_u32 s8, s36, 56
	s_addc_u32 s9, s37, 0
	s_mov_b32 s12, s38
	s_getpc_b64 s[4:5]
	s_add_u32 s4, s4, _ZN2at6native25elementwise_kernel_helperILb1EN12_GLOBAL__N_110CalcIgammaIfEENS0_6memory8policies11unroll_baseILi512ESt5arrayIPcLm3EE23TrivialOffsetCalculatorILi2EjESB_ILi1EjENS5_12LoadWithCastILi2EEENS5_13StoreWithCastILi1EEELi32ELi1EEEEEvT0_T1_@rel32@lo+4
	s_addc_u32 s5, s5, _ZN2at6native25elementwise_kernel_helperILb1EN12_GLOBAL__N_110CalcIgammaIfEENS0_6memory8policies11unroll_baseILi512ESt5arrayIPcLm3EE23TrivialOffsetCalculatorILi2EjESB_ILi1EjENS5_12LoadWithCastILi2EEENS5_13StoreWithCastILi1EEELi32ELi1EEEEEvT0_T1_@rel32@hi+12
	s_waitcnt lgkmcnt(0)
	v_lshrrev_b16 v9, 8, s6
	v_mov_b32_e32 v10, s0
	v_dual_mov_b32 v8, s6 :: v_dual_mov_b32 v11, s1
	v_dual_mov_b32 v12, s2 :: v_dual_mov_b32 v13, s3
	s_swappc_b64 s[30:31], s[4:5]
	s_endpgm
	.section	.rodata,"a",@progbits
	.p2align	6, 0x0
	.amdhsa_kernel _ZN2at6native39vectorized_templated_elementwise_kernelILi2EN12_GLOBAL__N_110CalcIgammaIfEESt5arrayIPcLm3EE23TrivialOffsetCalculatorILi2EjES8_ILi1EjENS0_6memory12LoadWithCastILi2EEENSB_13StoreWithCastILi1EEEfJN3c104HalfEfEEEviT0_T1_T2_T3_T4_T5_
		.amdhsa_group_segment_fixed_size 0
		.amdhsa_private_segment_fixed_size 448
		.amdhsa_kernarg_size 312
		.amdhsa_user_sgpr_count 15
		.amdhsa_user_sgpr_dispatch_ptr 0
		.amdhsa_user_sgpr_queue_ptr 0
		.amdhsa_user_sgpr_kernarg_segment_ptr 1
		.amdhsa_user_sgpr_dispatch_id 0
		.amdhsa_user_sgpr_private_segment_size 0
		.amdhsa_wavefront_size32 1
		.amdhsa_uses_dynamic_stack 0
		.amdhsa_enable_private_segment 1
		.amdhsa_system_sgpr_workgroup_id_x 1
		.amdhsa_system_sgpr_workgroup_id_y 0
		.amdhsa_system_sgpr_workgroup_id_z 0
		.amdhsa_system_sgpr_workgroup_info 0
		.amdhsa_system_vgpr_workitem_id 0
		.amdhsa_next_free_vgpr 147
		.amdhsa_next_free_sgpr 77
		.amdhsa_reserve_vcc 1
		.amdhsa_float_round_mode_32 0
		.amdhsa_float_round_mode_16_64 0
		.amdhsa_float_denorm_mode_32 3
		.amdhsa_float_denorm_mode_16_64 3
		.amdhsa_dx10_clamp 1
		.amdhsa_ieee_mode 1
		.amdhsa_fp16_overflow 0
		.amdhsa_workgroup_processor_mode 1
		.amdhsa_memory_ordered 1
		.amdhsa_forward_progress 0
		.amdhsa_shared_vgpr_count 0
		.amdhsa_exception_fp_ieee_invalid_op 0
		.amdhsa_exception_fp_denorm_src 0
		.amdhsa_exception_fp_ieee_div_zero 0
		.amdhsa_exception_fp_ieee_overflow 0
		.amdhsa_exception_fp_ieee_underflow 0
		.amdhsa_exception_fp_ieee_inexact 0
		.amdhsa_exception_int_div_zero 0
	.end_amdhsa_kernel
	.section	.text._ZN2at6native39vectorized_templated_elementwise_kernelILi2EN12_GLOBAL__N_110CalcIgammaIfEESt5arrayIPcLm3EE23TrivialOffsetCalculatorILi2EjES8_ILi1EjENS0_6memory12LoadWithCastILi2EEENSB_13StoreWithCastILi1EEEfJN3c104HalfEfEEEviT0_T1_T2_T3_T4_T5_,"axG",@progbits,_ZN2at6native39vectorized_templated_elementwise_kernelILi2EN12_GLOBAL__N_110CalcIgammaIfEESt5arrayIPcLm3EE23TrivialOffsetCalculatorILi2EjES8_ILi1EjENS0_6memory12LoadWithCastILi2EEENSB_13StoreWithCastILi1EEEfJN3c104HalfEfEEEviT0_T1_T2_T3_T4_T5_,comdat
.Lfunc_end40:
	.size	_ZN2at6native39vectorized_templated_elementwise_kernelILi2EN12_GLOBAL__N_110CalcIgammaIfEESt5arrayIPcLm3EE23TrivialOffsetCalculatorILi2EjES8_ILi1EjENS0_6memory12LoadWithCastILi2EEENSB_13StoreWithCastILi1EEEfJN3c104HalfEfEEEviT0_T1_T2_T3_T4_T5_, .Lfunc_end40-_ZN2at6native39vectorized_templated_elementwise_kernelILi2EN12_GLOBAL__N_110CalcIgammaIfEESt5arrayIPcLm3EE23TrivialOffsetCalculatorILi2EjES8_ILi1EjENS0_6memory12LoadWithCastILi2EEENSB_13StoreWithCastILi1EEEfJN3c104HalfEfEEEviT0_T1_T2_T3_T4_T5_
                                        ; -- End function
	.section	.AMDGPU.csdata,"",@progbits
; Kernel info:
; codeLenInByte = 5024
; NumSgprs: 79
; NumVgprs: 147
; ScratchSize: 448
; MemoryBound: 0
; FloatMode: 240
; IeeeMode: 1
; LDSByteSize: 0 bytes/workgroup (compile time only)
; SGPRBlocks: 9
; VGPRBlocks: 18
; NumSGPRsForWavesPerEU: 79
; NumVGPRsForWavesPerEU: 147
; Occupancy: 9
; WaveLimiterHint : 0
; COMPUTE_PGM_RSRC2:SCRATCH_EN: 1
; COMPUTE_PGM_RSRC2:USER_SGPR: 15
; COMPUTE_PGM_RSRC2:TRAP_HANDLER: 0
; COMPUTE_PGM_RSRC2:TGID_X_EN: 1
; COMPUTE_PGM_RSRC2:TGID_Y_EN: 0
; COMPUTE_PGM_RSRC2:TGID_Z_EN: 0
; COMPUTE_PGM_RSRC2:TIDIG_COMP_CNT: 0
	.section	.text._ZN2at6native39vectorized_templated_elementwise_kernelILi8EN12_GLOBAL__N_110CalcIgammaIfEESt5arrayIPcLm3EE23TrivialOffsetCalculatorILi2EjES8_ILi1EjENS0_6memory12LoadWithCastILi2EEENSB_13StoreWithCastILi1EEEN3c104HalfEJSH_fEEEviT0_T1_T2_T3_T4_T5_,"axG",@progbits,_ZN2at6native39vectorized_templated_elementwise_kernelILi8EN12_GLOBAL__N_110CalcIgammaIfEESt5arrayIPcLm3EE23TrivialOffsetCalculatorILi2EjES8_ILi1EjENS0_6memory12LoadWithCastILi2EEENSB_13StoreWithCastILi1EEEN3c104HalfEJSH_fEEEviT0_T1_T2_T3_T4_T5_,comdat
	.globl	_ZN2at6native39vectorized_templated_elementwise_kernelILi8EN12_GLOBAL__N_110CalcIgammaIfEESt5arrayIPcLm3EE23TrivialOffsetCalculatorILi2EjES8_ILi1EjENS0_6memory12LoadWithCastILi2EEENSB_13StoreWithCastILi1EEEN3c104HalfEJSH_fEEEviT0_T1_T2_T3_T4_T5_ ; -- Begin function _ZN2at6native39vectorized_templated_elementwise_kernelILi8EN12_GLOBAL__N_110CalcIgammaIfEESt5arrayIPcLm3EE23TrivialOffsetCalculatorILi2EjES8_ILi1EjENS0_6memory12LoadWithCastILi2EEENSB_13StoreWithCastILi1EEEN3c104HalfEJSH_fEEEviT0_T1_T2_T3_T4_T5_
	.p2align	8
	.type	_ZN2at6native39vectorized_templated_elementwise_kernelILi8EN12_GLOBAL__N_110CalcIgammaIfEESt5arrayIPcLm3EE23TrivialOffsetCalculatorILi2EjES8_ILi1EjENS0_6memory12LoadWithCastILi2EEENSB_13StoreWithCastILi1EEEN3c104HalfEJSH_fEEEviT0_T1_T2_T3_T4_T5_,@function
_ZN2at6native39vectorized_templated_elementwise_kernelILi8EN12_GLOBAL__N_110CalcIgammaIfEESt5arrayIPcLm3EE23TrivialOffsetCalculatorILi2EjES8_ILi1EjENS0_6memory12LoadWithCastILi2EEENSB_13StoreWithCastILi1EEEN3c104HalfEJSH_fEEEviT0_T1_T2_T3_T4_T5_: ; @_ZN2at6native39vectorized_templated_elementwise_kernelILi8EN12_GLOBAL__N_110CalcIgammaIfEESt5arrayIPcLm3EE23TrivialOffsetCalculatorILi2EjES8_ILi1EjENS0_6memory12LoadWithCastILi2EEENSB_13StoreWithCastILi1EEEN3c104HalfEJSH_fEEEviT0_T1_T2_T3_T4_T5_
; %bb.0:
	s_mov_b64 s[36:37], s[0:1]
	s_clause 0x1
	s_load_b64 s[2:3], s[0:1], 0x0
	s_load_b32 s0, s[0:1], 0x38
	s_clause 0x1
	s_load_b64 s[44:45], s[36:37], 0x18
	s_load_b128 s[40:43], s[36:37], 0x8
	v_mov_b32_e32 v42, v0
	s_mov_b32 s38, s15
	s_mov_b32 s32, 0
	s_waitcnt lgkmcnt(0)
	s_bitcmp1_b32 s3, 0
	s_cselect_b32 s49, -1, 0
	s_not_b32 s1, s15
	s_delay_alu instid0(SALU_CYCLE_1) | instskip(SKIP_2) | instid1(SALU_CYCLE_1)
	s_add_i32 s0, s0, s1
	s_mov_b32 s1, -1
	s_lshl_b32 s0, s0, 14
	s_sub_i32 s48, s2, s0
	s_delay_alu instid0(SALU_CYCLE_1)
	s_cmpk_gt_i32 s48, 0x3fff
	s_cbranch_scc1 .LBB41_3
; %bb.1:
	s_and_b32 vcc_lo, exec_lo, s1
	s_cbranch_vccnz .LBB41_132
.LBB41_2:
	s_endpgm
.LBB41_3:
	s_ashr_i32 s1, s0, 31
	v_lshlrev_b32_e32 v102, 4, v42
	s_lshl_b64 s[46:47], s[0:1], 1
	s_xor_b32 s50, s49, -1
	s_add_u32 s2, s42, s46
	s_addc_u32 s3, s43, s47
	v_add_co_u32 v2, s4, s2, v102
	s_delay_alu instid0(VALU_DEP_1) | instskip(SKIP_1) | instid1(VALU_DEP_3)
	v_add_co_ci_u32_e64 v3, null, s3, 0, s4
	v_or_b32_e32 v4, 0x400, v42
	v_add_co_u32 v0, vcc_lo, 0x2000, v2
	s_delay_alu instid0(VALU_DEP_3) | instskip(SKIP_1) | instid1(VALU_DEP_4)
	v_add_co_ci_u32_e32 v1, vcc_lo, 0, v3, vcc_lo
	v_add_co_u32 v2, vcc_lo, 0x6000, v2
	v_lshlrev_b32_e32 v103, 4, v4
	s_clause 0x1
	global_load_b128 v[56:59], v102, s[2:3]
	global_load_b128 v[66:69], v[0:1], off
	v_lshlrev_b32_e32 v0, 5, v42
	v_add_co_ci_u32_e32 v3, vcc_lo, 0, v3, vcc_lo
	s_lshl_b64 s[0:1], s[0:1], 2
	s_clause 0x1
	global_load_b128 v[74:77], v103, s[2:3]
	global_load_b128 v[82:85], v[2:3], off
	s_add_u32 s0, s44, s0
	s_addc_u32 s1, s45, s1
	v_add_co_u32 v2, s2, s0, v0
	s_delay_alu instid0(VALU_DEP_1)
	v_add_co_ci_u32_e64 v3, null, s1, 0, s2
	s_clause 0x1
	global_load_b128 v[98:101], v0, s[0:1] offset:16
	global_load_b128 v[44:47], v0, s[0:1]
	v_add_co_u32 v0, vcc_lo, 0x4000, v2
	v_add_co_ci_u32_e32 v1, vcc_lo, 0, v3, vcc_lo
	v_lshlrev_b32_e32 v4, 5, v4
	v_add_co_u32 v2, vcc_lo, 0xc000, v2
	v_add_co_ci_u32_e32 v3, vcc_lo, 0, v3, vcc_lo
	s_clause 0x5
	global_load_b128 v[60:63], v[0:1], off
	global_load_b128 v[94:97], v[0:1], off offset:16
	global_load_b128 v[90:93], v4, s[0:1] offset:16
	global_load_b128 v[70:73], v4, s[0:1]
	global_load_b128 v[78:81], v[2:3], off
	global_load_b128 v[86:89], v[2:3], off offset:16
	s_and_b32 vcc_lo, exec_lo, s50
	s_mov_b32 s39, 0
	s_waitcnt vmcnt(11)
	v_cvt_f32_f16_e32 v40, v56
	s_waitcnt vmcnt(6)
	v_cvt_f16_f32_e32 v0, v44
	s_delay_alu instid0(VALU_DEP_1)
	v_cvt_f32_f16_e32 v44, v0
	s_cbranch_vccz .LBB41_5
; %bb.4:
	v_mov_b32_e32 v0, v40
	s_delay_alu instid0(VALU_DEP_2) | instskip(SKIP_3) | instid1(SALU_CYCLE_1)
	v_mov_b32_e32 v1, v44
	s_getpc_b64 s[0:1]
	s_add_u32 s0, s0, _ZN12_GLOBAL__N_111calc_igammaIfEET_S1_S1_@rel32@lo+4
	s_addc_u32 s1, s1, _ZN12_GLOBAL__N_111calc_igammaIfEET_S1_S1_@rel32@hi+12
	s_swappc_b64 s[30:31], s[0:1]
	v_mov_b32_e32 v43, v0
	s_and_not1_b32 vcc_lo, exec_lo, s39
	s_cbranch_vccz .LBB41_6
	s_branch .LBB41_7
.LBB41_5:
                                        ; implicit-def: $vgpr43
.LBB41_6:
	v_mov_b32_e32 v0, v40
	s_delay_alu instid0(VALU_DEP_2) | instskip(SKIP_3) | instid1(SALU_CYCLE_1)
	v_mov_b32_e32 v1, v44
	s_getpc_b64 s[0:1]
	s_add_u32 s0, s0, _ZN12_GLOBAL__N_112calc_igammacIfEET_S1_S1_@rel32@lo+4
	s_addc_u32 s1, s1, _ZN12_GLOBAL__N_112calc_igammacIfEET_S1_S1_@rel32@hi+12
	s_swappc_b64 s[30:31], s[0:1]
	v_mov_b32_e32 v43, v0
.LBB41_7:
	v_cndmask_b32_e64 v0, 0, 1, s50
	v_lshrrev_b32_e32 v1, 16, v56
	v_cvt_f16_f32_e32 v2, v45
	s_and_not1_b32 vcc_lo, exec_lo, s50
	s_delay_alu instid0(VALU_DEP_3) | instskip(NEXT) | instid1(VALU_DEP_3)
	v_cmp_ne_u32_e64 s39, 1, v0
	v_cvt_f32_f16_e32 v40, v1
	s_delay_alu instid0(VALU_DEP_3)
	v_cvt_f32_f16_e32 v45, v2
	s_cbranch_vccnz .LBB41_9
; %bb.8:
	s_delay_alu instid0(VALU_DEP_1) | instskip(SKIP_3) | instid1(SALU_CYCLE_1)
	v_dual_mov_b32 v0, v40 :: v_dual_mov_b32 v1, v45
	s_getpc_b64 s[0:1]
	s_add_u32 s0, s0, _ZN12_GLOBAL__N_111calc_igammaIfEET_S1_S1_@rel32@lo+4
	s_addc_u32 s1, s1, _ZN12_GLOBAL__N_111calc_igammaIfEET_S1_S1_@rel32@hi+12
	s_swappc_b64 s[30:31], s[0:1]
	v_mov_b32_e32 v44, v0
	s_cbranch_execz .LBB41_10
	s_branch .LBB41_11
.LBB41_9:
                                        ; implicit-def: $vgpr44
.LBB41_10:
	s_delay_alu instid0(VALU_DEP_1) | instskip(SKIP_3) | instid1(SALU_CYCLE_1)
	v_dual_mov_b32 v0, v40 :: v_dual_mov_b32 v1, v45
	s_getpc_b64 s[0:1]
	s_add_u32 s0, s0, _ZN12_GLOBAL__N_112calc_igammacIfEET_S1_S1_@rel32@lo+4
	s_addc_u32 s1, s1, _ZN12_GLOBAL__N_112calc_igammacIfEET_S1_S1_@rel32@hi+12
	s_swappc_b64 s[30:31], s[0:1]
	v_mov_b32_e32 v44, v0
.LBB41_11:
	v_cvt_f16_f32_e32 v0, v46
	v_cvt_f32_f16_e32 v40, v57
	s_and_b32 vcc_lo, exec_lo, s39
	s_delay_alu instid0(VALU_DEP_2)
	v_cvt_f32_f16_e32 v46, v0
	s_cbranch_vccnz .LBB41_13
; %bb.12:
	s_delay_alu instid0(VALU_DEP_1) | instskip(SKIP_3) | instid1(SALU_CYCLE_1)
	v_dual_mov_b32 v0, v40 :: v_dual_mov_b32 v1, v46
	s_getpc_b64 s[0:1]
	s_add_u32 s0, s0, _ZN12_GLOBAL__N_111calc_igammaIfEET_S1_S1_@rel32@lo+4
	s_addc_u32 s1, s1, _ZN12_GLOBAL__N_111calc_igammaIfEET_S1_S1_@rel32@hi+12
	s_swappc_b64 s[30:31], s[0:1]
	v_mov_b32_e32 v45, v0
	s_cbranch_execz .LBB41_14
	s_branch .LBB41_15
.LBB41_13:
                                        ; implicit-def: $vgpr45
.LBB41_14:
	s_delay_alu instid0(VALU_DEP_1) | instskip(SKIP_3) | instid1(SALU_CYCLE_1)
	v_dual_mov_b32 v0, v40 :: v_dual_mov_b32 v1, v46
	s_getpc_b64 s[0:1]
	s_add_u32 s0, s0, _ZN12_GLOBAL__N_112calc_igammacIfEET_S1_S1_@rel32@lo+4
	s_addc_u32 s1, s1, _ZN12_GLOBAL__N_112calc_igammacIfEET_S1_S1_@rel32@hi+12
	s_swappc_b64 s[30:31], s[0:1]
	v_mov_b32_e32 v45, v0
.LBB41_15:
	v_lshrrev_b32_e32 v0, 16, v57
	v_cvt_f16_f32_e32 v1, v47
	s_and_b32 vcc_lo, exec_lo, s39
	s_delay_alu instid0(VALU_DEP_2) | instskip(NEXT) | instid1(VALU_DEP_2)
	v_cvt_f32_f16_e32 v40, v0
	v_cvt_f32_f16_e32 v47, v1
	s_cbranch_vccnz .LBB41_17
; %bb.16:
	s_delay_alu instid0(VALU_DEP_1) | instskip(SKIP_3) | instid1(SALU_CYCLE_1)
	v_dual_mov_b32 v0, v40 :: v_dual_mov_b32 v1, v47
	s_getpc_b64 s[0:1]
	s_add_u32 s0, s0, _ZN12_GLOBAL__N_111calc_igammaIfEET_S1_S1_@rel32@lo+4
	s_addc_u32 s1, s1, _ZN12_GLOBAL__N_111calc_igammaIfEET_S1_S1_@rel32@hi+12
	s_swappc_b64 s[30:31], s[0:1]
	v_mov_b32_e32 v46, v0
	s_cbranch_execz .LBB41_18
	s_branch .LBB41_19
.LBB41_17:
                                        ; implicit-def: $vgpr46
.LBB41_18:
	s_delay_alu instid0(VALU_DEP_1) | instskip(SKIP_3) | instid1(SALU_CYCLE_1)
	v_dual_mov_b32 v0, v40 :: v_dual_mov_b32 v1, v47
	s_getpc_b64 s[0:1]
	s_add_u32 s0, s0, _ZN12_GLOBAL__N_112calc_igammacIfEET_S1_S1_@rel32@lo+4
	s_addc_u32 s1, s1, _ZN12_GLOBAL__N_112calc_igammacIfEET_S1_S1_@rel32@hi+12
	s_swappc_b64 s[30:31], s[0:1]
	v_mov_b32_e32 v46, v0
.LBB41_19:
	v_cvt_f16_f32_e32 v0, v98
	v_cvt_f32_f16_e32 v40, v58
	s_and_b32 vcc_lo, exec_lo, s39
	s_delay_alu instid0(VALU_DEP_2)
	v_cvt_f32_f16_e32 v56, v0
	s_cbranch_vccnz .LBB41_21
; %bb.20:
	s_delay_alu instid0(VALU_DEP_2) | instskip(NEXT) | instid1(VALU_DEP_2)
	v_mov_b32_e32 v0, v40
	v_mov_b32_e32 v1, v56
	s_getpc_b64 s[0:1]
	s_add_u32 s0, s0, _ZN12_GLOBAL__N_111calc_igammaIfEET_S1_S1_@rel32@lo+4
	s_addc_u32 s1, s1, _ZN12_GLOBAL__N_111calc_igammaIfEET_S1_S1_@rel32@hi+12
	s_delay_alu instid0(SALU_CYCLE_1)
	s_swappc_b64 s[30:31], s[0:1]
	v_mov_b32_e32 v47, v0
	s_cbranch_execz .LBB41_22
	s_branch .LBB41_23
.LBB41_21:
                                        ; implicit-def: $vgpr47
.LBB41_22:
	s_delay_alu instid0(VALU_DEP_2) | instskip(NEXT) | instid1(VALU_DEP_2)
	v_mov_b32_e32 v0, v40
	v_mov_b32_e32 v1, v56
	s_getpc_b64 s[0:1]
	s_add_u32 s0, s0, _ZN12_GLOBAL__N_112calc_igammacIfEET_S1_S1_@rel32@lo+4
	s_addc_u32 s1, s1, _ZN12_GLOBAL__N_112calc_igammacIfEET_S1_S1_@rel32@hi+12
	s_delay_alu instid0(SALU_CYCLE_1)
	s_swappc_b64 s[30:31], s[0:1]
	v_mov_b32_e32 v47, v0
.LBB41_23:
	v_lshrrev_b32_e32 v0, 16, v58
	v_cvt_f16_f32_e32 v1, v99
	s_and_b32 vcc_lo, exec_lo, s39
	s_delay_alu instid0(VALU_DEP_2) | instskip(NEXT) | instid1(VALU_DEP_2)
	v_cvt_f32_f16_e32 v40, v0
	v_cvt_f32_f16_e32 v57, v1
	s_cbranch_vccnz .LBB41_25
; %bb.24:
	s_delay_alu instid0(VALU_DEP_1) | instskip(SKIP_3) | instid1(SALU_CYCLE_1)
	v_dual_mov_b32 v0, v40 :: v_dual_mov_b32 v1, v57
	s_getpc_b64 s[0:1]
	s_add_u32 s0, s0, _ZN12_GLOBAL__N_111calc_igammaIfEET_S1_S1_@rel32@lo+4
	s_addc_u32 s1, s1, _ZN12_GLOBAL__N_111calc_igammaIfEET_S1_S1_@rel32@hi+12
	s_swappc_b64 s[30:31], s[0:1]
	v_mov_b32_e32 v56, v0
	s_cbranch_execz .LBB41_26
	s_branch .LBB41_27
.LBB41_25:
                                        ; implicit-def: $vgpr56
.LBB41_26:
	s_delay_alu instid0(VALU_DEP_1) | instskip(SKIP_3) | instid1(SALU_CYCLE_1)
	v_dual_mov_b32 v0, v40 :: v_dual_mov_b32 v1, v57
	s_getpc_b64 s[0:1]
	s_add_u32 s0, s0, _ZN12_GLOBAL__N_112calc_igammacIfEET_S1_S1_@rel32@lo+4
	s_addc_u32 s1, s1, _ZN12_GLOBAL__N_112calc_igammacIfEET_S1_S1_@rel32@hi+12
	s_swappc_b64 s[30:31], s[0:1]
	v_mov_b32_e32 v56, v0
.LBB41_27:
	v_cvt_f16_f32_e32 v0, v100
	v_cvt_f32_f16_e32 v40, v59
	s_and_b32 vcc_lo, exec_lo, s39
	s_delay_alu instid0(VALU_DEP_2)
	v_cvt_f32_f16_e32 v58, v0
	s_cbranch_vccnz .LBB41_29
; %bb.28:
	s_delay_alu instid0(VALU_DEP_1) | instskip(SKIP_3) | instid1(SALU_CYCLE_1)
	v_dual_mov_b32 v0, v40 :: v_dual_mov_b32 v1, v58
	s_getpc_b64 s[0:1]
	s_add_u32 s0, s0, _ZN12_GLOBAL__N_111calc_igammaIfEET_S1_S1_@rel32@lo+4
	s_addc_u32 s1, s1, _ZN12_GLOBAL__N_111calc_igammaIfEET_S1_S1_@rel32@hi+12
	s_swappc_b64 s[30:31], s[0:1]
	v_mov_b32_e32 v57, v0
	s_cbranch_execz .LBB41_30
	s_branch .LBB41_31
.LBB41_29:
                                        ; implicit-def: $vgpr57
.LBB41_30:
	s_delay_alu instid0(VALU_DEP_1) | instskip(SKIP_3) | instid1(SALU_CYCLE_1)
	v_dual_mov_b32 v0, v40 :: v_dual_mov_b32 v1, v58
	s_getpc_b64 s[0:1]
	s_add_u32 s0, s0, _ZN12_GLOBAL__N_112calc_igammacIfEET_S1_S1_@rel32@lo+4
	s_addc_u32 s1, s1, _ZN12_GLOBAL__N_112calc_igammacIfEET_S1_S1_@rel32@hi+12
	s_swappc_b64 s[30:31], s[0:1]
	v_mov_b32_e32 v57, v0
.LBB41_31:
	v_lshrrev_b32_e32 v0, 16, v59
	v_cvt_f16_f32_e32 v1, v101
	s_and_b32 vcc_lo, exec_lo, s39
	s_delay_alu instid0(VALU_DEP_2) | instskip(NEXT) | instid1(VALU_DEP_2)
	v_cvt_f32_f16_e32 v40, v0
	v_cvt_f32_f16_e32 v59, v1
	s_cbranch_vccnz .LBB41_33
; %bb.32:
	s_delay_alu instid0(VALU_DEP_1) | instskip(SKIP_3) | instid1(SALU_CYCLE_1)
	v_dual_mov_b32 v0, v40 :: v_dual_mov_b32 v1, v59
	s_getpc_b64 s[0:1]
	s_add_u32 s0, s0, _ZN12_GLOBAL__N_111calc_igammaIfEET_S1_S1_@rel32@lo+4
	s_addc_u32 s1, s1, _ZN12_GLOBAL__N_111calc_igammaIfEET_S1_S1_@rel32@hi+12
	s_swappc_b64 s[30:31], s[0:1]
	v_mov_b32_e32 v58, v0
	s_cbranch_execz .LBB41_34
	s_branch .LBB41_35
.LBB41_33:
                                        ; implicit-def: $vgpr58
.LBB41_34:
	s_delay_alu instid0(VALU_DEP_1) | instskip(SKIP_3) | instid1(SALU_CYCLE_1)
	v_dual_mov_b32 v0, v40 :: v_dual_mov_b32 v1, v59
	s_getpc_b64 s[0:1]
	s_add_u32 s0, s0, _ZN12_GLOBAL__N_112calc_igammacIfEET_S1_S1_@rel32@lo+4
	s_addc_u32 s1, s1, _ZN12_GLOBAL__N_112calc_igammacIfEET_S1_S1_@rel32@hi+12
	s_swappc_b64 s[30:31], s[0:1]
	v_mov_b32_e32 v58, v0
.LBB41_35:
	s_waitcnt vmcnt(5)
	v_cvt_f16_f32_e32 v0, v60
	v_cvt_f32_f16_e32 v40, v66
	s_and_b32 vcc_lo, exec_lo, s39
	s_delay_alu instid0(VALU_DEP_2)
	v_cvt_f32_f16_e32 v60, v0
	s_cbranch_vccnz .LBB41_37
; %bb.36:
	s_delay_alu instid0(VALU_DEP_2) | instskip(NEXT) | instid1(VALU_DEP_2)
	v_mov_b32_e32 v0, v40
	v_mov_b32_e32 v1, v60
	s_getpc_b64 s[0:1]
	s_add_u32 s0, s0, _ZN12_GLOBAL__N_111calc_igammaIfEET_S1_S1_@rel32@lo+4
	s_addc_u32 s1, s1, _ZN12_GLOBAL__N_111calc_igammaIfEET_S1_S1_@rel32@hi+12
	s_delay_alu instid0(SALU_CYCLE_1)
	s_swappc_b64 s[30:31], s[0:1]
	v_mov_b32_e32 v59, v0
	s_cbranch_execz .LBB41_38
	s_branch .LBB41_39
.LBB41_37:
                                        ; implicit-def: $vgpr59
.LBB41_38:
	s_delay_alu instid0(VALU_DEP_2) | instskip(NEXT) | instid1(VALU_DEP_2)
	v_mov_b32_e32 v0, v40
	v_mov_b32_e32 v1, v60
	s_getpc_b64 s[0:1]
	s_add_u32 s0, s0, _ZN12_GLOBAL__N_112calc_igammacIfEET_S1_S1_@rel32@lo+4
	s_addc_u32 s1, s1, _ZN12_GLOBAL__N_112calc_igammacIfEET_S1_S1_@rel32@hi+12
	s_delay_alu instid0(SALU_CYCLE_1)
	s_swappc_b64 s[30:31], s[0:1]
	v_mov_b32_e32 v59, v0
.LBB41_39:
	v_lshrrev_b32_e32 v0, 16, v66
	v_cvt_f16_f32_e32 v1, v61
	s_and_b32 vcc_lo, exec_lo, s39
	s_delay_alu instid0(VALU_DEP_2) | instskip(NEXT) | instid1(VALU_DEP_2)
	v_cvt_f32_f16_e32 v40, v0
	v_cvt_f32_f16_e32 v61, v1
	s_cbranch_vccnz .LBB41_41
; %bb.40:
	s_delay_alu instid0(VALU_DEP_1) | instskip(SKIP_3) | instid1(SALU_CYCLE_1)
	v_dual_mov_b32 v0, v40 :: v_dual_mov_b32 v1, v61
	s_getpc_b64 s[0:1]
	s_add_u32 s0, s0, _ZN12_GLOBAL__N_111calc_igammaIfEET_S1_S1_@rel32@lo+4
	s_addc_u32 s1, s1, _ZN12_GLOBAL__N_111calc_igammaIfEET_S1_S1_@rel32@hi+12
	s_swappc_b64 s[30:31], s[0:1]
	v_mov_b32_e32 v60, v0
	s_cbranch_execz .LBB41_42
	s_branch .LBB41_43
.LBB41_41:
                                        ; implicit-def: $vgpr60
.LBB41_42:
	s_delay_alu instid0(VALU_DEP_1) | instskip(SKIP_3) | instid1(SALU_CYCLE_1)
	v_dual_mov_b32 v0, v40 :: v_dual_mov_b32 v1, v61
	s_getpc_b64 s[0:1]
	s_add_u32 s0, s0, _ZN12_GLOBAL__N_112calc_igammacIfEET_S1_S1_@rel32@lo+4
	s_addc_u32 s1, s1, _ZN12_GLOBAL__N_112calc_igammacIfEET_S1_S1_@rel32@hi+12
	s_swappc_b64 s[30:31], s[0:1]
	v_mov_b32_e32 v60, v0
.LBB41_43:
	v_cvt_f16_f32_e32 v0, v62
	v_cvt_f32_f16_e32 v40, v67
	s_and_b32 vcc_lo, exec_lo, s39
	s_delay_alu instid0(VALU_DEP_2)
	v_cvt_f32_f16_e32 v62, v0
	s_cbranch_vccnz .LBB41_45
; %bb.44:
	s_delay_alu instid0(VALU_DEP_1) | instskip(SKIP_3) | instid1(SALU_CYCLE_1)
	v_dual_mov_b32 v0, v40 :: v_dual_mov_b32 v1, v62
	s_getpc_b64 s[0:1]
	s_add_u32 s0, s0, _ZN12_GLOBAL__N_111calc_igammaIfEET_S1_S1_@rel32@lo+4
	s_addc_u32 s1, s1, _ZN12_GLOBAL__N_111calc_igammaIfEET_S1_S1_@rel32@hi+12
	s_swappc_b64 s[30:31], s[0:1]
	v_mov_b32_e32 v61, v0
	s_cbranch_execz .LBB41_46
	s_branch .LBB41_47
.LBB41_45:
                                        ; implicit-def: $vgpr61
.LBB41_46:
	s_delay_alu instid0(VALU_DEP_1) | instskip(SKIP_3) | instid1(SALU_CYCLE_1)
	v_dual_mov_b32 v0, v40 :: v_dual_mov_b32 v1, v62
	s_getpc_b64 s[0:1]
	s_add_u32 s0, s0, _ZN12_GLOBAL__N_112calc_igammacIfEET_S1_S1_@rel32@lo+4
	s_addc_u32 s1, s1, _ZN12_GLOBAL__N_112calc_igammacIfEET_S1_S1_@rel32@hi+12
	s_swappc_b64 s[30:31], s[0:1]
	v_mov_b32_e32 v61, v0
.LBB41_47:
	v_lshrrev_b32_e32 v0, 16, v67
	v_cvt_f16_f32_e32 v1, v63
	s_and_b32 vcc_lo, exec_lo, s39
	s_delay_alu instid0(VALU_DEP_2) | instskip(NEXT) | instid1(VALU_DEP_2)
	v_cvt_f32_f16_e32 v40, v0
	v_cvt_f32_f16_e32 v63, v1
	s_cbranch_vccnz .LBB41_49
; %bb.48:
	s_delay_alu instid0(VALU_DEP_1) | instskip(SKIP_3) | instid1(SALU_CYCLE_1)
	v_dual_mov_b32 v0, v40 :: v_dual_mov_b32 v1, v63
	s_getpc_b64 s[0:1]
	s_add_u32 s0, s0, _ZN12_GLOBAL__N_111calc_igammaIfEET_S1_S1_@rel32@lo+4
	s_addc_u32 s1, s1, _ZN12_GLOBAL__N_111calc_igammaIfEET_S1_S1_@rel32@hi+12
	s_swappc_b64 s[30:31], s[0:1]
	v_mov_b32_e32 v62, v0
	s_cbranch_execz .LBB41_50
	s_branch .LBB41_51
.LBB41_49:
                                        ; implicit-def: $vgpr62
.LBB41_50:
	s_delay_alu instid0(VALU_DEP_1) | instskip(SKIP_3) | instid1(SALU_CYCLE_1)
	v_dual_mov_b32 v0, v40 :: v_dual_mov_b32 v1, v63
	s_getpc_b64 s[0:1]
	s_add_u32 s0, s0, _ZN12_GLOBAL__N_112calc_igammacIfEET_S1_S1_@rel32@lo+4
	s_addc_u32 s1, s1, _ZN12_GLOBAL__N_112calc_igammacIfEET_S1_S1_@rel32@hi+12
	s_swappc_b64 s[30:31], s[0:1]
	v_mov_b32_e32 v62, v0
.LBB41_51:
	s_waitcnt vmcnt(4)
	v_cvt_f16_f32_e32 v0, v94
	v_cvt_f32_f16_e32 v40, v68
	s_and_b32 vcc_lo, exec_lo, s39
	s_delay_alu instid0(VALU_DEP_2)
	v_cvt_f32_f16_e32 v66, v0
	s_cbranch_vccnz .LBB41_53
; %bb.52:
	s_delay_alu instid0(VALU_DEP_1) | instskip(SKIP_3) | instid1(SALU_CYCLE_1)
	v_dual_mov_b32 v0, v40 :: v_dual_mov_b32 v1, v66
	s_getpc_b64 s[0:1]
	s_add_u32 s0, s0, _ZN12_GLOBAL__N_111calc_igammaIfEET_S1_S1_@rel32@lo+4
	s_addc_u32 s1, s1, _ZN12_GLOBAL__N_111calc_igammaIfEET_S1_S1_@rel32@hi+12
	s_swappc_b64 s[30:31], s[0:1]
	v_mov_b32_e32 v63, v0
	s_cbranch_execz .LBB41_54
	s_branch .LBB41_55
.LBB41_53:
                                        ; implicit-def: $vgpr63
.LBB41_54:
	s_delay_alu instid0(VALU_DEP_1) | instskip(SKIP_3) | instid1(SALU_CYCLE_1)
	v_dual_mov_b32 v0, v40 :: v_dual_mov_b32 v1, v66
	s_getpc_b64 s[0:1]
	s_add_u32 s0, s0, _ZN12_GLOBAL__N_112calc_igammacIfEET_S1_S1_@rel32@lo+4
	s_addc_u32 s1, s1, _ZN12_GLOBAL__N_112calc_igammacIfEET_S1_S1_@rel32@hi+12
	s_swappc_b64 s[30:31], s[0:1]
	v_mov_b32_e32 v63, v0
.LBB41_55:
	v_lshrrev_b32_e32 v0, 16, v68
	v_cvt_f16_f32_e32 v1, v95
	s_and_b32 vcc_lo, exec_lo, s39
	s_delay_alu instid0(VALU_DEP_2) | instskip(NEXT) | instid1(VALU_DEP_2)
	v_cvt_f32_f16_e32 v40, v0
	v_cvt_f32_f16_e32 v67, v1
	s_cbranch_vccnz .LBB41_57
; %bb.56:
	s_delay_alu instid0(VALU_DEP_1) | instskip(SKIP_3) | instid1(SALU_CYCLE_1)
	v_dual_mov_b32 v0, v40 :: v_dual_mov_b32 v1, v67
	s_getpc_b64 s[0:1]
	s_add_u32 s0, s0, _ZN12_GLOBAL__N_111calc_igammaIfEET_S1_S1_@rel32@lo+4
	s_addc_u32 s1, s1, _ZN12_GLOBAL__N_111calc_igammaIfEET_S1_S1_@rel32@hi+12
	s_swappc_b64 s[30:31], s[0:1]
	v_mov_b32_e32 v66, v0
	s_cbranch_execz .LBB41_58
	s_branch .LBB41_59
.LBB41_57:
                                        ; implicit-def: $vgpr66
.LBB41_58:
	s_delay_alu instid0(VALU_DEP_1) | instskip(SKIP_3) | instid1(SALU_CYCLE_1)
	v_dual_mov_b32 v0, v40 :: v_dual_mov_b32 v1, v67
	s_getpc_b64 s[0:1]
	s_add_u32 s0, s0, _ZN12_GLOBAL__N_112calc_igammacIfEET_S1_S1_@rel32@lo+4
	s_addc_u32 s1, s1, _ZN12_GLOBAL__N_112calc_igammacIfEET_S1_S1_@rel32@hi+12
	s_swappc_b64 s[30:31], s[0:1]
	v_mov_b32_e32 v66, v0
.LBB41_59:
	v_cvt_f16_f32_e32 v0, v96
	v_cvt_f32_f16_e32 v40, v69
	s_and_b32 vcc_lo, exec_lo, s39
	s_delay_alu instid0(VALU_DEP_2)
	v_cvt_f32_f16_e32 v68, v0
	s_cbranch_vccnz .LBB41_61
; %bb.60:
	s_delay_alu instid0(VALU_DEP_2) | instskip(NEXT) | instid1(VALU_DEP_2)
	v_mov_b32_e32 v0, v40
	v_mov_b32_e32 v1, v68
	s_getpc_b64 s[0:1]
	s_add_u32 s0, s0, _ZN12_GLOBAL__N_111calc_igammaIfEET_S1_S1_@rel32@lo+4
	s_addc_u32 s1, s1, _ZN12_GLOBAL__N_111calc_igammaIfEET_S1_S1_@rel32@hi+12
	s_delay_alu instid0(SALU_CYCLE_1)
	s_swappc_b64 s[30:31], s[0:1]
	v_mov_b32_e32 v67, v0
	s_cbranch_execz .LBB41_62
	s_branch .LBB41_63
.LBB41_61:
                                        ; implicit-def: $vgpr67
.LBB41_62:
	s_delay_alu instid0(VALU_DEP_2) | instskip(NEXT) | instid1(VALU_DEP_2)
	v_mov_b32_e32 v0, v40
	v_mov_b32_e32 v1, v68
	s_getpc_b64 s[0:1]
	s_add_u32 s0, s0, _ZN12_GLOBAL__N_112calc_igammacIfEET_S1_S1_@rel32@lo+4
	s_addc_u32 s1, s1, _ZN12_GLOBAL__N_112calc_igammacIfEET_S1_S1_@rel32@hi+12
	s_delay_alu instid0(SALU_CYCLE_1)
	s_swappc_b64 s[30:31], s[0:1]
	v_mov_b32_e32 v67, v0
.LBB41_63:
	v_lshrrev_b32_e32 v0, 16, v69
	v_cvt_f16_f32_e32 v1, v97
	s_and_b32 vcc_lo, exec_lo, s39
	s_delay_alu instid0(VALU_DEP_2) | instskip(NEXT) | instid1(VALU_DEP_2)
	v_cvt_f32_f16_e32 v40, v0
	v_cvt_f32_f16_e32 v69, v1
	s_cbranch_vccnz .LBB41_65
; %bb.64:
	s_delay_alu instid0(VALU_DEP_1) | instskip(SKIP_3) | instid1(SALU_CYCLE_1)
	v_dual_mov_b32 v0, v40 :: v_dual_mov_b32 v1, v69
	s_getpc_b64 s[0:1]
	s_add_u32 s0, s0, _ZN12_GLOBAL__N_111calc_igammaIfEET_S1_S1_@rel32@lo+4
	s_addc_u32 s1, s1, _ZN12_GLOBAL__N_111calc_igammaIfEET_S1_S1_@rel32@hi+12
	s_swappc_b64 s[30:31], s[0:1]
	v_mov_b32_e32 v68, v0
	s_cbranch_execz .LBB41_66
	s_branch .LBB41_67
.LBB41_65:
                                        ; implicit-def: $vgpr68
.LBB41_66:
	s_delay_alu instid0(VALU_DEP_1) | instskip(SKIP_3) | instid1(SALU_CYCLE_1)
	v_dual_mov_b32 v0, v40 :: v_dual_mov_b32 v1, v69
	s_getpc_b64 s[0:1]
	s_add_u32 s0, s0, _ZN12_GLOBAL__N_112calc_igammacIfEET_S1_S1_@rel32@lo+4
	s_addc_u32 s1, s1, _ZN12_GLOBAL__N_112calc_igammacIfEET_S1_S1_@rel32@hi+12
	s_swappc_b64 s[30:31], s[0:1]
	v_mov_b32_e32 v68, v0
.LBB41_67:
	s_waitcnt vmcnt(2)
	v_cvt_f16_f32_e32 v0, v70
	v_cvt_f32_f16_e32 v40, v74
	s_and_b32 vcc_lo, exec_lo, s39
	s_delay_alu instid0(VALU_DEP_2)
	v_cvt_f32_f16_e32 v70, v0
	s_cbranch_vccnz .LBB41_69
; %bb.68:
	s_delay_alu instid0(VALU_DEP_1) | instskip(SKIP_3) | instid1(SALU_CYCLE_1)
	v_dual_mov_b32 v0, v40 :: v_dual_mov_b32 v1, v70
	s_getpc_b64 s[0:1]
	s_add_u32 s0, s0, _ZN12_GLOBAL__N_111calc_igammaIfEET_S1_S1_@rel32@lo+4
	s_addc_u32 s1, s1, _ZN12_GLOBAL__N_111calc_igammaIfEET_S1_S1_@rel32@hi+12
	s_swappc_b64 s[30:31], s[0:1]
	v_mov_b32_e32 v69, v0
	s_cbranch_execz .LBB41_70
	s_branch .LBB41_71
.LBB41_69:
                                        ; implicit-def: $vgpr69
.LBB41_70:
	s_delay_alu instid0(VALU_DEP_1) | instskip(SKIP_3) | instid1(SALU_CYCLE_1)
	v_dual_mov_b32 v0, v40 :: v_dual_mov_b32 v1, v70
	s_getpc_b64 s[0:1]
	s_add_u32 s0, s0, _ZN12_GLOBAL__N_112calc_igammacIfEET_S1_S1_@rel32@lo+4
	s_addc_u32 s1, s1, _ZN12_GLOBAL__N_112calc_igammacIfEET_S1_S1_@rel32@hi+12
	s_swappc_b64 s[30:31], s[0:1]
	v_mov_b32_e32 v69, v0
.LBB41_71:
	v_lshrrev_b32_e32 v0, 16, v74
	v_cvt_f16_f32_e32 v1, v71
	s_and_b32 vcc_lo, exec_lo, s39
	s_delay_alu instid0(VALU_DEP_2) | instskip(NEXT) | instid1(VALU_DEP_2)
	v_cvt_f32_f16_e32 v40, v0
	v_cvt_f32_f16_e32 v71, v1
	s_cbranch_vccnz .LBB41_73
; %bb.72:
	s_delay_alu instid0(VALU_DEP_1) | instskip(SKIP_3) | instid1(SALU_CYCLE_1)
	v_dual_mov_b32 v0, v40 :: v_dual_mov_b32 v1, v71
	s_getpc_b64 s[0:1]
	s_add_u32 s0, s0, _ZN12_GLOBAL__N_111calc_igammaIfEET_S1_S1_@rel32@lo+4
	s_addc_u32 s1, s1, _ZN12_GLOBAL__N_111calc_igammaIfEET_S1_S1_@rel32@hi+12
	s_swappc_b64 s[30:31], s[0:1]
	v_mov_b32_e32 v70, v0
	s_cbranch_execz .LBB41_74
	s_branch .LBB41_75
.LBB41_73:
                                        ; implicit-def: $vgpr70
.LBB41_74:
	s_delay_alu instid0(VALU_DEP_1) | instskip(SKIP_3) | instid1(SALU_CYCLE_1)
	v_dual_mov_b32 v0, v40 :: v_dual_mov_b32 v1, v71
	s_getpc_b64 s[0:1]
	s_add_u32 s0, s0, _ZN12_GLOBAL__N_112calc_igammacIfEET_S1_S1_@rel32@lo+4
	s_addc_u32 s1, s1, _ZN12_GLOBAL__N_112calc_igammacIfEET_S1_S1_@rel32@hi+12
	s_swappc_b64 s[30:31], s[0:1]
	v_mov_b32_e32 v70, v0
.LBB41_75:
	v_cvt_f16_f32_e32 v0, v72
	v_cvt_f32_f16_e32 v40, v75
	s_and_b32 vcc_lo, exec_lo, s39
	s_delay_alu instid0(VALU_DEP_2)
	v_cvt_f32_f16_e32 v72, v0
	s_cbranch_vccnz .LBB41_77
; %bb.76:
	s_delay_alu instid0(VALU_DEP_2) | instskip(NEXT) | instid1(VALU_DEP_2)
	v_mov_b32_e32 v0, v40
	v_mov_b32_e32 v1, v72
	s_getpc_b64 s[0:1]
	s_add_u32 s0, s0, _ZN12_GLOBAL__N_111calc_igammaIfEET_S1_S1_@rel32@lo+4
	s_addc_u32 s1, s1, _ZN12_GLOBAL__N_111calc_igammaIfEET_S1_S1_@rel32@hi+12
	s_delay_alu instid0(SALU_CYCLE_1)
	s_swappc_b64 s[30:31], s[0:1]
	v_mov_b32_e32 v71, v0
	s_cbranch_execz .LBB41_78
	s_branch .LBB41_79
.LBB41_77:
                                        ; implicit-def: $vgpr71
.LBB41_78:
	s_delay_alu instid0(VALU_DEP_2) | instskip(NEXT) | instid1(VALU_DEP_2)
	v_mov_b32_e32 v0, v40
	v_mov_b32_e32 v1, v72
	s_getpc_b64 s[0:1]
	s_add_u32 s0, s0, _ZN12_GLOBAL__N_112calc_igammacIfEET_S1_S1_@rel32@lo+4
	s_addc_u32 s1, s1, _ZN12_GLOBAL__N_112calc_igammacIfEET_S1_S1_@rel32@hi+12
	s_delay_alu instid0(SALU_CYCLE_1)
	s_swappc_b64 s[30:31], s[0:1]
	v_mov_b32_e32 v71, v0
.LBB41_79:
	v_lshrrev_b32_e32 v0, 16, v75
	v_cvt_f16_f32_e32 v1, v73
	s_and_b32 vcc_lo, exec_lo, s39
	s_delay_alu instid0(VALU_DEP_2) | instskip(NEXT) | instid1(VALU_DEP_2)
	v_cvt_f32_f16_e32 v40, v0
	v_cvt_f32_f16_e32 v73, v1
	s_cbranch_vccnz .LBB41_81
; %bb.80:
	s_delay_alu instid0(VALU_DEP_1) | instskip(SKIP_3) | instid1(SALU_CYCLE_1)
	v_dual_mov_b32 v0, v40 :: v_dual_mov_b32 v1, v73
	s_getpc_b64 s[0:1]
	s_add_u32 s0, s0, _ZN12_GLOBAL__N_111calc_igammaIfEET_S1_S1_@rel32@lo+4
	s_addc_u32 s1, s1, _ZN12_GLOBAL__N_111calc_igammaIfEET_S1_S1_@rel32@hi+12
	s_swappc_b64 s[30:31], s[0:1]
	v_mov_b32_e32 v72, v0
	s_cbranch_execz .LBB41_82
	s_branch .LBB41_83
.LBB41_81:
                                        ; implicit-def: $vgpr72
.LBB41_82:
	s_delay_alu instid0(VALU_DEP_1) | instskip(SKIP_3) | instid1(SALU_CYCLE_1)
	v_dual_mov_b32 v0, v40 :: v_dual_mov_b32 v1, v73
	s_getpc_b64 s[0:1]
	s_add_u32 s0, s0, _ZN12_GLOBAL__N_112calc_igammacIfEET_S1_S1_@rel32@lo+4
	s_addc_u32 s1, s1, _ZN12_GLOBAL__N_112calc_igammacIfEET_S1_S1_@rel32@hi+12
	s_swappc_b64 s[30:31], s[0:1]
	v_mov_b32_e32 v72, v0
.LBB41_83:
	v_cvt_f16_f32_e32 v0, v90
	v_cvt_f32_f16_e32 v40, v76
	s_and_b32 vcc_lo, exec_lo, s39
	s_delay_alu instid0(VALU_DEP_2)
	v_cvt_f32_f16_e32 v74, v0
	s_cbranch_vccnz .LBB41_85
; %bb.84:
	s_delay_alu instid0(VALU_DEP_1) | instskip(SKIP_3) | instid1(SALU_CYCLE_1)
	v_dual_mov_b32 v0, v40 :: v_dual_mov_b32 v1, v74
	s_getpc_b64 s[0:1]
	s_add_u32 s0, s0, _ZN12_GLOBAL__N_111calc_igammaIfEET_S1_S1_@rel32@lo+4
	s_addc_u32 s1, s1, _ZN12_GLOBAL__N_111calc_igammaIfEET_S1_S1_@rel32@hi+12
	s_swappc_b64 s[30:31], s[0:1]
	v_mov_b32_e32 v73, v0
	s_cbranch_execz .LBB41_86
	s_branch .LBB41_87
.LBB41_85:
                                        ; implicit-def: $vgpr73
.LBB41_86:
	s_delay_alu instid0(VALU_DEP_1) | instskip(SKIP_3) | instid1(SALU_CYCLE_1)
	v_dual_mov_b32 v0, v40 :: v_dual_mov_b32 v1, v74
	s_getpc_b64 s[0:1]
	s_add_u32 s0, s0, _ZN12_GLOBAL__N_112calc_igammacIfEET_S1_S1_@rel32@lo+4
	s_addc_u32 s1, s1, _ZN12_GLOBAL__N_112calc_igammacIfEET_S1_S1_@rel32@hi+12
	s_swappc_b64 s[30:31], s[0:1]
	v_mov_b32_e32 v73, v0
.LBB41_87:
	v_lshrrev_b32_e32 v0, 16, v76
	v_cvt_f16_f32_e32 v1, v91
	s_and_b32 vcc_lo, exec_lo, s39
	s_delay_alu instid0(VALU_DEP_2) | instskip(NEXT) | instid1(VALU_DEP_2)
	v_cvt_f32_f16_e32 v40, v0
	v_cvt_f32_f16_e32 v75, v1
	s_cbranch_vccnz .LBB41_89
; %bb.88:
	s_delay_alu instid0(VALU_DEP_1) | instskip(SKIP_3) | instid1(SALU_CYCLE_1)
	v_dual_mov_b32 v0, v40 :: v_dual_mov_b32 v1, v75
	s_getpc_b64 s[0:1]
	s_add_u32 s0, s0, _ZN12_GLOBAL__N_111calc_igammaIfEET_S1_S1_@rel32@lo+4
	s_addc_u32 s1, s1, _ZN12_GLOBAL__N_111calc_igammaIfEET_S1_S1_@rel32@hi+12
	s_swappc_b64 s[30:31], s[0:1]
	v_mov_b32_e32 v74, v0
	s_cbranch_execz .LBB41_90
	s_branch .LBB41_91
.LBB41_89:
                                        ; implicit-def: $vgpr74
.LBB41_90:
	s_delay_alu instid0(VALU_DEP_1) | instskip(SKIP_3) | instid1(SALU_CYCLE_1)
	v_dual_mov_b32 v0, v40 :: v_dual_mov_b32 v1, v75
	s_getpc_b64 s[0:1]
	s_add_u32 s0, s0, _ZN12_GLOBAL__N_112calc_igammacIfEET_S1_S1_@rel32@lo+4
	s_addc_u32 s1, s1, _ZN12_GLOBAL__N_112calc_igammacIfEET_S1_S1_@rel32@hi+12
	s_swappc_b64 s[30:31], s[0:1]
	v_mov_b32_e32 v74, v0
.LBB41_91:
	v_cvt_f16_f32_e32 v0, v92
	v_cvt_f32_f16_e32 v40, v77
	s_and_b32 vcc_lo, exec_lo, s39
	s_delay_alu instid0(VALU_DEP_2)
	v_cvt_f32_f16_e32 v76, v0
	s_cbranch_vccnz .LBB41_93
; %bb.92:
	s_delay_alu instid0(VALU_DEP_2) | instskip(NEXT) | instid1(VALU_DEP_2)
	v_mov_b32_e32 v0, v40
	v_mov_b32_e32 v1, v76
	s_getpc_b64 s[0:1]
	s_add_u32 s0, s0, _ZN12_GLOBAL__N_111calc_igammaIfEET_S1_S1_@rel32@lo+4
	s_addc_u32 s1, s1, _ZN12_GLOBAL__N_111calc_igammaIfEET_S1_S1_@rel32@hi+12
	s_delay_alu instid0(SALU_CYCLE_1)
	s_swappc_b64 s[30:31], s[0:1]
	v_mov_b32_e32 v75, v0
	s_cbranch_execz .LBB41_94
	s_branch .LBB41_95
.LBB41_93:
                                        ; implicit-def: $vgpr75
.LBB41_94:
	s_delay_alu instid0(VALU_DEP_2) | instskip(NEXT) | instid1(VALU_DEP_2)
	v_mov_b32_e32 v0, v40
	v_mov_b32_e32 v1, v76
	s_getpc_b64 s[0:1]
	s_add_u32 s0, s0, _ZN12_GLOBAL__N_112calc_igammacIfEET_S1_S1_@rel32@lo+4
	s_addc_u32 s1, s1, _ZN12_GLOBAL__N_112calc_igammacIfEET_S1_S1_@rel32@hi+12
	s_delay_alu instid0(SALU_CYCLE_1)
	s_swappc_b64 s[30:31], s[0:1]
	v_mov_b32_e32 v75, v0
.LBB41_95:
	v_lshrrev_b32_e32 v0, 16, v77
	v_cvt_f16_f32_e32 v1, v93
	s_and_b32 vcc_lo, exec_lo, s39
	s_delay_alu instid0(VALU_DEP_2) | instskip(NEXT) | instid1(VALU_DEP_2)
	v_cvt_f32_f16_e32 v40, v0
	v_cvt_f32_f16_e32 v77, v1
	s_cbranch_vccnz .LBB41_97
; %bb.96:
	s_delay_alu instid0(VALU_DEP_1) | instskip(SKIP_3) | instid1(SALU_CYCLE_1)
	v_dual_mov_b32 v0, v40 :: v_dual_mov_b32 v1, v77
	s_getpc_b64 s[0:1]
	s_add_u32 s0, s0, _ZN12_GLOBAL__N_111calc_igammaIfEET_S1_S1_@rel32@lo+4
	s_addc_u32 s1, s1, _ZN12_GLOBAL__N_111calc_igammaIfEET_S1_S1_@rel32@hi+12
	s_swappc_b64 s[30:31], s[0:1]
	v_mov_b32_e32 v76, v0
	s_cbranch_execz .LBB41_98
	s_branch .LBB41_99
.LBB41_97:
                                        ; implicit-def: $vgpr76
.LBB41_98:
	s_delay_alu instid0(VALU_DEP_1) | instskip(SKIP_3) | instid1(SALU_CYCLE_1)
	v_dual_mov_b32 v0, v40 :: v_dual_mov_b32 v1, v77
	s_getpc_b64 s[0:1]
	s_add_u32 s0, s0, _ZN12_GLOBAL__N_112calc_igammacIfEET_S1_S1_@rel32@lo+4
	s_addc_u32 s1, s1, _ZN12_GLOBAL__N_112calc_igammacIfEET_S1_S1_@rel32@hi+12
	s_swappc_b64 s[30:31], s[0:1]
	v_mov_b32_e32 v76, v0
.LBB41_99:
	s_waitcnt vmcnt(1)
	v_cvt_f16_f32_e32 v0, v78
	v_cvt_f32_f16_e32 v40, v82
	s_and_b32 vcc_lo, exec_lo, s39
	s_delay_alu instid0(VALU_DEP_2)
	v_cvt_f32_f16_e32 v78, v0
	s_cbranch_vccnz .LBB41_101
; %bb.100:
	s_delay_alu instid0(VALU_DEP_1) | instskip(SKIP_3) | instid1(SALU_CYCLE_1)
	v_dual_mov_b32 v0, v40 :: v_dual_mov_b32 v1, v78
	s_getpc_b64 s[0:1]
	s_add_u32 s0, s0, _ZN12_GLOBAL__N_111calc_igammaIfEET_S1_S1_@rel32@lo+4
	s_addc_u32 s1, s1, _ZN12_GLOBAL__N_111calc_igammaIfEET_S1_S1_@rel32@hi+12
	s_swappc_b64 s[30:31], s[0:1]
	v_mov_b32_e32 v77, v0
	s_cbranch_execz .LBB41_102
	s_branch .LBB41_103
.LBB41_101:
                                        ; implicit-def: $vgpr77
.LBB41_102:
	s_delay_alu instid0(VALU_DEP_1) | instskip(SKIP_3) | instid1(SALU_CYCLE_1)
	v_dual_mov_b32 v0, v40 :: v_dual_mov_b32 v1, v78
	s_getpc_b64 s[0:1]
	s_add_u32 s0, s0, _ZN12_GLOBAL__N_112calc_igammacIfEET_S1_S1_@rel32@lo+4
	s_addc_u32 s1, s1, _ZN12_GLOBAL__N_112calc_igammacIfEET_S1_S1_@rel32@hi+12
	s_swappc_b64 s[30:31], s[0:1]
	v_mov_b32_e32 v77, v0
.LBB41_103:
	v_lshrrev_b32_e32 v0, 16, v82
	v_cvt_f16_f32_e32 v1, v79
	s_and_b32 vcc_lo, exec_lo, s39
	s_delay_alu instid0(VALU_DEP_2) | instskip(NEXT) | instid1(VALU_DEP_2)
	v_cvt_f32_f16_e32 v40, v0
	v_cvt_f32_f16_e32 v79, v1
	s_cbranch_vccnz .LBB41_105
; %bb.104:
	s_delay_alu instid0(VALU_DEP_1) | instskip(SKIP_3) | instid1(SALU_CYCLE_1)
	v_dual_mov_b32 v0, v40 :: v_dual_mov_b32 v1, v79
	s_getpc_b64 s[0:1]
	s_add_u32 s0, s0, _ZN12_GLOBAL__N_111calc_igammaIfEET_S1_S1_@rel32@lo+4
	s_addc_u32 s1, s1, _ZN12_GLOBAL__N_111calc_igammaIfEET_S1_S1_@rel32@hi+12
	s_swappc_b64 s[30:31], s[0:1]
	v_mov_b32_e32 v78, v0
	s_cbranch_execz .LBB41_106
	s_branch .LBB41_107
.LBB41_105:
                                        ; implicit-def: $vgpr78
.LBB41_106:
	s_delay_alu instid0(VALU_DEP_1) | instskip(SKIP_3) | instid1(SALU_CYCLE_1)
	v_dual_mov_b32 v0, v40 :: v_dual_mov_b32 v1, v79
	s_getpc_b64 s[0:1]
	s_add_u32 s0, s0, _ZN12_GLOBAL__N_112calc_igammacIfEET_S1_S1_@rel32@lo+4
	s_addc_u32 s1, s1, _ZN12_GLOBAL__N_112calc_igammacIfEET_S1_S1_@rel32@hi+12
	s_swappc_b64 s[30:31], s[0:1]
	v_mov_b32_e32 v78, v0
.LBB41_107:
	v_cvt_f16_f32_e32 v0, v80
	v_cvt_f32_f16_e32 v40, v83
	s_and_b32 vcc_lo, exec_lo, s39
	s_delay_alu instid0(VALU_DEP_2)
	v_cvt_f32_f16_e32 v80, v0
	s_cbranch_vccnz .LBB41_109
; %bb.108:
	s_delay_alu instid0(VALU_DEP_2) | instskip(NEXT) | instid1(VALU_DEP_2)
	v_mov_b32_e32 v0, v40
	v_mov_b32_e32 v1, v80
	s_getpc_b64 s[0:1]
	s_add_u32 s0, s0, _ZN12_GLOBAL__N_111calc_igammaIfEET_S1_S1_@rel32@lo+4
	s_addc_u32 s1, s1, _ZN12_GLOBAL__N_111calc_igammaIfEET_S1_S1_@rel32@hi+12
	s_delay_alu instid0(SALU_CYCLE_1)
	s_swappc_b64 s[30:31], s[0:1]
	v_mov_b32_e32 v79, v0
	s_cbranch_execz .LBB41_110
	s_branch .LBB41_111
.LBB41_109:
                                        ; implicit-def: $vgpr79
.LBB41_110:
	s_delay_alu instid0(VALU_DEP_2) | instskip(NEXT) | instid1(VALU_DEP_2)
	v_mov_b32_e32 v0, v40
	v_mov_b32_e32 v1, v80
	s_getpc_b64 s[0:1]
	s_add_u32 s0, s0, _ZN12_GLOBAL__N_112calc_igammacIfEET_S1_S1_@rel32@lo+4
	s_addc_u32 s1, s1, _ZN12_GLOBAL__N_112calc_igammacIfEET_S1_S1_@rel32@hi+12
	s_delay_alu instid0(SALU_CYCLE_1)
	s_swappc_b64 s[30:31], s[0:1]
	v_mov_b32_e32 v79, v0
.LBB41_111:
	v_lshrrev_b32_e32 v0, 16, v83
	v_cvt_f16_f32_e32 v1, v81
	s_and_b32 vcc_lo, exec_lo, s39
	s_delay_alu instid0(VALU_DEP_2) | instskip(NEXT) | instid1(VALU_DEP_2)
	v_cvt_f32_f16_e32 v40, v0
	v_cvt_f32_f16_e32 v81, v1
	s_cbranch_vccnz .LBB41_113
; %bb.112:
	s_delay_alu instid0(VALU_DEP_1) | instskip(SKIP_3) | instid1(SALU_CYCLE_1)
	v_dual_mov_b32 v0, v40 :: v_dual_mov_b32 v1, v81
	s_getpc_b64 s[0:1]
	s_add_u32 s0, s0, _ZN12_GLOBAL__N_111calc_igammaIfEET_S1_S1_@rel32@lo+4
	s_addc_u32 s1, s1, _ZN12_GLOBAL__N_111calc_igammaIfEET_S1_S1_@rel32@hi+12
	s_swappc_b64 s[30:31], s[0:1]
	v_mov_b32_e32 v80, v0
	s_cbranch_execz .LBB41_114
	s_branch .LBB41_115
.LBB41_113:
                                        ; implicit-def: $vgpr80
.LBB41_114:
	s_delay_alu instid0(VALU_DEP_1) | instskip(SKIP_3) | instid1(SALU_CYCLE_1)
	v_dual_mov_b32 v0, v40 :: v_dual_mov_b32 v1, v81
	s_getpc_b64 s[0:1]
	s_add_u32 s0, s0, _ZN12_GLOBAL__N_112calc_igammacIfEET_S1_S1_@rel32@lo+4
	s_addc_u32 s1, s1, _ZN12_GLOBAL__N_112calc_igammacIfEET_S1_S1_@rel32@hi+12
	s_swappc_b64 s[30:31], s[0:1]
	v_mov_b32_e32 v80, v0
.LBB41_115:
	s_waitcnt vmcnt(0)
	v_cvt_f16_f32_e32 v0, v86
	v_cvt_f32_f16_e32 v40, v84
	s_and_b32 vcc_lo, exec_lo, s39
	s_delay_alu instid0(VALU_DEP_2)
	v_cvt_f32_f16_e32 v82, v0
	s_cbranch_vccnz .LBB41_117
; %bb.116:
	s_delay_alu instid0(VALU_DEP_1) | instskip(SKIP_3) | instid1(SALU_CYCLE_1)
	v_dual_mov_b32 v0, v40 :: v_dual_mov_b32 v1, v82
	s_getpc_b64 s[0:1]
	s_add_u32 s0, s0, _ZN12_GLOBAL__N_111calc_igammaIfEET_S1_S1_@rel32@lo+4
	s_addc_u32 s1, s1, _ZN12_GLOBAL__N_111calc_igammaIfEET_S1_S1_@rel32@hi+12
	s_swappc_b64 s[30:31], s[0:1]
	v_mov_b32_e32 v81, v0
	s_cbranch_execz .LBB41_118
	s_branch .LBB41_119
.LBB41_117:
                                        ; implicit-def: $vgpr81
.LBB41_118:
	s_delay_alu instid0(VALU_DEP_1) | instskip(SKIP_3) | instid1(SALU_CYCLE_1)
	v_dual_mov_b32 v0, v40 :: v_dual_mov_b32 v1, v82
	s_getpc_b64 s[0:1]
	s_add_u32 s0, s0, _ZN12_GLOBAL__N_112calc_igammacIfEET_S1_S1_@rel32@lo+4
	s_addc_u32 s1, s1, _ZN12_GLOBAL__N_112calc_igammacIfEET_S1_S1_@rel32@hi+12
	s_swappc_b64 s[30:31], s[0:1]
	v_mov_b32_e32 v81, v0
.LBB41_119:
	v_lshrrev_b32_e32 v0, 16, v84
	v_cvt_f16_f32_e32 v1, v87
	s_and_b32 vcc_lo, exec_lo, s39
	s_delay_alu instid0(VALU_DEP_2) | instskip(NEXT) | instid1(VALU_DEP_2)
	v_cvt_f32_f16_e32 v40, v0
	v_cvt_f32_f16_e32 v83, v1
	s_cbranch_vccnz .LBB41_121
; %bb.120:
	s_delay_alu instid0(VALU_DEP_1) | instskip(SKIP_3) | instid1(SALU_CYCLE_1)
	v_dual_mov_b32 v0, v40 :: v_dual_mov_b32 v1, v83
	s_getpc_b64 s[0:1]
	s_add_u32 s0, s0, _ZN12_GLOBAL__N_111calc_igammaIfEET_S1_S1_@rel32@lo+4
	s_addc_u32 s1, s1, _ZN12_GLOBAL__N_111calc_igammaIfEET_S1_S1_@rel32@hi+12
	s_swappc_b64 s[30:31], s[0:1]
	v_mov_b32_e32 v82, v0
	s_cbranch_execz .LBB41_122
	s_branch .LBB41_123
.LBB41_121:
                                        ; implicit-def: $vgpr82
.LBB41_122:
	s_delay_alu instid0(VALU_DEP_1) | instskip(SKIP_3) | instid1(SALU_CYCLE_1)
	v_dual_mov_b32 v0, v40 :: v_dual_mov_b32 v1, v83
	s_getpc_b64 s[0:1]
	s_add_u32 s0, s0, _ZN12_GLOBAL__N_112calc_igammacIfEET_S1_S1_@rel32@lo+4
	s_addc_u32 s1, s1, _ZN12_GLOBAL__N_112calc_igammacIfEET_S1_S1_@rel32@hi+12
	s_swappc_b64 s[30:31], s[0:1]
	v_mov_b32_e32 v82, v0
.LBB41_123:
	v_cvt_f16_f32_e32 v0, v88
	v_cvt_f32_f16_e32 v40, v85
	s_and_b32 vcc_lo, exec_lo, s39
	s_delay_alu instid0(VALU_DEP_2)
	v_cvt_f32_f16_e32 v84, v0
	s_cbranch_vccnz .LBB41_125
; %bb.124:
	s_delay_alu instid0(VALU_DEP_2) | instskip(NEXT) | instid1(VALU_DEP_2)
	v_mov_b32_e32 v0, v40
	v_mov_b32_e32 v1, v84
	s_getpc_b64 s[0:1]
	s_add_u32 s0, s0, _ZN12_GLOBAL__N_111calc_igammaIfEET_S1_S1_@rel32@lo+4
	s_addc_u32 s1, s1, _ZN12_GLOBAL__N_111calc_igammaIfEET_S1_S1_@rel32@hi+12
	s_delay_alu instid0(SALU_CYCLE_1)
	s_swappc_b64 s[30:31], s[0:1]
	v_mov_b32_e32 v83, v0
	s_cbranch_execz .LBB41_126
	s_branch .LBB41_127
.LBB41_125:
                                        ; implicit-def: $vgpr83
.LBB41_126:
	s_delay_alu instid0(VALU_DEP_2) | instskip(NEXT) | instid1(VALU_DEP_2)
	v_mov_b32_e32 v0, v40
	v_mov_b32_e32 v1, v84
	s_getpc_b64 s[0:1]
	s_add_u32 s0, s0, _ZN12_GLOBAL__N_112calc_igammacIfEET_S1_S1_@rel32@lo+4
	s_addc_u32 s1, s1, _ZN12_GLOBAL__N_112calc_igammacIfEET_S1_S1_@rel32@hi+12
	s_delay_alu instid0(SALU_CYCLE_1)
	s_swappc_b64 s[30:31], s[0:1]
	v_mov_b32_e32 v83, v0
.LBB41_127:
	v_lshrrev_b32_e32 v0, 16, v85
	v_cvt_f16_f32_e32 v1, v89
	s_and_b32 vcc_lo, exec_lo, s39
	s_delay_alu instid0(VALU_DEP_2) | instskip(NEXT) | instid1(VALU_DEP_2)
	v_cvt_f32_f16_e32 v40, v0
	v_cvt_f32_f16_e32 v84, v1
	s_cbranch_vccnz .LBB41_129
; %bb.128:
	s_delay_alu instid0(VALU_DEP_2) | instskip(NEXT) | instid1(VALU_DEP_2)
	v_mov_b32_e32 v0, v40
	v_mov_b32_e32 v1, v84
	s_getpc_b64 s[0:1]
	s_add_u32 s0, s0, _ZN12_GLOBAL__N_111calc_igammaIfEET_S1_S1_@rel32@lo+4
	s_addc_u32 s1, s1, _ZN12_GLOBAL__N_111calc_igammaIfEET_S1_S1_@rel32@hi+12
	s_delay_alu instid0(SALU_CYCLE_1)
	s_swappc_b64 s[30:31], s[0:1]
	s_cbranch_execz .LBB41_130
	s_branch .LBB41_131
.LBB41_129:
                                        ; implicit-def: $vgpr0
.LBB41_130:
	s_delay_alu instid0(VALU_DEP_2) | instskip(NEXT) | instid1(VALU_DEP_2)
	v_mov_b32_e32 v0, v40
	v_mov_b32_e32 v1, v84
	s_getpc_b64 s[0:1]
	s_add_u32 s0, s0, _ZN12_GLOBAL__N_112calc_igammacIfEET_S1_S1_@rel32@lo+4
	s_addc_u32 s1, s1, _ZN12_GLOBAL__N_112calc_igammacIfEET_S1_S1_@rel32@hi+12
	s_delay_alu instid0(SALU_CYCLE_1)
	s_swappc_b64 s[30:31], s[0:1]
.LBB41_131:
	v_cvt_f16_f32_e32 v2, v45
	v_cvt_f16_f32_e32 v6, v46
	;; [unrolled: 1-line block ×8, first 2 shown]
	v_pack_b32_f16 v3, v3, v7
	v_pack_b32_f16 v2, v2, v6
	;; [unrolled: 1-line block ×3, first 2 shown]
	v_cvt_f16_f32_e32 v9, v59
	v_cvt_f16_f32_e32 v6, v61
	;; [unrolled: 1-line block ×8, first 2 shown]
	s_add_u32 s2, s40, s46
	s_addc_u32 s3, s41, s47
	v_add_co_u32 v19, s0, s2, v102
	v_pack_b32_f16 v1, v1, v5
	v_pack_b32_f16 v8, v8, v10
	;; [unrolled: 1-line block ×5, first 2 shown]
	v_cvt_f16_f32_e32 v9, v71
	v_cvt_f16_f32_e32 v10, v73
	;; [unrolled: 1-line block ×6, first 2 shown]
	v_add_co_ci_u32_e64 v20, null, s3, 0, s0
	v_cvt_f16_f32_e32 v15, v69
	v_cvt_f16_f32_e32 v16, v70
	v_add_co_u32 v17, vcc_lo, 0x2000, v19
	v_pack_b32_f16 v12, v11, v12
	v_pack_b32_f16 v11, v10, v13
	;; [unrolled: 1-line block ×3, first 2 shown]
	v_cvt_f16_f32_e32 v13, v77
	v_cvt_f16_f32_e32 v14, v79
	;; [unrolled: 1-line block ×8, first 2 shown]
	v_add_co_ci_u32_e32 v18, vcc_lo, 0, v20, vcc_lo
	v_pack_b32_f16 v9, v15, v16
	v_add_co_u32 v19, vcc_lo, 0x6000, v19
	v_pack_b32_f16 v16, v22, v0
	v_pack_b32_f16 v15, v21, v23
	v_pack_b32_f16 v14, v14, v24
	v_pack_b32_f16 v13, v13, v25
	v_add_co_ci_u32_e32 v20, vcc_lo, 0, v20, vcc_lo
	s_clause 0x3
	global_store_b128 v102, v[1:4], s[2:3]
	global_store_b128 v103, v[9:12], s[2:3]
	global_store_b128 v[17:18], v[5:8], off
	global_store_b128 v[19:20], v[13:16], off
	s_branch .LBB41_2
.LBB41_132:
	s_clause 0x1
	s_load_b32 s6, s[36:37], 0x24
	s_load_b128 s[0:3], s[36:37], 0x28
	v_cndmask_b32_e64 v0, 0, 1, s49
	v_dual_mov_b32 v31, v42 :: v_dual_mov_b32 v2, s41
	v_dual_mov_b32 v1, s40 :: v_dual_mov_b32 v4, s43
	;; [unrolled: 1-line block ×3, first 2 shown]
	v_mov_b32_e32 v5, s44
	v_mov_b32_e32 v7, s48
	s_add_u32 s8, s36, 56
	s_addc_u32 s9, s37, 0
	s_mov_b32 s12, s38
	s_getpc_b64 s[4:5]
	s_add_u32 s4, s4, _ZN2at6native25elementwise_kernel_helperILb1EN12_GLOBAL__N_110CalcIgammaIfEENS0_6memory8policies11unroll_baseILi512ESt5arrayIPcLm3EE23TrivialOffsetCalculatorILi2EjESB_ILi1EjENS5_12LoadWithCastILi2EEENS5_13StoreWithCastILi1EEELi32ELi1EEEEEvT0_T1_@rel32@lo+4
	s_addc_u32 s5, s5, _ZN2at6native25elementwise_kernel_helperILb1EN12_GLOBAL__N_110CalcIgammaIfEENS0_6memory8policies11unroll_baseILi512ESt5arrayIPcLm3EE23TrivialOffsetCalculatorILi2EjESB_ILi1EjENS5_12LoadWithCastILi2EEENS5_13StoreWithCastILi1EEELi32ELi1EEEEEvT0_T1_@rel32@hi+12
	s_waitcnt lgkmcnt(0)
	v_lshrrev_b16 v9, 8, s6
	v_mov_b32_e32 v10, s0
	v_dual_mov_b32 v8, s6 :: v_dual_mov_b32 v11, s1
	v_dual_mov_b32 v12, s2 :: v_dual_mov_b32 v13, s3
	s_swappc_b64 s[30:31], s[4:5]
	s_endpgm
	.section	.rodata,"a",@progbits
	.p2align	6, 0x0
	.amdhsa_kernel _ZN2at6native39vectorized_templated_elementwise_kernelILi8EN12_GLOBAL__N_110CalcIgammaIfEESt5arrayIPcLm3EE23TrivialOffsetCalculatorILi2EjES8_ILi1EjENS0_6memory12LoadWithCastILi2EEENSB_13StoreWithCastILi1EEEN3c104HalfEJSH_fEEEviT0_T1_T2_T3_T4_T5_
		.amdhsa_group_segment_fixed_size 0
		.amdhsa_private_segment_fixed_size 448
		.amdhsa_kernarg_size 312
		.amdhsa_user_sgpr_count 15
		.amdhsa_user_sgpr_dispatch_ptr 0
		.amdhsa_user_sgpr_queue_ptr 0
		.amdhsa_user_sgpr_kernarg_segment_ptr 1
		.amdhsa_user_sgpr_dispatch_id 0
		.amdhsa_user_sgpr_private_segment_size 0
		.amdhsa_wavefront_size32 1
		.amdhsa_uses_dynamic_stack 0
		.amdhsa_enable_private_segment 1
		.amdhsa_system_sgpr_workgroup_id_x 1
		.amdhsa_system_sgpr_workgroup_id_y 0
		.amdhsa_system_sgpr_workgroup_id_z 0
		.amdhsa_system_sgpr_workgroup_info 0
		.amdhsa_system_vgpr_workitem_id 0
		.amdhsa_next_free_vgpr 147
		.amdhsa_next_free_sgpr 77
		.amdhsa_reserve_vcc 1
		.amdhsa_float_round_mode_32 0
		.amdhsa_float_round_mode_16_64 0
		.amdhsa_float_denorm_mode_32 3
		.amdhsa_float_denorm_mode_16_64 3
		.amdhsa_dx10_clamp 1
		.amdhsa_ieee_mode 1
		.amdhsa_fp16_overflow 0
		.amdhsa_workgroup_processor_mode 1
		.amdhsa_memory_ordered 1
		.amdhsa_forward_progress 0
		.amdhsa_shared_vgpr_count 0
		.amdhsa_exception_fp_ieee_invalid_op 0
		.amdhsa_exception_fp_denorm_src 0
		.amdhsa_exception_fp_ieee_div_zero 0
		.amdhsa_exception_fp_ieee_overflow 0
		.amdhsa_exception_fp_ieee_underflow 0
		.amdhsa_exception_fp_ieee_inexact 0
		.amdhsa_exception_int_div_zero 0
	.end_amdhsa_kernel
	.section	.text._ZN2at6native39vectorized_templated_elementwise_kernelILi8EN12_GLOBAL__N_110CalcIgammaIfEESt5arrayIPcLm3EE23TrivialOffsetCalculatorILi2EjES8_ILi1EjENS0_6memory12LoadWithCastILi2EEENSB_13StoreWithCastILi1EEEN3c104HalfEJSH_fEEEviT0_T1_T2_T3_T4_T5_,"axG",@progbits,_ZN2at6native39vectorized_templated_elementwise_kernelILi8EN12_GLOBAL__N_110CalcIgammaIfEESt5arrayIPcLm3EE23TrivialOffsetCalculatorILi2EjES8_ILi1EjENS0_6memory12LoadWithCastILi2EEENSB_13StoreWithCastILi1EEEN3c104HalfEJSH_fEEEviT0_T1_T2_T3_T4_T5_,comdat
.Lfunc_end41:
	.size	_ZN2at6native39vectorized_templated_elementwise_kernelILi8EN12_GLOBAL__N_110CalcIgammaIfEESt5arrayIPcLm3EE23TrivialOffsetCalculatorILi2EjES8_ILi1EjENS0_6memory12LoadWithCastILi2EEENSB_13StoreWithCastILi1EEEN3c104HalfEJSH_fEEEviT0_T1_T2_T3_T4_T5_, .Lfunc_end41-_ZN2at6native39vectorized_templated_elementwise_kernelILi8EN12_GLOBAL__N_110CalcIgammaIfEESt5arrayIPcLm3EE23TrivialOffsetCalculatorILi2EjES8_ILi1EjENS0_6memory12LoadWithCastILi2EEENSB_13StoreWithCastILi1EEEN3c104HalfEJSH_fEEEviT0_T1_T2_T3_T4_T5_
                                        ; -- End function
	.section	.AMDGPU.csdata,"",@progbits
; Kernel info:
; codeLenInByte = 4636
; NumSgprs: 79
; NumVgprs: 147
; ScratchSize: 448
; MemoryBound: 0
; FloatMode: 240
; IeeeMode: 1
; LDSByteSize: 0 bytes/workgroup (compile time only)
; SGPRBlocks: 9
; VGPRBlocks: 18
; NumSGPRsForWavesPerEU: 79
; NumVGPRsForWavesPerEU: 147
; Occupancy: 9
; WaveLimiterHint : 0
; COMPUTE_PGM_RSRC2:SCRATCH_EN: 1
; COMPUTE_PGM_RSRC2:USER_SGPR: 15
; COMPUTE_PGM_RSRC2:TRAP_HANDLER: 0
; COMPUTE_PGM_RSRC2:TGID_X_EN: 1
; COMPUTE_PGM_RSRC2:TGID_Y_EN: 0
; COMPUTE_PGM_RSRC2:TGID_Z_EN: 0
; COMPUTE_PGM_RSRC2:TIDIG_COMP_CNT: 0
	.section	.text._ZN2at6native39vectorized_templated_elementwise_kernelILi4EN12_GLOBAL__N_110CalcIgammaIfEESt5arrayIPcLm3EE23TrivialOffsetCalculatorILi2EjES8_ILi1EjENS0_6memory12LoadWithCastILi2EEENSB_13StoreWithCastILi1EEEN3c104HalfEJSH_fEEEviT0_T1_T2_T3_T4_T5_,"axG",@progbits,_ZN2at6native39vectorized_templated_elementwise_kernelILi4EN12_GLOBAL__N_110CalcIgammaIfEESt5arrayIPcLm3EE23TrivialOffsetCalculatorILi2EjES8_ILi1EjENS0_6memory12LoadWithCastILi2EEENSB_13StoreWithCastILi1EEEN3c104HalfEJSH_fEEEviT0_T1_T2_T3_T4_T5_,comdat
	.globl	_ZN2at6native39vectorized_templated_elementwise_kernelILi4EN12_GLOBAL__N_110CalcIgammaIfEESt5arrayIPcLm3EE23TrivialOffsetCalculatorILi2EjES8_ILi1EjENS0_6memory12LoadWithCastILi2EEENSB_13StoreWithCastILi1EEEN3c104HalfEJSH_fEEEviT0_T1_T2_T3_T4_T5_ ; -- Begin function _ZN2at6native39vectorized_templated_elementwise_kernelILi4EN12_GLOBAL__N_110CalcIgammaIfEESt5arrayIPcLm3EE23TrivialOffsetCalculatorILi2EjES8_ILi1EjENS0_6memory12LoadWithCastILi2EEENSB_13StoreWithCastILi1EEEN3c104HalfEJSH_fEEEviT0_T1_T2_T3_T4_T5_
	.p2align	8
	.type	_ZN2at6native39vectorized_templated_elementwise_kernelILi4EN12_GLOBAL__N_110CalcIgammaIfEESt5arrayIPcLm3EE23TrivialOffsetCalculatorILi2EjES8_ILi1EjENS0_6memory12LoadWithCastILi2EEENSB_13StoreWithCastILi1EEEN3c104HalfEJSH_fEEEviT0_T1_T2_T3_T4_T5_,@function
_ZN2at6native39vectorized_templated_elementwise_kernelILi4EN12_GLOBAL__N_110CalcIgammaIfEESt5arrayIPcLm3EE23TrivialOffsetCalculatorILi2EjES8_ILi1EjENS0_6memory12LoadWithCastILi2EEENSB_13StoreWithCastILi1EEEN3c104HalfEJSH_fEEEviT0_T1_T2_T3_T4_T5_: ; @_ZN2at6native39vectorized_templated_elementwise_kernelILi4EN12_GLOBAL__N_110CalcIgammaIfEESt5arrayIPcLm3EE23TrivialOffsetCalculatorILi2EjES8_ILi1EjENS0_6memory12LoadWithCastILi2EEENSB_13StoreWithCastILi1EEEN3c104HalfEJSH_fEEEviT0_T1_T2_T3_T4_T5_
; %bb.0:
	s_mov_b64 s[36:37], s[0:1]
	s_clause 0x1
	s_load_b64 s[2:3], s[0:1], 0x0
	s_load_b32 s0, s[0:1], 0x38
	s_clause 0x1
	s_load_b64 s[44:45], s[36:37], 0x18
	s_load_b128 s[40:43], s[36:37], 0x8
	v_mov_b32_e32 v42, v0
	s_mov_b32 s38, s15
	s_mov_b32 s32, 0
	s_waitcnt lgkmcnt(0)
	s_bitcmp1_b32 s3, 0
	s_cselect_b32 s49, -1, 0
	s_not_b32 s1, s15
	s_delay_alu instid0(SALU_CYCLE_1) | instskip(NEXT) | instid1(SALU_CYCLE_1)
	s_add_i32 s0, s0, s1
	s_lshl_b32 s0, s0, 14
	s_delay_alu instid0(SALU_CYCLE_1)
	s_sub_i32 s48, s2, s0
	s_mov_b32 s2, -1
	s_cmpk_gt_i32 s48, 0x3fff
	s_cbranch_scc1 .LBB42_3
; %bb.1:
	s_and_b32 vcc_lo, exec_lo, s2
	s_cbranch_vccnz .LBB42_132
.LBB42_2:
	s_endpgm
.LBB42_3:
	s_ashr_i32 s1, s0, 31
	v_lshlrev_b32_e32 v102, 3, v42
	s_lshl_b64 s[46:47], s[0:1], 1
	s_xor_b32 s50, s49, -1
	s_add_u32 s2, s42, s46
	s_addc_u32 s3, s43, s47
	v_add_co_u32 v4, s4, s2, v102
	s_delay_alu instid0(VALU_DEP_1) | instskip(SKIP_1) | instid1(VALU_DEP_3)
	v_add_co_ci_u32_e64 v5, null, s3, 0, s4
	v_or_b32_e32 v6, 0x400, v42
	v_add_co_u32 v0, vcc_lo, 0x1000, v4
	s_delay_alu instid0(VALU_DEP_3)
	v_add_co_ci_u32_e32 v1, vcc_lo, 0, v5, vcc_lo
	v_add_co_u32 v2, vcc_lo, 0x3000, v4
	v_lshlrev_b32_e32 v9, 4, v42
	v_lshlrev_b32_e32 v103, 3, v6
	s_lshl_b64 s[0:1], s[0:1], 2
	v_add_co_ci_u32_e32 v3, vcc_lo, 0, v5, vcc_lo
	v_or_b32_e32 v7, 0x800, v42
	s_add_u32 s0, s44, s0
	s_clause 0x3
	global_load_b64 v[100:101], v102, s[2:3]
	global_load_b64 v[98:99], v[0:1], off
	global_load_b64 v[96:97], v103, s[2:3]
	global_load_b64 v[94:95], v[2:3], off
	v_add_co_u32 v0, vcc_lo, 0x5000, v4
	v_or_b32_e32 v8, 0xc00, v42
	s_addc_u32 s1, s45, s1
	v_add_co_u32 v10, s4, s0, v9
	v_add_co_ci_u32_e32 v1, vcc_lo, 0, v5, vcc_lo
	v_add_co_ci_u32_e64 v11, null, s1, 0, s4
	v_add_co_u32 v2, vcc_lo, 0x7000, v4
	v_lshlrev_b32_e32 v104, 3, v7
	v_add_co_ci_u32_e32 v3, vcc_lo, 0, v5, vcc_lo
	v_lshlrev_b32_e32 v105, 3, v8
	v_add_co_u32 v4, vcc_lo, 0x2000, v10
	v_add_co_ci_u32_e32 v5, vcc_lo, 0, v11, vcc_lo
	s_clause 0x3
	global_load_b64 v[92:93], v104, s[2:3]
	global_load_b64 v[90:91], v[0:1], off
	global_load_b64 v[88:89], v105, s[2:3]
	global_load_b64 v[86:87], v[2:3], off
	s_clause 0x1
	global_load_b128 v[44:47], v9, s[0:1]
	global_load_b128 v[56:59], v[4:5], off
	v_add_co_u32 v0, vcc_lo, 0x6000, v10
	v_add_co_ci_u32_e32 v1, vcc_lo, 0, v11, vcc_lo
	v_lshlrev_b32_e32 v6, 4, v6
	v_add_co_u32 v2, vcc_lo, 0xa000, v10
	v_lshlrev_b32_e32 v7, 4, v7
	v_add_co_ci_u32_e32 v3, vcc_lo, 0, v11, vcc_lo
	v_add_co_u32 v4, vcc_lo, 0xe000, v10
	v_lshlrev_b32_e32 v8, 4, v8
	v_add_co_ci_u32_e32 v5, vcc_lo, 0, v11, vcc_lo
	s_clause 0x5
	global_load_b128 v[60:63], v6, s[0:1]
	global_load_b128 v[66:69], v[0:1], off
	global_load_b128 v[70:73], v7, s[0:1]
	global_load_b128 v[74:77], v[2:3], off
	;; [unrolled: 2-line block ×3, first 2 shown]
	s_and_b32 vcc_lo, exec_lo, s50
	s_mov_b32 s39, 0
	s_waitcnt vmcnt(15)
	v_cvt_f32_f16_e32 v40, v100
	s_waitcnt vmcnt(7)
	v_cvt_f16_f32_e32 v0, v44
	s_delay_alu instid0(VALU_DEP_1)
	v_cvt_f32_f16_e32 v44, v0
	s_cbranch_vccz .LBB42_5
; %bb.4:
	v_mov_b32_e32 v0, v40
	s_delay_alu instid0(VALU_DEP_2) | instskip(SKIP_3) | instid1(SALU_CYCLE_1)
	v_mov_b32_e32 v1, v44
	s_getpc_b64 s[0:1]
	s_add_u32 s0, s0, _ZN12_GLOBAL__N_111calc_igammaIfEET_S1_S1_@rel32@lo+4
	s_addc_u32 s1, s1, _ZN12_GLOBAL__N_111calc_igammaIfEET_S1_S1_@rel32@hi+12
	s_swappc_b64 s[30:31], s[0:1]
	v_mov_b32_e32 v43, v0
	s_and_not1_b32 vcc_lo, exec_lo, s39
	s_cbranch_vccz .LBB42_6
	s_branch .LBB42_7
.LBB42_5:
                                        ; implicit-def: $vgpr43
.LBB42_6:
	v_mov_b32_e32 v0, v40
	s_delay_alu instid0(VALU_DEP_2) | instskip(SKIP_3) | instid1(SALU_CYCLE_1)
	v_mov_b32_e32 v1, v44
	s_getpc_b64 s[0:1]
	s_add_u32 s0, s0, _ZN12_GLOBAL__N_112calc_igammacIfEET_S1_S1_@rel32@lo+4
	s_addc_u32 s1, s1, _ZN12_GLOBAL__N_112calc_igammacIfEET_S1_S1_@rel32@hi+12
	s_swappc_b64 s[30:31], s[0:1]
	v_mov_b32_e32 v43, v0
.LBB42_7:
	v_cndmask_b32_e64 v0, 0, 1, s50
	v_lshrrev_b32_e32 v1, 16, v100
	v_cvt_f16_f32_e32 v2, v45
	s_and_not1_b32 vcc_lo, exec_lo, s50
	s_delay_alu instid0(VALU_DEP_3) | instskip(NEXT) | instid1(VALU_DEP_3)
	v_cmp_ne_u32_e64 s39, 1, v0
	v_cvt_f32_f16_e32 v40, v1
	s_delay_alu instid0(VALU_DEP_3)
	v_cvt_f32_f16_e32 v45, v2
	s_cbranch_vccnz .LBB42_9
; %bb.8:
	s_delay_alu instid0(VALU_DEP_1) | instskip(SKIP_3) | instid1(SALU_CYCLE_1)
	v_dual_mov_b32 v0, v40 :: v_dual_mov_b32 v1, v45
	s_getpc_b64 s[0:1]
	s_add_u32 s0, s0, _ZN12_GLOBAL__N_111calc_igammaIfEET_S1_S1_@rel32@lo+4
	s_addc_u32 s1, s1, _ZN12_GLOBAL__N_111calc_igammaIfEET_S1_S1_@rel32@hi+12
	s_swappc_b64 s[30:31], s[0:1]
	v_mov_b32_e32 v44, v0
	s_cbranch_execz .LBB42_10
	s_branch .LBB42_11
.LBB42_9:
                                        ; implicit-def: $vgpr44
.LBB42_10:
	s_delay_alu instid0(VALU_DEP_1) | instskip(SKIP_3) | instid1(SALU_CYCLE_1)
	v_dual_mov_b32 v0, v40 :: v_dual_mov_b32 v1, v45
	s_getpc_b64 s[0:1]
	s_add_u32 s0, s0, _ZN12_GLOBAL__N_112calc_igammacIfEET_S1_S1_@rel32@lo+4
	s_addc_u32 s1, s1, _ZN12_GLOBAL__N_112calc_igammacIfEET_S1_S1_@rel32@hi+12
	s_swappc_b64 s[30:31], s[0:1]
	v_mov_b32_e32 v44, v0
.LBB42_11:
	v_cvt_f16_f32_e32 v0, v46
	v_cvt_f32_f16_e32 v40, v101
	s_and_b32 vcc_lo, exec_lo, s39
	s_delay_alu instid0(VALU_DEP_2)
	v_cvt_f32_f16_e32 v46, v0
	s_cbranch_vccnz .LBB42_13
; %bb.12:
	s_delay_alu instid0(VALU_DEP_1) | instskip(SKIP_3) | instid1(SALU_CYCLE_1)
	v_dual_mov_b32 v0, v40 :: v_dual_mov_b32 v1, v46
	s_getpc_b64 s[0:1]
	s_add_u32 s0, s0, _ZN12_GLOBAL__N_111calc_igammaIfEET_S1_S1_@rel32@lo+4
	s_addc_u32 s1, s1, _ZN12_GLOBAL__N_111calc_igammaIfEET_S1_S1_@rel32@hi+12
	s_swappc_b64 s[30:31], s[0:1]
	v_mov_b32_e32 v45, v0
	s_cbranch_execz .LBB42_14
	s_branch .LBB42_15
.LBB42_13:
                                        ; implicit-def: $vgpr45
.LBB42_14:
	s_delay_alu instid0(VALU_DEP_1) | instskip(SKIP_3) | instid1(SALU_CYCLE_1)
	v_dual_mov_b32 v0, v40 :: v_dual_mov_b32 v1, v46
	s_getpc_b64 s[0:1]
	s_add_u32 s0, s0, _ZN12_GLOBAL__N_112calc_igammacIfEET_S1_S1_@rel32@lo+4
	s_addc_u32 s1, s1, _ZN12_GLOBAL__N_112calc_igammacIfEET_S1_S1_@rel32@hi+12
	s_swappc_b64 s[30:31], s[0:1]
	v_mov_b32_e32 v45, v0
.LBB42_15:
	v_lshrrev_b32_e32 v0, 16, v101
	v_cvt_f16_f32_e32 v1, v47
	s_and_b32 vcc_lo, exec_lo, s39
	s_delay_alu instid0(VALU_DEP_2) | instskip(NEXT) | instid1(VALU_DEP_2)
	v_cvt_f32_f16_e32 v40, v0
	v_cvt_f32_f16_e32 v47, v1
	s_cbranch_vccnz .LBB42_17
; %bb.16:
	s_delay_alu instid0(VALU_DEP_1) | instskip(SKIP_3) | instid1(SALU_CYCLE_1)
	v_dual_mov_b32 v0, v40 :: v_dual_mov_b32 v1, v47
	s_getpc_b64 s[0:1]
	s_add_u32 s0, s0, _ZN12_GLOBAL__N_111calc_igammaIfEET_S1_S1_@rel32@lo+4
	s_addc_u32 s1, s1, _ZN12_GLOBAL__N_111calc_igammaIfEET_S1_S1_@rel32@hi+12
	s_swappc_b64 s[30:31], s[0:1]
	v_mov_b32_e32 v46, v0
	s_cbranch_execz .LBB42_18
	s_branch .LBB42_19
.LBB42_17:
                                        ; implicit-def: $vgpr46
.LBB42_18:
	s_delay_alu instid0(VALU_DEP_1) | instskip(SKIP_3) | instid1(SALU_CYCLE_1)
	v_dual_mov_b32 v0, v40 :: v_dual_mov_b32 v1, v47
	s_getpc_b64 s[0:1]
	s_add_u32 s0, s0, _ZN12_GLOBAL__N_112calc_igammacIfEET_S1_S1_@rel32@lo+4
	s_addc_u32 s1, s1, _ZN12_GLOBAL__N_112calc_igammacIfEET_S1_S1_@rel32@hi+12
	s_swappc_b64 s[30:31], s[0:1]
	v_mov_b32_e32 v46, v0
.LBB42_19:
	s_waitcnt vmcnt(6)
	v_cvt_f16_f32_e32 v0, v56
	v_cvt_f32_f16_e32 v40, v98
	s_and_b32 vcc_lo, exec_lo, s39
	s_delay_alu instid0(VALU_DEP_2)
	v_cvt_f32_f16_e32 v56, v0
	s_cbranch_vccnz .LBB42_21
; %bb.20:
	s_delay_alu instid0(VALU_DEP_2) | instskip(NEXT) | instid1(VALU_DEP_2)
	v_mov_b32_e32 v0, v40
	v_mov_b32_e32 v1, v56
	s_getpc_b64 s[0:1]
	s_add_u32 s0, s0, _ZN12_GLOBAL__N_111calc_igammaIfEET_S1_S1_@rel32@lo+4
	s_addc_u32 s1, s1, _ZN12_GLOBAL__N_111calc_igammaIfEET_S1_S1_@rel32@hi+12
	s_delay_alu instid0(SALU_CYCLE_1)
	s_swappc_b64 s[30:31], s[0:1]
	v_mov_b32_e32 v47, v0
	s_cbranch_execz .LBB42_22
	s_branch .LBB42_23
.LBB42_21:
                                        ; implicit-def: $vgpr47
.LBB42_22:
	s_delay_alu instid0(VALU_DEP_2) | instskip(NEXT) | instid1(VALU_DEP_2)
	v_mov_b32_e32 v0, v40
	v_mov_b32_e32 v1, v56
	s_getpc_b64 s[0:1]
	s_add_u32 s0, s0, _ZN12_GLOBAL__N_112calc_igammacIfEET_S1_S1_@rel32@lo+4
	s_addc_u32 s1, s1, _ZN12_GLOBAL__N_112calc_igammacIfEET_S1_S1_@rel32@hi+12
	s_delay_alu instid0(SALU_CYCLE_1)
	s_swappc_b64 s[30:31], s[0:1]
	v_mov_b32_e32 v47, v0
.LBB42_23:
	v_lshrrev_b32_e32 v0, 16, v98
	v_cvt_f16_f32_e32 v1, v57
	s_and_b32 vcc_lo, exec_lo, s39
	s_delay_alu instid0(VALU_DEP_2) | instskip(NEXT) | instid1(VALU_DEP_2)
	v_cvt_f32_f16_e32 v40, v0
	v_cvt_f32_f16_e32 v57, v1
	s_cbranch_vccnz .LBB42_25
; %bb.24:
	s_delay_alu instid0(VALU_DEP_1) | instskip(SKIP_3) | instid1(SALU_CYCLE_1)
	v_dual_mov_b32 v0, v40 :: v_dual_mov_b32 v1, v57
	s_getpc_b64 s[0:1]
	s_add_u32 s0, s0, _ZN12_GLOBAL__N_111calc_igammaIfEET_S1_S1_@rel32@lo+4
	s_addc_u32 s1, s1, _ZN12_GLOBAL__N_111calc_igammaIfEET_S1_S1_@rel32@hi+12
	s_swappc_b64 s[30:31], s[0:1]
	v_mov_b32_e32 v56, v0
	s_cbranch_execz .LBB42_26
	s_branch .LBB42_27
.LBB42_25:
                                        ; implicit-def: $vgpr56
.LBB42_26:
	s_delay_alu instid0(VALU_DEP_1) | instskip(SKIP_3) | instid1(SALU_CYCLE_1)
	v_dual_mov_b32 v0, v40 :: v_dual_mov_b32 v1, v57
	s_getpc_b64 s[0:1]
	s_add_u32 s0, s0, _ZN12_GLOBAL__N_112calc_igammacIfEET_S1_S1_@rel32@lo+4
	s_addc_u32 s1, s1, _ZN12_GLOBAL__N_112calc_igammacIfEET_S1_S1_@rel32@hi+12
	s_swappc_b64 s[30:31], s[0:1]
	v_mov_b32_e32 v56, v0
.LBB42_27:
	v_cvt_f16_f32_e32 v0, v58
	v_cvt_f32_f16_e32 v40, v99
	s_and_b32 vcc_lo, exec_lo, s39
	s_delay_alu instid0(VALU_DEP_2)
	v_cvt_f32_f16_e32 v58, v0
	s_cbranch_vccnz .LBB42_29
; %bb.28:
	s_delay_alu instid0(VALU_DEP_1) | instskip(SKIP_3) | instid1(SALU_CYCLE_1)
	v_dual_mov_b32 v0, v40 :: v_dual_mov_b32 v1, v58
	s_getpc_b64 s[0:1]
	s_add_u32 s0, s0, _ZN12_GLOBAL__N_111calc_igammaIfEET_S1_S1_@rel32@lo+4
	s_addc_u32 s1, s1, _ZN12_GLOBAL__N_111calc_igammaIfEET_S1_S1_@rel32@hi+12
	s_swappc_b64 s[30:31], s[0:1]
	v_mov_b32_e32 v57, v0
	s_cbranch_execz .LBB42_30
	s_branch .LBB42_31
.LBB42_29:
                                        ; implicit-def: $vgpr57
.LBB42_30:
	s_delay_alu instid0(VALU_DEP_1) | instskip(SKIP_3) | instid1(SALU_CYCLE_1)
	v_dual_mov_b32 v0, v40 :: v_dual_mov_b32 v1, v58
	s_getpc_b64 s[0:1]
	s_add_u32 s0, s0, _ZN12_GLOBAL__N_112calc_igammacIfEET_S1_S1_@rel32@lo+4
	s_addc_u32 s1, s1, _ZN12_GLOBAL__N_112calc_igammacIfEET_S1_S1_@rel32@hi+12
	s_swappc_b64 s[30:31], s[0:1]
	v_mov_b32_e32 v57, v0
.LBB42_31:
	v_lshrrev_b32_e32 v0, 16, v99
	v_cvt_f16_f32_e32 v1, v59
	s_and_b32 vcc_lo, exec_lo, s39
	s_delay_alu instid0(VALU_DEP_2) | instskip(NEXT) | instid1(VALU_DEP_2)
	v_cvt_f32_f16_e32 v40, v0
	v_cvt_f32_f16_e32 v59, v1
	s_cbranch_vccnz .LBB42_33
; %bb.32:
	s_delay_alu instid0(VALU_DEP_1) | instskip(SKIP_3) | instid1(SALU_CYCLE_1)
	v_dual_mov_b32 v0, v40 :: v_dual_mov_b32 v1, v59
	s_getpc_b64 s[0:1]
	s_add_u32 s0, s0, _ZN12_GLOBAL__N_111calc_igammaIfEET_S1_S1_@rel32@lo+4
	s_addc_u32 s1, s1, _ZN12_GLOBAL__N_111calc_igammaIfEET_S1_S1_@rel32@hi+12
	s_swappc_b64 s[30:31], s[0:1]
	v_mov_b32_e32 v58, v0
	s_cbranch_execz .LBB42_34
	s_branch .LBB42_35
.LBB42_33:
                                        ; implicit-def: $vgpr58
.LBB42_34:
	s_delay_alu instid0(VALU_DEP_1) | instskip(SKIP_3) | instid1(SALU_CYCLE_1)
	v_dual_mov_b32 v0, v40 :: v_dual_mov_b32 v1, v59
	s_getpc_b64 s[0:1]
	s_add_u32 s0, s0, _ZN12_GLOBAL__N_112calc_igammacIfEET_S1_S1_@rel32@lo+4
	s_addc_u32 s1, s1, _ZN12_GLOBAL__N_112calc_igammacIfEET_S1_S1_@rel32@hi+12
	s_swappc_b64 s[30:31], s[0:1]
	v_mov_b32_e32 v58, v0
.LBB42_35:
	s_waitcnt vmcnt(5)
	v_cvt_f16_f32_e32 v0, v60
	v_cvt_f32_f16_e32 v40, v96
	s_and_b32 vcc_lo, exec_lo, s39
	s_delay_alu instid0(VALU_DEP_2)
	v_cvt_f32_f16_e32 v60, v0
	s_cbranch_vccnz .LBB42_37
; %bb.36:
	s_delay_alu instid0(VALU_DEP_2) | instskip(NEXT) | instid1(VALU_DEP_2)
	v_mov_b32_e32 v0, v40
	v_mov_b32_e32 v1, v60
	s_getpc_b64 s[0:1]
	s_add_u32 s0, s0, _ZN12_GLOBAL__N_111calc_igammaIfEET_S1_S1_@rel32@lo+4
	s_addc_u32 s1, s1, _ZN12_GLOBAL__N_111calc_igammaIfEET_S1_S1_@rel32@hi+12
	s_delay_alu instid0(SALU_CYCLE_1)
	s_swappc_b64 s[30:31], s[0:1]
	v_mov_b32_e32 v59, v0
	s_cbranch_execz .LBB42_38
	s_branch .LBB42_39
.LBB42_37:
                                        ; implicit-def: $vgpr59
.LBB42_38:
	s_delay_alu instid0(VALU_DEP_2) | instskip(NEXT) | instid1(VALU_DEP_2)
	v_mov_b32_e32 v0, v40
	v_mov_b32_e32 v1, v60
	s_getpc_b64 s[0:1]
	s_add_u32 s0, s0, _ZN12_GLOBAL__N_112calc_igammacIfEET_S1_S1_@rel32@lo+4
	s_addc_u32 s1, s1, _ZN12_GLOBAL__N_112calc_igammacIfEET_S1_S1_@rel32@hi+12
	s_delay_alu instid0(SALU_CYCLE_1)
	s_swappc_b64 s[30:31], s[0:1]
	v_mov_b32_e32 v59, v0
.LBB42_39:
	v_lshrrev_b32_e32 v0, 16, v96
	v_cvt_f16_f32_e32 v1, v61
	s_and_b32 vcc_lo, exec_lo, s39
	s_delay_alu instid0(VALU_DEP_2) | instskip(NEXT) | instid1(VALU_DEP_2)
	v_cvt_f32_f16_e32 v40, v0
	v_cvt_f32_f16_e32 v61, v1
	s_cbranch_vccnz .LBB42_41
; %bb.40:
	s_delay_alu instid0(VALU_DEP_1) | instskip(SKIP_3) | instid1(SALU_CYCLE_1)
	v_dual_mov_b32 v0, v40 :: v_dual_mov_b32 v1, v61
	s_getpc_b64 s[0:1]
	s_add_u32 s0, s0, _ZN12_GLOBAL__N_111calc_igammaIfEET_S1_S1_@rel32@lo+4
	s_addc_u32 s1, s1, _ZN12_GLOBAL__N_111calc_igammaIfEET_S1_S1_@rel32@hi+12
	s_swappc_b64 s[30:31], s[0:1]
	v_mov_b32_e32 v60, v0
	s_cbranch_execz .LBB42_42
	s_branch .LBB42_43
.LBB42_41:
                                        ; implicit-def: $vgpr60
.LBB42_42:
	s_delay_alu instid0(VALU_DEP_1) | instskip(SKIP_3) | instid1(SALU_CYCLE_1)
	v_dual_mov_b32 v0, v40 :: v_dual_mov_b32 v1, v61
	s_getpc_b64 s[0:1]
	s_add_u32 s0, s0, _ZN12_GLOBAL__N_112calc_igammacIfEET_S1_S1_@rel32@lo+4
	s_addc_u32 s1, s1, _ZN12_GLOBAL__N_112calc_igammacIfEET_S1_S1_@rel32@hi+12
	s_swappc_b64 s[30:31], s[0:1]
	v_mov_b32_e32 v60, v0
.LBB42_43:
	v_cvt_f16_f32_e32 v0, v62
	v_cvt_f32_f16_e32 v40, v97
	s_and_b32 vcc_lo, exec_lo, s39
	s_delay_alu instid0(VALU_DEP_2)
	v_cvt_f32_f16_e32 v62, v0
	s_cbranch_vccnz .LBB42_45
; %bb.44:
	s_delay_alu instid0(VALU_DEP_1) | instskip(SKIP_3) | instid1(SALU_CYCLE_1)
	v_dual_mov_b32 v0, v40 :: v_dual_mov_b32 v1, v62
	s_getpc_b64 s[0:1]
	s_add_u32 s0, s0, _ZN12_GLOBAL__N_111calc_igammaIfEET_S1_S1_@rel32@lo+4
	s_addc_u32 s1, s1, _ZN12_GLOBAL__N_111calc_igammaIfEET_S1_S1_@rel32@hi+12
	s_swappc_b64 s[30:31], s[0:1]
	v_mov_b32_e32 v61, v0
	s_cbranch_execz .LBB42_46
	s_branch .LBB42_47
.LBB42_45:
                                        ; implicit-def: $vgpr61
.LBB42_46:
	s_delay_alu instid0(VALU_DEP_1) | instskip(SKIP_3) | instid1(SALU_CYCLE_1)
	v_dual_mov_b32 v0, v40 :: v_dual_mov_b32 v1, v62
	s_getpc_b64 s[0:1]
	s_add_u32 s0, s0, _ZN12_GLOBAL__N_112calc_igammacIfEET_S1_S1_@rel32@lo+4
	s_addc_u32 s1, s1, _ZN12_GLOBAL__N_112calc_igammacIfEET_S1_S1_@rel32@hi+12
	s_swappc_b64 s[30:31], s[0:1]
	v_mov_b32_e32 v61, v0
.LBB42_47:
	v_lshrrev_b32_e32 v0, 16, v97
	v_cvt_f16_f32_e32 v1, v63
	s_and_b32 vcc_lo, exec_lo, s39
	s_delay_alu instid0(VALU_DEP_2) | instskip(NEXT) | instid1(VALU_DEP_2)
	v_cvt_f32_f16_e32 v40, v0
	v_cvt_f32_f16_e32 v63, v1
	s_cbranch_vccnz .LBB42_49
; %bb.48:
	s_delay_alu instid0(VALU_DEP_1) | instskip(SKIP_3) | instid1(SALU_CYCLE_1)
	v_dual_mov_b32 v0, v40 :: v_dual_mov_b32 v1, v63
	s_getpc_b64 s[0:1]
	s_add_u32 s0, s0, _ZN12_GLOBAL__N_111calc_igammaIfEET_S1_S1_@rel32@lo+4
	s_addc_u32 s1, s1, _ZN12_GLOBAL__N_111calc_igammaIfEET_S1_S1_@rel32@hi+12
	s_swappc_b64 s[30:31], s[0:1]
	v_mov_b32_e32 v62, v0
	s_cbranch_execz .LBB42_50
	s_branch .LBB42_51
.LBB42_49:
                                        ; implicit-def: $vgpr62
.LBB42_50:
	s_delay_alu instid0(VALU_DEP_1) | instskip(SKIP_3) | instid1(SALU_CYCLE_1)
	v_dual_mov_b32 v0, v40 :: v_dual_mov_b32 v1, v63
	s_getpc_b64 s[0:1]
	s_add_u32 s0, s0, _ZN12_GLOBAL__N_112calc_igammacIfEET_S1_S1_@rel32@lo+4
	s_addc_u32 s1, s1, _ZN12_GLOBAL__N_112calc_igammacIfEET_S1_S1_@rel32@hi+12
	s_swappc_b64 s[30:31], s[0:1]
	v_mov_b32_e32 v62, v0
.LBB42_51:
	s_waitcnt vmcnt(4)
	v_cvt_f16_f32_e32 v0, v66
	v_cvt_f32_f16_e32 v40, v94
	s_and_b32 vcc_lo, exec_lo, s39
	s_delay_alu instid0(VALU_DEP_2)
	v_cvt_f32_f16_e32 v66, v0
	s_cbranch_vccnz .LBB42_53
; %bb.52:
	s_delay_alu instid0(VALU_DEP_1) | instskip(SKIP_3) | instid1(SALU_CYCLE_1)
	v_dual_mov_b32 v0, v40 :: v_dual_mov_b32 v1, v66
	s_getpc_b64 s[0:1]
	s_add_u32 s0, s0, _ZN12_GLOBAL__N_111calc_igammaIfEET_S1_S1_@rel32@lo+4
	s_addc_u32 s1, s1, _ZN12_GLOBAL__N_111calc_igammaIfEET_S1_S1_@rel32@hi+12
	s_swappc_b64 s[30:31], s[0:1]
	v_mov_b32_e32 v63, v0
	s_cbranch_execz .LBB42_54
	s_branch .LBB42_55
.LBB42_53:
                                        ; implicit-def: $vgpr63
.LBB42_54:
	s_delay_alu instid0(VALU_DEP_1) | instskip(SKIP_3) | instid1(SALU_CYCLE_1)
	v_dual_mov_b32 v0, v40 :: v_dual_mov_b32 v1, v66
	s_getpc_b64 s[0:1]
	s_add_u32 s0, s0, _ZN12_GLOBAL__N_112calc_igammacIfEET_S1_S1_@rel32@lo+4
	s_addc_u32 s1, s1, _ZN12_GLOBAL__N_112calc_igammacIfEET_S1_S1_@rel32@hi+12
	s_swappc_b64 s[30:31], s[0:1]
	v_mov_b32_e32 v63, v0
.LBB42_55:
	v_lshrrev_b32_e32 v0, 16, v94
	v_cvt_f16_f32_e32 v1, v67
	s_and_b32 vcc_lo, exec_lo, s39
	s_delay_alu instid0(VALU_DEP_2) | instskip(NEXT) | instid1(VALU_DEP_2)
	v_cvt_f32_f16_e32 v40, v0
	v_cvt_f32_f16_e32 v67, v1
	s_cbranch_vccnz .LBB42_57
; %bb.56:
	s_delay_alu instid0(VALU_DEP_1) | instskip(SKIP_3) | instid1(SALU_CYCLE_1)
	v_dual_mov_b32 v0, v40 :: v_dual_mov_b32 v1, v67
	s_getpc_b64 s[0:1]
	s_add_u32 s0, s0, _ZN12_GLOBAL__N_111calc_igammaIfEET_S1_S1_@rel32@lo+4
	s_addc_u32 s1, s1, _ZN12_GLOBAL__N_111calc_igammaIfEET_S1_S1_@rel32@hi+12
	s_swappc_b64 s[30:31], s[0:1]
	v_mov_b32_e32 v66, v0
	s_cbranch_execz .LBB42_58
	s_branch .LBB42_59
.LBB42_57:
                                        ; implicit-def: $vgpr66
.LBB42_58:
	s_delay_alu instid0(VALU_DEP_1) | instskip(SKIP_3) | instid1(SALU_CYCLE_1)
	v_dual_mov_b32 v0, v40 :: v_dual_mov_b32 v1, v67
	s_getpc_b64 s[0:1]
	s_add_u32 s0, s0, _ZN12_GLOBAL__N_112calc_igammacIfEET_S1_S1_@rel32@lo+4
	s_addc_u32 s1, s1, _ZN12_GLOBAL__N_112calc_igammacIfEET_S1_S1_@rel32@hi+12
	s_swappc_b64 s[30:31], s[0:1]
	v_mov_b32_e32 v66, v0
.LBB42_59:
	v_cvt_f16_f32_e32 v0, v68
	v_cvt_f32_f16_e32 v40, v95
	s_and_b32 vcc_lo, exec_lo, s39
	s_delay_alu instid0(VALU_DEP_2)
	v_cvt_f32_f16_e32 v68, v0
	s_cbranch_vccnz .LBB42_61
; %bb.60:
	s_delay_alu instid0(VALU_DEP_2) | instskip(NEXT) | instid1(VALU_DEP_2)
	v_mov_b32_e32 v0, v40
	v_mov_b32_e32 v1, v68
	s_getpc_b64 s[0:1]
	s_add_u32 s0, s0, _ZN12_GLOBAL__N_111calc_igammaIfEET_S1_S1_@rel32@lo+4
	s_addc_u32 s1, s1, _ZN12_GLOBAL__N_111calc_igammaIfEET_S1_S1_@rel32@hi+12
	s_delay_alu instid0(SALU_CYCLE_1)
	s_swappc_b64 s[30:31], s[0:1]
	v_mov_b32_e32 v67, v0
	s_cbranch_execz .LBB42_62
	s_branch .LBB42_63
.LBB42_61:
                                        ; implicit-def: $vgpr67
.LBB42_62:
	s_delay_alu instid0(VALU_DEP_2) | instskip(NEXT) | instid1(VALU_DEP_2)
	v_mov_b32_e32 v0, v40
	v_mov_b32_e32 v1, v68
	s_getpc_b64 s[0:1]
	s_add_u32 s0, s0, _ZN12_GLOBAL__N_112calc_igammacIfEET_S1_S1_@rel32@lo+4
	s_addc_u32 s1, s1, _ZN12_GLOBAL__N_112calc_igammacIfEET_S1_S1_@rel32@hi+12
	s_delay_alu instid0(SALU_CYCLE_1)
	s_swappc_b64 s[30:31], s[0:1]
	v_mov_b32_e32 v67, v0
.LBB42_63:
	v_lshrrev_b32_e32 v0, 16, v95
	v_cvt_f16_f32_e32 v1, v69
	s_and_b32 vcc_lo, exec_lo, s39
	s_delay_alu instid0(VALU_DEP_2) | instskip(NEXT) | instid1(VALU_DEP_2)
	v_cvt_f32_f16_e32 v40, v0
	v_cvt_f32_f16_e32 v69, v1
	s_cbranch_vccnz .LBB42_65
; %bb.64:
	s_delay_alu instid0(VALU_DEP_1) | instskip(SKIP_3) | instid1(SALU_CYCLE_1)
	v_dual_mov_b32 v0, v40 :: v_dual_mov_b32 v1, v69
	s_getpc_b64 s[0:1]
	s_add_u32 s0, s0, _ZN12_GLOBAL__N_111calc_igammaIfEET_S1_S1_@rel32@lo+4
	s_addc_u32 s1, s1, _ZN12_GLOBAL__N_111calc_igammaIfEET_S1_S1_@rel32@hi+12
	s_swappc_b64 s[30:31], s[0:1]
	v_mov_b32_e32 v68, v0
	s_cbranch_execz .LBB42_66
	s_branch .LBB42_67
.LBB42_65:
                                        ; implicit-def: $vgpr68
.LBB42_66:
	s_delay_alu instid0(VALU_DEP_1) | instskip(SKIP_3) | instid1(SALU_CYCLE_1)
	v_dual_mov_b32 v0, v40 :: v_dual_mov_b32 v1, v69
	s_getpc_b64 s[0:1]
	s_add_u32 s0, s0, _ZN12_GLOBAL__N_112calc_igammacIfEET_S1_S1_@rel32@lo+4
	s_addc_u32 s1, s1, _ZN12_GLOBAL__N_112calc_igammacIfEET_S1_S1_@rel32@hi+12
	s_swappc_b64 s[30:31], s[0:1]
	v_mov_b32_e32 v68, v0
.LBB42_67:
	s_waitcnt vmcnt(3)
	v_cvt_f16_f32_e32 v0, v70
	v_cvt_f32_f16_e32 v40, v92
	s_and_b32 vcc_lo, exec_lo, s39
	s_delay_alu instid0(VALU_DEP_2)
	v_cvt_f32_f16_e32 v70, v0
	s_cbranch_vccnz .LBB42_69
; %bb.68:
	s_delay_alu instid0(VALU_DEP_1) | instskip(SKIP_3) | instid1(SALU_CYCLE_1)
	v_dual_mov_b32 v0, v40 :: v_dual_mov_b32 v1, v70
	s_getpc_b64 s[0:1]
	s_add_u32 s0, s0, _ZN12_GLOBAL__N_111calc_igammaIfEET_S1_S1_@rel32@lo+4
	s_addc_u32 s1, s1, _ZN12_GLOBAL__N_111calc_igammaIfEET_S1_S1_@rel32@hi+12
	s_swappc_b64 s[30:31], s[0:1]
	v_mov_b32_e32 v69, v0
	s_cbranch_execz .LBB42_70
	s_branch .LBB42_71
.LBB42_69:
                                        ; implicit-def: $vgpr69
.LBB42_70:
	s_delay_alu instid0(VALU_DEP_1) | instskip(SKIP_3) | instid1(SALU_CYCLE_1)
	v_dual_mov_b32 v0, v40 :: v_dual_mov_b32 v1, v70
	s_getpc_b64 s[0:1]
	s_add_u32 s0, s0, _ZN12_GLOBAL__N_112calc_igammacIfEET_S1_S1_@rel32@lo+4
	s_addc_u32 s1, s1, _ZN12_GLOBAL__N_112calc_igammacIfEET_S1_S1_@rel32@hi+12
	s_swappc_b64 s[30:31], s[0:1]
	v_mov_b32_e32 v69, v0
.LBB42_71:
	v_lshrrev_b32_e32 v0, 16, v92
	v_cvt_f16_f32_e32 v1, v71
	s_and_b32 vcc_lo, exec_lo, s39
	s_delay_alu instid0(VALU_DEP_2) | instskip(NEXT) | instid1(VALU_DEP_2)
	v_cvt_f32_f16_e32 v40, v0
	v_cvt_f32_f16_e32 v71, v1
	s_cbranch_vccnz .LBB42_73
; %bb.72:
	s_delay_alu instid0(VALU_DEP_1) | instskip(SKIP_3) | instid1(SALU_CYCLE_1)
	v_dual_mov_b32 v0, v40 :: v_dual_mov_b32 v1, v71
	s_getpc_b64 s[0:1]
	s_add_u32 s0, s0, _ZN12_GLOBAL__N_111calc_igammaIfEET_S1_S1_@rel32@lo+4
	s_addc_u32 s1, s1, _ZN12_GLOBAL__N_111calc_igammaIfEET_S1_S1_@rel32@hi+12
	s_swappc_b64 s[30:31], s[0:1]
	v_mov_b32_e32 v70, v0
	s_cbranch_execz .LBB42_74
	s_branch .LBB42_75
.LBB42_73:
                                        ; implicit-def: $vgpr70
.LBB42_74:
	s_delay_alu instid0(VALU_DEP_1) | instskip(SKIP_3) | instid1(SALU_CYCLE_1)
	v_dual_mov_b32 v0, v40 :: v_dual_mov_b32 v1, v71
	s_getpc_b64 s[0:1]
	s_add_u32 s0, s0, _ZN12_GLOBAL__N_112calc_igammacIfEET_S1_S1_@rel32@lo+4
	s_addc_u32 s1, s1, _ZN12_GLOBAL__N_112calc_igammacIfEET_S1_S1_@rel32@hi+12
	s_swappc_b64 s[30:31], s[0:1]
	v_mov_b32_e32 v70, v0
.LBB42_75:
	v_cvt_f16_f32_e32 v0, v72
	v_cvt_f32_f16_e32 v40, v93
	s_and_b32 vcc_lo, exec_lo, s39
	s_delay_alu instid0(VALU_DEP_2)
	v_cvt_f32_f16_e32 v72, v0
	s_cbranch_vccnz .LBB42_77
; %bb.76:
	s_delay_alu instid0(VALU_DEP_2) | instskip(NEXT) | instid1(VALU_DEP_2)
	v_mov_b32_e32 v0, v40
	v_mov_b32_e32 v1, v72
	s_getpc_b64 s[0:1]
	s_add_u32 s0, s0, _ZN12_GLOBAL__N_111calc_igammaIfEET_S1_S1_@rel32@lo+4
	s_addc_u32 s1, s1, _ZN12_GLOBAL__N_111calc_igammaIfEET_S1_S1_@rel32@hi+12
	s_delay_alu instid0(SALU_CYCLE_1)
	s_swappc_b64 s[30:31], s[0:1]
	v_mov_b32_e32 v71, v0
	s_cbranch_execz .LBB42_78
	s_branch .LBB42_79
.LBB42_77:
                                        ; implicit-def: $vgpr71
.LBB42_78:
	s_delay_alu instid0(VALU_DEP_2) | instskip(NEXT) | instid1(VALU_DEP_2)
	v_mov_b32_e32 v0, v40
	v_mov_b32_e32 v1, v72
	s_getpc_b64 s[0:1]
	s_add_u32 s0, s0, _ZN12_GLOBAL__N_112calc_igammacIfEET_S1_S1_@rel32@lo+4
	s_addc_u32 s1, s1, _ZN12_GLOBAL__N_112calc_igammacIfEET_S1_S1_@rel32@hi+12
	s_delay_alu instid0(SALU_CYCLE_1)
	s_swappc_b64 s[30:31], s[0:1]
	v_mov_b32_e32 v71, v0
.LBB42_79:
	v_lshrrev_b32_e32 v0, 16, v93
	v_cvt_f16_f32_e32 v1, v73
	s_and_b32 vcc_lo, exec_lo, s39
	s_delay_alu instid0(VALU_DEP_2) | instskip(NEXT) | instid1(VALU_DEP_2)
	v_cvt_f32_f16_e32 v40, v0
	v_cvt_f32_f16_e32 v73, v1
	s_cbranch_vccnz .LBB42_81
; %bb.80:
	s_delay_alu instid0(VALU_DEP_1) | instskip(SKIP_3) | instid1(SALU_CYCLE_1)
	v_dual_mov_b32 v0, v40 :: v_dual_mov_b32 v1, v73
	s_getpc_b64 s[0:1]
	s_add_u32 s0, s0, _ZN12_GLOBAL__N_111calc_igammaIfEET_S1_S1_@rel32@lo+4
	s_addc_u32 s1, s1, _ZN12_GLOBAL__N_111calc_igammaIfEET_S1_S1_@rel32@hi+12
	s_swappc_b64 s[30:31], s[0:1]
	v_mov_b32_e32 v72, v0
	s_cbranch_execz .LBB42_82
	s_branch .LBB42_83
.LBB42_81:
                                        ; implicit-def: $vgpr72
.LBB42_82:
	s_delay_alu instid0(VALU_DEP_1) | instskip(SKIP_3) | instid1(SALU_CYCLE_1)
	v_dual_mov_b32 v0, v40 :: v_dual_mov_b32 v1, v73
	s_getpc_b64 s[0:1]
	s_add_u32 s0, s0, _ZN12_GLOBAL__N_112calc_igammacIfEET_S1_S1_@rel32@lo+4
	s_addc_u32 s1, s1, _ZN12_GLOBAL__N_112calc_igammacIfEET_S1_S1_@rel32@hi+12
	s_swappc_b64 s[30:31], s[0:1]
	v_mov_b32_e32 v72, v0
.LBB42_83:
	s_waitcnt vmcnt(2)
	v_cvt_f16_f32_e32 v0, v74
	v_cvt_f32_f16_e32 v40, v90
	s_and_b32 vcc_lo, exec_lo, s39
	s_delay_alu instid0(VALU_DEP_2)
	v_cvt_f32_f16_e32 v74, v0
	s_cbranch_vccnz .LBB42_85
; %bb.84:
	s_delay_alu instid0(VALU_DEP_1) | instskip(SKIP_3) | instid1(SALU_CYCLE_1)
	v_dual_mov_b32 v0, v40 :: v_dual_mov_b32 v1, v74
	s_getpc_b64 s[0:1]
	s_add_u32 s0, s0, _ZN12_GLOBAL__N_111calc_igammaIfEET_S1_S1_@rel32@lo+4
	s_addc_u32 s1, s1, _ZN12_GLOBAL__N_111calc_igammaIfEET_S1_S1_@rel32@hi+12
	s_swappc_b64 s[30:31], s[0:1]
	v_mov_b32_e32 v73, v0
	s_cbranch_execz .LBB42_86
	s_branch .LBB42_87
.LBB42_85:
                                        ; implicit-def: $vgpr73
.LBB42_86:
	s_delay_alu instid0(VALU_DEP_1) | instskip(SKIP_3) | instid1(SALU_CYCLE_1)
	v_dual_mov_b32 v0, v40 :: v_dual_mov_b32 v1, v74
	s_getpc_b64 s[0:1]
	s_add_u32 s0, s0, _ZN12_GLOBAL__N_112calc_igammacIfEET_S1_S1_@rel32@lo+4
	s_addc_u32 s1, s1, _ZN12_GLOBAL__N_112calc_igammacIfEET_S1_S1_@rel32@hi+12
	s_swappc_b64 s[30:31], s[0:1]
	v_mov_b32_e32 v73, v0
.LBB42_87:
	v_lshrrev_b32_e32 v0, 16, v90
	v_cvt_f16_f32_e32 v1, v75
	s_and_b32 vcc_lo, exec_lo, s39
	s_delay_alu instid0(VALU_DEP_2) | instskip(NEXT) | instid1(VALU_DEP_2)
	v_cvt_f32_f16_e32 v40, v0
	v_cvt_f32_f16_e32 v75, v1
	s_cbranch_vccnz .LBB42_89
; %bb.88:
	s_delay_alu instid0(VALU_DEP_1) | instskip(SKIP_3) | instid1(SALU_CYCLE_1)
	v_dual_mov_b32 v0, v40 :: v_dual_mov_b32 v1, v75
	s_getpc_b64 s[0:1]
	s_add_u32 s0, s0, _ZN12_GLOBAL__N_111calc_igammaIfEET_S1_S1_@rel32@lo+4
	s_addc_u32 s1, s1, _ZN12_GLOBAL__N_111calc_igammaIfEET_S1_S1_@rel32@hi+12
	s_swappc_b64 s[30:31], s[0:1]
	v_mov_b32_e32 v74, v0
	s_cbranch_execz .LBB42_90
	s_branch .LBB42_91
.LBB42_89:
                                        ; implicit-def: $vgpr74
.LBB42_90:
	s_delay_alu instid0(VALU_DEP_1) | instskip(SKIP_3) | instid1(SALU_CYCLE_1)
	v_dual_mov_b32 v0, v40 :: v_dual_mov_b32 v1, v75
	s_getpc_b64 s[0:1]
	s_add_u32 s0, s0, _ZN12_GLOBAL__N_112calc_igammacIfEET_S1_S1_@rel32@lo+4
	s_addc_u32 s1, s1, _ZN12_GLOBAL__N_112calc_igammacIfEET_S1_S1_@rel32@hi+12
	s_swappc_b64 s[30:31], s[0:1]
	v_mov_b32_e32 v74, v0
.LBB42_91:
	v_cvt_f16_f32_e32 v0, v76
	v_cvt_f32_f16_e32 v40, v91
	s_and_b32 vcc_lo, exec_lo, s39
	s_delay_alu instid0(VALU_DEP_2)
	v_cvt_f32_f16_e32 v76, v0
	s_cbranch_vccnz .LBB42_93
; %bb.92:
	s_delay_alu instid0(VALU_DEP_2) | instskip(NEXT) | instid1(VALU_DEP_2)
	v_mov_b32_e32 v0, v40
	v_mov_b32_e32 v1, v76
	s_getpc_b64 s[0:1]
	s_add_u32 s0, s0, _ZN12_GLOBAL__N_111calc_igammaIfEET_S1_S1_@rel32@lo+4
	s_addc_u32 s1, s1, _ZN12_GLOBAL__N_111calc_igammaIfEET_S1_S1_@rel32@hi+12
	s_delay_alu instid0(SALU_CYCLE_1)
	s_swappc_b64 s[30:31], s[0:1]
	v_mov_b32_e32 v75, v0
	s_cbranch_execz .LBB42_94
	s_branch .LBB42_95
.LBB42_93:
                                        ; implicit-def: $vgpr75
.LBB42_94:
	s_delay_alu instid0(VALU_DEP_2) | instskip(NEXT) | instid1(VALU_DEP_2)
	v_mov_b32_e32 v0, v40
	v_mov_b32_e32 v1, v76
	s_getpc_b64 s[0:1]
	s_add_u32 s0, s0, _ZN12_GLOBAL__N_112calc_igammacIfEET_S1_S1_@rel32@lo+4
	s_addc_u32 s1, s1, _ZN12_GLOBAL__N_112calc_igammacIfEET_S1_S1_@rel32@hi+12
	s_delay_alu instid0(SALU_CYCLE_1)
	s_swappc_b64 s[30:31], s[0:1]
	v_mov_b32_e32 v75, v0
.LBB42_95:
	v_lshrrev_b32_e32 v0, 16, v91
	v_cvt_f16_f32_e32 v1, v77
	s_and_b32 vcc_lo, exec_lo, s39
	s_delay_alu instid0(VALU_DEP_2) | instskip(NEXT) | instid1(VALU_DEP_2)
	v_cvt_f32_f16_e32 v40, v0
	v_cvt_f32_f16_e32 v77, v1
	s_cbranch_vccnz .LBB42_97
; %bb.96:
	s_delay_alu instid0(VALU_DEP_1) | instskip(SKIP_3) | instid1(SALU_CYCLE_1)
	v_dual_mov_b32 v0, v40 :: v_dual_mov_b32 v1, v77
	s_getpc_b64 s[0:1]
	s_add_u32 s0, s0, _ZN12_GLOBAL__N_111calc_igammaIfEET_S1_S1_@rel32@lo+4
	s_addc_u32 s1, s1, _ZN12_GLOBAL__N_111calc_igammaIfEET_S1_S1_@rel32@hi+12
	s_swappc_b64 s[30:31], s[0:1]
	v_mov_b32_e32 v76, v0
	s_cbranch_execz .LBB42_98
	s_branch .LBB42_99
.LBB42_97:
                                        ; implicit-def: $vgpr76
.LBB42_98:
	s_delay_alu instid0(VALU_DEP_1) | instskip(SKIP_3) | instid1(SALU_CYCLE_1)
	v_dual_mov_b32 v0, v40 :: v_dual_mov_b32 v1, v77
	s_getpc_b64 s[0:1]
	s_add_u32 s0, s0, _ZN12_GLOBAL__N_112calc_igammacIfEET_S1_S1_@rel32@lo+4
	s_addc_u32 s1, s1, _ZN12_GLOBAL__N_112calc_igammacIfEET_S1_S1_@rel32@hi+12
	s_swappc_b64 s[30:31], s[0:1]
	v_mov_b32_e32 v76, v0
.LBB42_99:
	s_waitcnt vmcnt(1)
	v_cvt_f16_f32_e32 v0, v78
	v_cvt_f32_f16_e32 v40, v88
	s_and_b32 vcc_lo, exec_lo, s39
	s_delay_alu instid0(VALU_DEP_2)
	v_cvt_f32_f16_e32 v78, v0
	s_cbranch_vccnz .LBB42_101
; %bb.100:
	s_delay_alu instid0(VALU_DEP_1) | instskip(SKIP_3) | instid1(SALU_CYCLE_1)
	v_dual_mov_b32 v0, v40 :: v_dual_mov_b32 v1, v78
	s_getpc_b64 s[0:1]
	s_add_u32 s0, s0, _ZN12_GLOBAL__N_111calc_igammaIfEET_S1_S1_@rel32@lo+4
	s_addc_u32 s1, s1, _ZN12_GLOBAL__N_111calc_igammaIfEET_S1_S1_@rel32@hi+12
	s_swappc_b64 s[30:31], s[0:1]
	v_mov_b32_e32 v77, v0
	s_cbranch_execz .LBB42_102
	s_branch .LBB42_103
.LBB42_101:
                                        ; implicit-def: $vgpr77
.LBB42_102:
	s_delay_alu instid0(VALU_DEP_1) | instskip(SKIP_3) | instid1(SALU_CYCLE_1)
	v_dual_mov_b32 v0, v40 :: v_dual_mov_b32 v1, v78
	s_getpc_b64 s[0:1]
	s_add_u32 s0, s0, _ZN12_GLOBAL__N_112calc_igammacIfEET_S1_S1_@rel32@lo+4
	s_addc_u32 s1, s1, _ZN12_GLOBAL__N_112calc_igammacIfEET_S1_S1_@rel32@hi+12
	s_swappc_b64 s[30:31], s[0:1]
	v_mov_b32_e32 v77, v0
.LBB42_103:
	v_lshrrev_b32_e32 v0, 16, v88
	v_cvt_f16_f32_e32 v1, v79
	s_and_b32 vcc_lo, exec_lo, s39
	s_delay_alu instid0(VALU_DEP_2) | instskip(NEXT) | instid1(VALU_DEP_2)
	v_cvt_f32_f16_e32 v40, v0
	v_cvt_f32_f16_e32 v79, v1
	s_cbranch_vccnz .LBB42_105
; %bb.104:
	s_delay_alu instid0(VALU_DEP_1) | instskip(SKIP_3) | instid1(SALU_CYCLE_1)
	v_dual_mov_b32 v0, v40 :: v_dual_mov_b32 v1, v79
	s_getpc_b64 s[0:1]
	s_add_u32 s0, s0, _ZN12_GLOBAL__N_111calc_igammaIfEET_S1_S1_@rel32@lo+4
	s_addc_u32 s1, s1, _ZN12_GLOBAL__N_111calc_igammaIfEET_S1_S1_@rel32@hi+12
	s_swappc_b64 s[30:31], s[0:1]
	v_mov_b32_e32 v78, v0
	s_cbranch_execz .LBB42_106
	s_branch .LBB42_107
.LBB42_105:
                                        ; implicit-def: $vgpr78
.LBB42_106:
	s_delay_alu instid0(VALU_DEP_1) | instskip(SKIP_3) | instid1(SALU_CYCLE_1)
	v_dual_mov_b32 v0, v40 :: v_dual_mov_b32 v1, v79
	s_getpc_b64 s[0:1]
	s_add_u32 s0, s0, _ZN12_GLOBAL__N_112calc_igammacIfEET_S1_S1_@rel32@lo+4
	s_addc_u32 s1, s1, _ZN12_GLOBAL__N_112calc_igammacIfEET_S1_S1_@rel32@hi+12
	s_swappc_b64 s[30:31], s[0:1]
	v_mov_b32_e32 v78, v0
.LBB42_107:
	v_cvt_f16_f32_e32 v0, v80
	v_cvt_f32_f16_e32 v40, v89
	s_and_b32 vcc_lo, exec_lo, s39
	s_delay_alu instid0(VALU_DEP_2)
	v_cvt_f32_f16_e32 v80, v0
	s_cbranch_vccnz .LBB42_109
; %bb.108:
	s_delay_alu instid0(VALU_DEP_2) | instskip(NEXT) | instid1(VALU_DEP_2)
	v_mov_b32_e32 v0, v40
	v_mov_b32_e32 v1, v80
	s_getpc_b64 s[0:1]
	s_add_u32 s0, s0, _ZN12_GLOBAL__N_111calc_igammaIfEET_S1_S1_@rel32@lo+4
	s_addc_u32 s1, s1, _ZN12_GLOBAL__N_111calc_igammaIfEET_S1_S1_@rel32@hi+12
	s_delay_alu instid0(SALU_CYCLE_1)
	s_swappc_b64 s[30:31], s[0:1]
	v_mov_b32_e32 v79, v0
	s_cbranch_execz .LBB42_110
	s_branch .LBB42_111
.LBB42_109:
                                        ; implicit-def: $vgpr79
.LBB42_110:
	s_delay_alu instid0(VALU_DEP_2) | instskip(NEXT) | instid1(VALU_DEP_2)
	v_mov_b32_e32 v0, v40
	v_mov_b32_e32 v1, v80
	s_getpc_b64 s[0:1]
	s_add_u32 s0, s0, _ZN12_GLOBAL__N_112calc_igammacIfEET_S1_S1_@rel32@lo+4
	s_addc_u32 s1, s1, _ZN12_GLOBAL__N_112calc_igammacIfEET_S1_S1_@rel32@hi+12
	s_delay_alu instid0(SALU_CYCLE_1)
	s_swappc_b64 s[30:31], s[0:1]
	v_mov_b32_e32 v79, v0
.LBB42_111:
	v_lshrrev_b32_e32 v0, 16, v89
	v_cvt_f16_f32_e32 v1, v81
	s_and_b32 vcc_lo, exec_lo, s39
	s_delay_alu instid0(VALU_DEP_2) | instskip(NEXT) | instid1(VALU_DEP_2)
	v_cvt_f32_f16_e32 v40, v0
	v_cvt_f32_f16_e32 v81, v1
	s_cbranch_vccnz .LBB42_113
; %bb.112:
	s_delay_alu instid0(VALU_DEP_1) | instskip(SKIP_3) | instid1(SALU_CYCLE_1)
	v_dual_mov_b32 v0, v40 :: v_dual_mov_b32 v1, v81
	s_getpc_b64 s[0:1]
	s_add_u32 s0, s0, _ZN12_GLOBAL__N_111calc_igammaIfEET_S1_S1_@rel32@lo+4
	s_addc_u32 s1, s1, _ZN12_GLOBAL__N_111calc_igammaIfEET_S1_S1_@rel32@hi+12
	s_swappc_b64 s[30:31], s[0:1]
	v_mov_b32_e32 v80, v0
	s_cbranch_execz .LBB42_114
	s_branch .LBB42_115
.LBB42_113:
                                        ; implicit-def: $vgpr80
.LBB42_114:
	s_delay_alu instid0(VALU_DEP_1) | instskip(SKIP_3) | instid1(SALU_CYCLE_1)
	v_dual_mov_b32 v0, v40 :: v_dual_mov_b32 v1, v81
	s_getpc_b64 s[0:1]
	s_add_u32 s0, s0, _ZN12_GLOBAL__N_112calc_igammacIfEET_S1_S1_@rel32@lo+4
	s_addc_u32 s1, s1, _ZN12_GLOBAL__N_112calc_igammacIfEET_S1_S1_@rel32@hi+12
	s_swappc_b64 s[30:31], s[0:1]
	v_mov_b32_e32 v80, v0
.LBB42_115:
	s_waitcnt vmcnt(0)
	v_cvt_f16_f32_e32 v0, v82
	v_cvt_f32_f16_e32 v40, v86
	s_and_b32 vcc_lo, exec_lo, s39
	s_delay_alu instid0(VALU_DEP_2)
	v_cvt_f32_f16_e32 v82, v0
	s_cbranch_vccnz .LBB42_117
; %bb.116:
	s_delay_alu instid0(VALU_DEP_1) | instskip(SKIP_3) | instid1(SALU_CYCLE_1)
	v_dual_mov_b32 v0, v40 :: v_dual_mov_b32 v1, v82
	s_getpc_b64 s[0:1]
	s_add_u32 s0, s0, _ZN12_GLOBAL__N_111calc_igammaIfEET_S1_S1_@rel32@lo+4
	s_addc_u32 s1, s1, _ZN12_GLOBAL__N_111calc_igammaIfEET_S1_S1_@rel32@hi+12
	s_swappc_b64 s[30:31], s[0:1]
	v_mov_b32_e32 v81, v0
	s_cbranch_execz .LBB42_118
	s_branch .LBB42_119
.LBB42_117:
                                        ; implicit-def: $vgpr81
.LBB42_118:
	s_delay_alu instid0(VALU_DEP_1) | instskip(SKIP_3) | instid1(SALU_CYCLE_1)
	v_dual_mov_b32 v0, v40 :: v_dual_mov_b32 v1, v82
	s_getpc_b64 s[0:1]
	s_add_u32 s0, s0, _ZN12_GLOBAL__N_112calc_igammacIfEET_S1_S1_@rel32@lo+4
	s_addc_u32 s1, s1, _ZN12_GLOBAL__N_112calc_igammacIfEET_S1_S1_@rel32@hi+12
	s_swappc_b64 s[30:31], s[0:1]
	v_mov_b32_e32 v81, v0
.LBB42_119:
	v_lshrrev_b32_e32 v0, 16, v86
	v_cvt_f16_f32_e32 v1, v83
	s_and_b32 vcc_lo, exec_lo, s39
	s_delay_alu instid0(VALU_DEP_2) | instskip(NEXT) | instid1(VALU_DEP_2)
	v_cvt_f32_f16_e32 v40, v0
	v_cvt_f32_f16_e32 v83, v1
	s_cbranch_vccnz .LBB42_121
; %bb.120:
	s_delay_alu instid0(VALU_DEP_1) | instskip(SKIP_3) | instid1(SALU_CYCLE_1)
	v_dual_mov_b32 v0, v40 :: v_dual_mov_b32 v1, v83
	s_getpc_b64 s[0:1]
	s_add_u32 s0, s0, _ZN12_GLOBAL__N_111calc_igammaIfEET_S1_S1_@rel32@lo+4
	s_addc_u32 s1, s1, _ZN12_GLOBAL__N_111calc_igammaIfEET_S1_S1_@rel32@hi+12
	s_swappc_b64 s[30:31], s[0:1]
	v_mov_b32_e32 v82, v0
	s_cbranch_execz .LBB42_122
	s_branch .LBB42_123
.LBB42_121:
                                        ; implicit-def: $vgpr82
.LBB42_122:
	s_delay_alu instid0(VALU_DEP_1) | instskip(SKIP_3) | instid1(SALU_CYCLE_1)
	v_dual_mov_b32 v0, v40 :: v_dual_mov_b32 v1, v83
	s_getpc_b64 s[0:1]
	s_add_u32 s0, s0, _ZN12_GLOBAL__N_112calc_igammacIfEET_S1_S1_@rel32@lo+4
	s_addc_u32 s1, s1, _ZN12_GLOBAL__N_112calc_igammacIfEET_S1_S1_@rel32@hi+12
	s_swappc_b64 s[30:31], s[0:1]
	v_mov_b32_e32 v82, v0
.LBB42_123:
	v_cvt_f16_f32_e32 v0, v84
	v_cvt_f32_f16_e32 v40, v87
	s_and_b32 vcc_lo, exec_lo, s39
	s_delay_alu instid0(VALU_DEP_2)
	v_cvt_f32_f16_e32 v84, v0
	s_cbranch_vccnz .LBB42_125
; %bb.124:
	s_delay_alu instid0(VALU_DEP_2) | instskip(NEXT) | instid1(VALU_DEP_2)
	v_mov_b32_e32 v0, v40
	v_mov_b32_e32 v1, v84
	s_getpc_b64 s[0:1]
	s_add_u32 s0, s0, _ZN12_GLOBAL__N_111calc_igammaIfEET_S1_S1_@rel32@lo+4
	s_addc_u32 s1, s1, _ZN12_GLOBAL__N_111calc_igammaIfEET_S1_S1_@rel32@hi+12
	s_delay_alu instid0(SALU_CYCLE_1)
	s_swappc_b64 s[30:31], s[0:1]
	v_mov_b32_e32 v83, v0
	s_cbranch_execz .LBB42_126
	s_branch .LBB42_127
.LBB42_125:
                                        ; implicit-def: $vgpr83
.LBB42_126:
	s_delay_alu instid0(VALU_DEP_2) | instskip(NEXT) | instid1(VALU_DEP_2)
	v_mov_b32_e32 v0, v40
	v_mov_b32_e32 v1, v84
	s_getpc_b64 s[0:1]
	s_add_u32 s0, s0, _ZN12_GLOBAL__N_112calc_igammacIfEET_S1_S1_@rel32@lo+4
	s_addc_u32 s1, s1, _ZN12_GLOBAL__N_112calc_igammacIfEET_S1_S1_@rel32@hi+12
	s_delay_alu instid0(SALU_CYCLE_1)
	s_swappc_b64 s[30:31], s[0:1]
	v_mov_b32_e32 v83, v0
.LBB42_127:
	v_lshrrev_b32_e32 v0, 16, v87
	v_cvt_f16_f32_e32 v1, v85
	s_and_b32 vcc_lo, exec_lo, s39
	s_delay_alu instid0(VALU_DEP_2) | instskip(NEXT) | instid1(VALU_DEP_2)
	v_cvt_f32_f16_e32 v40, v0
	v_cvt_f32_f16_e32 v84, v1
	s_cbranch_vccnz .LBB42_129
; %bb.128:
	s_delay_alu instid0(VALU_DEP_2) | instskip(NEXT) | instid1(VALU_DEP_2)
	v_mov_b32_e32 v0, v40
	v_mov_b32_e32 v1, v84
	s_getpc_b64 s[0:1]
	s_add_u32 s0, s0, _ZN12_GLOBAL__N_111calc_igammaIfEET_S1_S1_@rel32@lo+4
	s_addc_u32 s1, s1, _ZN12_GLOBAL__N_111calc_igammaIfEET_S1_S1_@rel32@hi+12
	s_delay_alu instid0(SALU_CYCLE_1)
	s_swappc_b64 s[30:31], s[0:1]
	s_cbranch_execz .LBB42_130
	s_branch .LBB42_131
.LBB42_129:
                                        ; implicit-def: $vgpr0
.LBB42_130:
	s_delay_alu instid0(VALU_DEP_2) | instskip(NEXT) | instid1(VALU_DEP_2)
	v_mov_b32_e32 v0, v40
	v_mov_b32_e32 v1, v84
	s_getpc_b64 s[0:1]
	s_add_u32 s0, s0, _ZN12_GLOBAL__N_112calc_igammacIfEET_S1_S1_@rel32@lo+4
	s_addc_u32 s1, s1, _ZN12_GLOBAL__N_112calc_igammacIfEET_S1_S1_@rel32@hi+12
	s_delay_alu instid0(SALU_CYCLE_1)
	s_swappc_b64 s[30:31], s[0:1]
.LBB42_131:
	v_cvt_f16_f32_e32 v2, v45
	v_cvt_f16_f32_e32 v4, v46
	v_cvt_f16_f32_e32 v7, v57
	v_cvt_f16_f32_e32 v8, v58
	s_add_u32 s0, s40, s46
	v_cvt_f16_f32_e32 v10, v62
	v_pack_b32_f16 v2, v2, v4
	v_cvt_f16_f32_e32 v13, v67
	v_pack_b32_f16 v4, v7, v8
	v_cvt_f16_f32_e32 v8, v61
	v_cvt_f16_f32_e32 v14, v68
	s_addc_u32 s1, s41, s47
	v_cvt_f16_f32_e32 v1, v43
	v_cvt_f16_f32_e32 v3, v44
	;; [unrolled: 1-line block ×4, first 2 shown]
	v_add_co_u32 v23, s3, s0, v102
	s_delay_alu instid0(VALU_DEP_1)
	v_add_co_ci_u32_e64 v24, null, s1, 0, s3
	v_cvt_f16_f32_e32 v7, v59
	v_cvt_f16_f32_e32 v9, v60
	v_cvt_f16_f32_e32 v11, v63
	v_cvt_f16_f32_e32 v12, v66
	v_pack_b32_f16 v8, v8, v10
	v_pack_b32_f16 v10, v13, v14
	v_cvt_f16_f32_e32 v14, v71
	v_cvt_f16_f32_e32 v16, v72
	;; [unrolled: 1-line block ×4, first 2 shown]
	v_pack_b32_f16 v1, v1, v3
	v_pack_b32_f16 v3, v5, v6
	v_add_co_u32 v5, vcc_lo, 0x1000, v23
	v_cvt_f16_f32_e32 v13, v69
	v_cvt_f16_f32_e32 v15, v70
	;; [unrolled: 1-line block ×4, first 2 shown]
	v_add_co_ci_u32_e32 v6, vcc_lo, 0, v24, vcc_lo
	v_pack_b32_f16 v7, v7, v9
	v_pack_b32_f16 v9, v11, v12
	v_add_co_u32 v11, vcc_lo, 0x3000, v23
	v_pack_b32_f16 v14, v14, v16
	v_pack_b32_f16 v16, v19, v20
	v_cvt_f16_f32_e32 v19, v77
	v_cvt_f16_f32_e32 v21, v78
	v_cvt_f16_f32_e32 v20, v79
	v_cvt_f16_f32_e32 v22, v80
	v_add_co_ci_u32_e32 v12, vcc_lo, 0, v24, vcc_lo
	v_pack_b32_f16 v13, v13, v15
	v_pack_b32_f16 v15, v17, v18
	v_cvt_f16_f32_e32 v25, v81
	v_cvt_f16_f32_e32 v26, v82
	;; [unrolled: 1-line block ×4, first 2 shown]
	v_add_co_u32 v17, vcc_lo, 0x5000, v23
	v_add_co_ci_u32_e32 v18, vcc_lo, 0, v24, vcc_lo
	v_pack_b32_f16 v20, v20, v22
	v_pack_b32_f16 v19, v19, v21
	v_add_co_u32 v23, vcc_lo, 0x7000, v23
	v_pack_b32_f16 v22, v27, v0
	v_pack_b32_f16 v21, v25, v26
	v_add_co_ci_u32_e32 v24, vcc_lo, 0, v24, vcc_lo
	s_clause 0x7
	global_store_b64 v102, v[1:2], s[0:1]
	global_store_b64 v103, v[7:8], s[0:1]
	;; [unrolled: 1-line block ×4, first 2 shown]
	global_store_b64 v[5:6], v[3:4], off
	global_store_b64 v[11:12], v[9:10], off
	;; [unrolled: 1-line block ×4, first 2 shown]
	s_branch .LBB42_2
.LBB42_132:
	s_clause 0x1
	s_load_b32 s6, s[36:37], 0x24
	s_load_b128 s[0:3], s[36:37], 0x28
	v_cndmask_b32_e64 v0, 0, 1, s49
	v_dual_mov_b32 v31, v42 :: v_dual_mov_b32 v2, s41
	v_dual_mov_b32 v1, s40 :: v_dual_mov_b32 v4, s43
	;; [unrolled: 1-line block ×3, first 2 shown]
	v_mov_b32_e32 v5, s44
	v_mov_b32_e32 v7, s48
	s_add_u32 s8, s36, 56
	s_addc_u32 s9, s37, 0
	s_mov_b32 s12, s38
	s_getpc_b64 s[4:5]
	s_add_u32 s4, s4, _ZN2at6native25elementwise_kernel_helperILb1EN12_GLOBAL__N_110CalcIgammaIfEENS0_6memory8policies11unroll_baseILi512ESt5arrayIPcLm3EE23TrivialOffsetCalculatorILi2EjESB_ILi1EjENS5_12LoadWithCastILi2EEENS5_13StoreWithCastILi1EEELi32ELi1EEEEEvT0_T1_@rel32@lo+4
	s_addc_u32 s5, s5, _ZN2at6native25elementwise_kernel_helperILb1EN12_GLOBAL__N_110CalcIgammaIfEENS0_6memory8policies11unroll_baseILi512ESt5arrayIPcLm3EE23TrivialOffsetCalculatorILi2EjESB_ILi1EjENS5_12LoadWithCastILi2EEENS5_13StoreWithCastILi1EEELi32ELi1EEEEEvT0_T1_@rel32@hi+12
	s_waitcnt lgkmcnt(0)
	v_lshrrev_b16 v9, 8, s6
	v_mov_b32_e32 v10, s0
	v_dual_mov_b32 v8, s6 :: v_dual_mov_b32 v11, s1
	v_dual_mov_b32 v12, s2 :: v_dual_mov_b32 v13, s3
	s_swappc_b64 s[30:31], s[4:5]
	s_endpgm
	.section	.rodata,"a",@progbits
	.p2align	6, 0x0
	.amdhsa_kernel _ZN2at6native39vectorized_templated_elementwise_kernelILi4EN12_GLOBAL__N_110CalcIgammaIfEESt5arrayIPcLm3EE23TrivialOffsetCalculatorILi2EjES8_ILi1EjENS0_6memory12LoadWithCastILi2EEENSB_13StoreWithCastILi1EEEN3c104HalfEJSH_fEEEviT0_T1_T2_T3_T4_T5_
		.amdhsa_group_segment_fixed_size 0
		.amdhsa_private_segment_fixed_size 448
		.amdhsa_kernarg_size 312
		.amdhsa_user_sgpr_count 15
		.amdhsa_user_sgpr_dispatch_ptr 0
		.amdhsa_user_sgpr_queue_ptr 0
		.amdhsa_user_sgpr_kernarg_segment_ptr 1
		.amdhsa_user_sgpr_dispatch_id 0
		.amdhsa_user_sgpr_private_segment_size 0
		.amdhsa_wavefront_size32 1
		.amdhsa_uses_dynamic_stack 0
		.amdhsa_enable_private_segment 1
		.amdhsa_system_sgpr_workgroup_id_x 1
		.amdhsa_system_sgpr_workgroup_id_y 0
		.amdhsa_system_sgpr_workgroup_id_z 0
		.amdhsa_system_sgpr_workgroup_info 0
		.amdhsa_system_vgpr_workitem_id 0
		.amdhsa_next_free_vgpr 147
		.amdhsa_next_free_sgpr 77
		.amdhsa_reserve_vcc 1
		.amdhsa_float_round_mode_32 0
		.amdhsa_float_round_mode_16_64 0
		.amdhsa_float_denorm_mode_32 3
		.amdhsa_float_denorm_mode_16_64 3
		.amdhsa_dx10_clamp 1
		.amdhsa_ieee_mode 1
		.amdhsa_fp16_overflow 0
		.amdhsa_workgroup_processor_mode 1
		.amdhsa_memory_ordered 1
		.amdhsa_forward_progress 0
		.amdhsa_shared_vgpr_count 0
		.amdhsa_exception_fp_ieee_invalid_op 0
		.amdhsa_exception_fp_denorm_src 0
		.amdhsa_exception_fp_ieee_div_zero 0
		.amdhsa_exception_fp_ieee_overflow 0
		.amdhsa_exception_fp_ieee_underflow 0
		.amdhsa_exception_fp_ieee_inexact 0
		.amdhsa_exception_int_div_zero 0
	.end_amdhsa_kernel
	.section	.text._ZN2at6native39vectorized_templated_elementwise_kernelILi4EN12_GLOBAL__N_110CalcIgammaIfEESt5arrayIPcLm3EE23TrivialOffsetCalculatorILi2EjES8_ILi1EjENS0_6memory12LoadWithCastILi2EEENSB_13StoreWithCastILi1EEEN3c104HalfEJSH_fEEEviT0_T1_T2_T3_T4_T5_,"axG",@progbits,_ZN2at6native39vectorized_templated_elementwise_kernelILi4EN12_GLOBAL__N_110CalcIgammaIfEESt5arrayIPcLm3EE23TrivialOffsetCalculatorILi2EjES8_ILi1EjENS0_6memory12LoadWithCastILi2EEENSB_13StoreWithCastILi1EEEN3c104HalfEJSH_fEEEviT0_T1_T2_T3_T4_T5_,comdat
.Lfunc_end42:
	.size	_ZN2at6native39vectorized_templated_elementwise_kernelILi4EN12_GLOBAL__N_110CalcIgammaIfEESt5arrayIPcLm3EE23TrivialOffsetCalculatorILi2EjES8_ILi1EjENS0_6memory12LoadWithCastILi2EEENSB_13StoreWithCastILi1EEEN3c104HalfEJSH_fEEEviT0_T1_T2_T3_T4_T5_, .Lfunc_end42-_ZN2at6native39vectorized_templated_elementwise_kernelILi4EN12_GLOBAL__N_110CalcIgammaIfEESt5arrayIPcLm3EE23TrivialOffsetCalculatorILi2EjES8_ILi1EjENS0_6memory12LoadWithCastILi2EEENSB_13StoreWithCastILi1EEEN3c104HalfEJSH_fEEEviT0_T1_T2_T3_T4_T5_
                                        ; -- End function
	.section	.AMDGPU.csdata,"",@progbits
; Kernel info:
; codeLenInByte = 4836
; NumSgprs: 79
; NumVgprs: 147
; ScratchSize: 448
; MemoryBound: 0
; FloatMode: 240
; IeeeMode: 1
; LDSByteSize: 0 bytes/workgroup (compile time only)
; SGPRBlocks: 9
; VGPRBlocks: 18
; NumSGPRsForWavesPerEU: 79
; NumVGPRsForWavesPerEU: 147
; Occupancy: 9
; WaveLimiterHint : 0
; COMPUTE_PGM_RSRC2:SCRATCH_EN: 1
; COMPUTE_PGM_RSRC2:USER_SGPR: 15
; COMPUTE_PGM_RSRC2:TRAP_HANDLER: 0
; COMPUTE_PGM_RSRC2:TGID_X_EN: 1
; COMPUTE_PGM_RSRC2:TGID_Y_EN: 0
; COMPUTE_PGM_RSRC2:TGID_Z_EN: 0
; COMPUTE_PGM_RSRC2:TIDIG_COMP_CNT: 0
	.section	.text._ZN2at6native39vectorized_templated_elementwise_kernelILi2EN12_GLOBAL__N_110CalcIgammaIfEESt5arrayIPcLm3EE23TrivialOffsetCalculatorILi2EjES8_ILi1EjENS0_6memory12LoadWithCastILi2EEENSB_13StoreWithCastILi1EEEN3c104HalfEJSH_fEEEviT0_T1_T2_T3_T4_T5_,"axG",@progbits,_ZN2at6native39vectorized_templated_elementwise_kernelILi2EN12_GLOBAL__N_110CalcIgammaIfEESt5arrayIPcLm3EE23TrivialOffsetCalculatorILi2EjES8_ILi1EjENS0_6memory12LoadWithCastILi2EEENSB_13StoreWithCastILi1EEEN3c104HalfEJSH_fEEEviT0_T1_T2_T3_T4_T5_,comdat
	.globl	_ZN2at6native39vectorized_templated_elementwise_kernelILi2EN12_GLOBAL__N_110CalcIgammaIfEESt5arrayIPcLm3EE23TrivialOffsetCalculatorILi2EjES8_ILi1EjENS0_6memory12LoadWithCastILi2EEENSB_13StoreWithCastILi1EEEN3c104HalfEJSH_fEEEviT0_T1_T2_T3_T4_T5_ ; -- Begin function _ZN2at6native39vectorized_templated_elementwise_kernelILi2EN12_GLOBAL__N_110CalcIgammaIfEESt5arrayIPcLm3EE23TrivialOffsetCalculatorILi2EjES8_ILi1EjENS0_6memory12LoadWithCastILi2EEENSB_13StoreWithCastILi1EEEN3c104HalfEJSH_fEEEviT0_T1_T2_T3_T4_T5_
	.p2align	8
	.type	_ZN2at6native39vectorized_templated_elementwise_kernelILi2EN12_GLOBAL__N_110CalcIgammaIfEESt5arrayIPcLm3EE23TrivialOffsetCalculatorILi2EjES8_ILi1EjENS0_6memory12LoadWithCastILi2EEENSB_13StoreWithCastILi1EEEN3c104HalfEJSH_fEEEviT0_T1_T2_T3_T4_T5_,@function
_ZN2at6native39vectorized_templated_elementwise_kernelILi2EN12_GLOBAL__N_110CalcIgammaIfEESt5arrayIPcLm3EE23TrivialOffsetCalculatorILi2EjES8_ILi1EjENS0_6memory12LoadWithCastILi2EEENSB_13StoreWithCastILi1EEEN3c104HalfEJSH_fEEEviT0_T1_T2_T3_T4_T5_: ; @_ZN2at6native39vectorized_templated_elementwise_kernelILi2EN12_GLOBAL__N_110CalcIgammaIfEESt5arrayIPcLm3EE23TrivialOffsetCalculatorILi2EjES8_ILi1EjENS0_6memory12LoadWithCastILi2EEENSB_13StoreWithCastILi1EEEN3c104HalfEJSH_fEEEviT0_T1_T2_T3_T4_T5_
; %bb.0:
	s_mov_b64 s[36:37], s[0:1]
	s_clause 0x1
	s_load_b64 s[2:3], s[0:1], 0x0
	s_load_b32 s0, s[0:1], 0x38
	s_clause 0x1
	s_load_b64 s[44:45], s[36:37], 0x18
	s_load_b128 s[40:43], s[36:37], 0x8
	v_mov_b32_e32 v42, v0
	s_mov_b32 s38, s15
	s_mov_b32 s32, 0
	s_waitcnt lgkmcnt(0)
	s_bitcmp1_b32 s3, 0
	s_cselect_b32 s49, -1, 0
	s_not_b32 s1, s15
	s_delay_alu instid0(SALU_CYCLE_1) | instskip(NEXT) | instid1(SALU_CYCLE_1)
	s_add_i32 s0, s0, s1
	s_lshl_b32 s0, s0, 14
	s_delay_alu instid0(SALU_CYCLE_1)
	s_sub_i32 s48, s2, s0
	s_mov_b32 s2, -1
	s_cmpk_gt_i32 s48, 0x3fff
	s_cbranch_scc1 .LBB43_3
; %bb.1:
	s_and_b32 vcc_lo, exec_lo, s2
	s_cbranch_vccnz .LBB43_132
.LBB43_2:
	s_endpgm
.LBB43_3:
	s_ashr_i32 s1, s0, 31
	v_lshlrev_b32_e32 v86, 2, v42
	s_lshl_b64 s[46:47], s[0:1], 1
	s_xor_b32 s50, s49, -1
	s_add_u32 s2, s42, s46
	s_addc_u32 s3, s43, s47
	v_add_co_u32 v6, s4, s2, v86
	s_delay_alu instid0(VALU_DEP_1) | instskip(SKIP_1) | instid1(VALU_DEP_3)
	v_add_co_ci_u32_e64 v7, null, s3, 0, s4
	v_or_b32_e32 v8, 0x400, v42
	v_add_co_u32 v0, vcc_lo, 0x1000, v6
	s_delay_alu instid0(VALU_DEP_3)
	v_add_co_ci_u32_e32 v1, vcc_lo, 0, v7, vcc_lo
	v_or_b32_e32 v9, 0x800, v42
	v_add_co_u32 v2, vcc_lo, 0x2000, v6
	v_or_b32_e32 v10, 0xc00, v42
	v_add_co_ci_u32_e32 v3, vcc_lo, 0, v7, vcc_lo
	v_lshlrev_b32_e32 v87, 2, v8
	v_add_co_u32 v4, vcc_lo, 0x3000, v6
	v_lshlrev_b32_e32 v88, 2, v9
	v_add_co_ci_u32_e32 v5, vcc_lo, 0, v7, vcc_lo
	v_lshlrev_b32_e32 v89, 2, v10
	s_clause 0x7
	global_load_b32 v109, v86, s[2:3]
	global_load_b32 v108, v86, s[2:3] offset:2048
	global_load_b32 v107, v87, s[2:3]
	global_load_b32 v106, v[0:1], off offset:2048
	global_load_b32 v105, v88, s[2:3]
	global_load_b32 v104, v[2:3], off offset:2048
	;; [unrolled: 2-line block ×3, first 2 shown]
	v_add_co_u32 v0, vcc_lo, 0x4000, v6
	v_or_b32_e32 v11, 0x1000, v42
	v_add_co_ci_u32_e32 v1, vcc_lo, 0, v7, vcc_lo
	v_lshlrev_b32_e32 v15, 3, v42
	v_add_co_u32 v2, vcc_lo, 0x5000, v6
	s_lshl_b64 s[0:1], s[0:1], 2
	v_or_b32_e32 v12, 0x1400, v42
	v_add_co_ci_u32_e32 v3, vcc_lo, 0, v7, vcc_lo
	s_add_u32 s0, s44, s0
	v_or_b32_e32 v13, 0x1800, v42
	v_add_co_u32 v4, vcc_lo, 0x6000, v6
	v_lshlrev_b32_e32 v90, 2, v11
	v_or_b32_e32 v14, 0x1c00, v42
	s_addc_u32 s1, s45, s1
	v_add_co_u32 v16, s4, s0, v15
	v_add_co_ci_u32_e32 v5, vcc_lo, 0, v7, vcc_lo
	v_lshlrev_b32_e32 v91, 2, v12
	v_add_co_u32 v6, vcc_lo, 0x7000, v6
	v_add_co_ci_u32_e64 v17, null, s1, 0, s4
	v_lshlrev_b32_e32 v92, 2, v13
	v_add_co_ci_u32_e32 v7, vcc_lo, 0, v7, vcc_lo
	v_lshlrev_b32_e32 v93, 2, v14
	s_clause 0x7
	global_load_b32 v101, v90, s[2:3]
	global_load_b32 v100, v[0:1], off offset:2048
	global_load_b32 v99, v91, s[2:3]
	global_load_b32 v98, v[2:3], off offset:2048
	;; [unrolled: 2-line block ×4, first 2 shown]
	v_add_co_u32 v0, vcc_lo, 0x1000, v16
	v_add_co_ci_u32_e32 v1, vcc_lo, 0, v17, vcc_lo
	v_add_co_u32 v2, vcc_lo, 0x3000, v16
	v_add_co_ci_u32_e32 v3, vcc_lo, 0, v17, vcc_lo
	;; [unrolled: 2-line block ×3, first 2 shown]
	v_lshlrev_b32_e32 v8, 3, v8
	v_add_co_u32 v6, vcc_lo, 0x7000, v16
	v_lshlrev_b32_e32 v9, 3, v9
	v_add_co_ci_u32_e32 v7, vcc_lo, 0, v17, vcc_lo
	v_lshlrev_b32_e32 v10, 3, v10
	s_clause 0x7
	global_load_b64 v[44:45], v15, s[0:1]
	global_load_b64 v[46:47], v[0:1], off
	global_load_b64 v[56:57], v8, s[0:1]
	global_load_b64 v[58:59], v[2:3], off
	;; [unrolled: 2-line block ×4, first 2 shown]
	v_add_co_u32 v0, vcc_lo, 0x9000, v16
	v_add_co_ci_u32_e32 v1, vcc_lo, 0, v17, vcc_lo
	v_add_co_u32 v2, vcc_lo, 0xb000, v16
	v_add_co_ci_u32_e32 v3, vcc_lo, 0, v17, vcc_lo
	v_lshlrev_b32_e32 v8, 3, v11
	v_add_co_u32 v4, vcc_lo, 0xd000, v16
	v_lshlrev_b32_e32 v9, 3, v12
	v_add_co_ci_u32_e32 v5, vcc_lo, 0, v17, vcc_lo
	v_add_co_u32 v6, vcc_lo, 0xf000, v16
	v_lshlrev_b32_e32 v10, 3, v13
	v_lshlrev_b32_e32 v11, 3, v14
	v_add_co_ci_u32_e32 v7, vcc_lo, 0, v17, vcc_lo
	s_clause 0x7
	global_load_b64 v[70:71], v8, s[0:1]
	global_load_b64 v[72:73], v[0:1], off
	global_load_b64 v[74:75], v9, s[0:1]
	global_load_b64 v[76:77], v[2:3], off
	;; [unrolled: 2-line block ×4, first 2 shown]
	s_and_b32 vcc_lo, exec_lo, s50
	s_mov_b32 s39, 0
	s_waitcnt vmcnt(31)
	v_cvt_f32_f16_e32 v40, v109
	s_waitcnt vmcnt(15)
	v_cvt_f16_f32_e32 v0, v44
	s_delay_alu instid0(VALU_DEP_1)
	v_cvt_f32_f16_e32 v44, v0
	s_cbranch_vccz .LBB43_5
; %bb.4:
	v_mov_b32_e32 v0, v40
	s_delay_alu instid0(VALU_DEP_2) | instskip(SKIP_3) | instid1(SALU_CYCLE_1)
	v_mov_b32_e32 v1, v44
	s_getpc_b64 s[0:1]
	s_add_u32 s0, s0, _ZN12_GLOBAL__N_111calc_igammaIfEET_S1_S1_@rel32@lo+4
	s_addc_u32 s1, s1, _ZN12_GLOBAL__N_111calc_igammaIfEET_S1_S1_@rel32@hi+12
	s_swappc_b64 s[30:31], s[0:1]
	v_mov_b32_e32 v43, v0
	s_and_not1_b32 vcc_lo, exec_lo, s39
	s_cbranch_vccz .LBB43_6
	s_branch .LBB43_7
.LBB43_5:
                                        ; implicit-def: $vgpr43
.LBB43_6:
	v_mov_b32_e32 v0, v40
	s_delay_alu instid0(VALU_DEP_2) | instskip(SKIP_3) | instid1(SALU_CYCLE_1)
	v_mov_b32_e32 v1, v44
	s_getpc_b64 s[0:1]
	s_add_u32 s0, s0, _ZN12_GLOBAL__N_112calc_igammacIfEET_S1_S1_@rel32@lo+4
	s_addc_u32 s1, s1, _ZN12_GLOBAL__N_112calc_igammacIfEET_S1_S1_@rel32@hi+12
	s_swappc_b64 s[30:31], s[0:1]
	v_mov_b32_e32 v43, v0
.LBB43_7:
	v_cndmask_b32_e64 v0, 0, 1, s50
	v_lshrrev_b32_e32 v1, 16, v109
	v_cvt_f16_f32_e32 v2, v45
	s_and_not1_b32 vcc_lo, exec_lo, s50
	s_delay_alu instid0(VALU_DEP_3) | instskip(NEXT) | instid1(VALU_DEP_3)
	v_cmp_ne_u32_e64 s39, 1, v0
	v_cvt_f32_f16_e32 v40, v1
	s_delay_alu instid0(VALU_DEP_3)
	v_cvt_f32_f16_e32 v45, v2
	s_cbranch_vccnz .LBB43_9
; %bb.8:
	s_delay_alu instid0(VALU_DEP_1) | instskip(SKIP_3) | instid1(SALU_CYCLE_1)
	v_dual_mov_b32 v0, v40 :: v_dual_mov_b32 v1, v45
	s_getpc_b64 s[0:1]
	s_add_u32 s0, s0, _ZN12_GLOBAL__N_111calc_igammaIfEET_S1_S1_@rel32@lo+4
	s_addc_u32 s1, s1, _ZN12_GLOBAL__N_111calc_igammaIfEET_S1_S1_@rel32@hi+12
	s_swappc_b64 s[30:31], s[0:1]
	v_mov_b32_e32 v44, v0
	s_cbranch_execz .LBB43_10
	s_branch .LBB43_11
.LBB43_9:
                                        ; implicit-def: $vgpr44
.LBB43_10:
	s_delay_alu instid0(VALU_DEP_1) | instskip(SKIP_3) | instid1(SALU_CYCLE_1)
	v_dual_mov_b32 v0, v40 :: v_dual_mov_b32 v1, v45
	s_getpc_b64 s[0:1]
	s_add_u32 s0, s0, _ZN12_GLOBAL__N_112calc_igammacIfEET_S1_S1_@rel32@lo+4
	s_addc_u32 s1, s1, _ZN12_GLOBAL__N_112calc_igammacIfEET_S1_S1_@rel32@hi+12
	s_swappc_b64 s[30:31], s[0:1]
	v_mov_b32_e32 v44, v0
.LBB43_11:
	s_waitcnt vmcnt(14)
	v_cvt_f16_f32_e32 v0, v46
	v_cvt_f32_f16_e32 v40, v108
	s_and_b32 vcc_lo, exec_lo, s39
	s_delay_alu instid0(VALU_DEP_2)
	v_cvt_f32_f16_e32 v46, v0
	s_cbranch_vccnz .LBB43_13
; %bb.12:
	s_delay_alu instid0(VALU_DEP_1) | instskip(SKIP_3) | instid1(SALU_CYCLE_1)
	v_dual_mov_b32 v0, v40 :: v_dual_mov_b32 v1, v46
	s_getpc_b64 s[0:1]
	s_add_u32 s0, s0, _ZN12_GLOBAL__N_111calc_igammaIfEET_S1_S1_@rel32@lo+4
	s_addc_u32 s1, s1, _ZN12_GLOBAL__N_111calc_igammaIfEET_S1_S1_@rel32@hi+12
	s_swappc_b64 s[30:31], s[0:1]
	v_mov_b32_e32 v45, v0
	s_cbranch_execz .LBB43_14
	s_branch .LBB43_15
.LBB43_13:
                                        ; implicit-def: $vgpr45
.LBB43_14:
	s_delay_alu instid0(VALU_DEP_1) | instskip(SKIP_3) | instid1(SALU_CYCLE_1)
	v_dual_mov_b32 v0, v40 :: v_dual_mov_b32 v1, v46
	s_getpc_b64 s[0:1]
	s_add_u32 s0, s0, _ZN12_GLOBAL__N_112calc_igammacIfEET_S1_S1_@rel32@lo+4
	s_addc_u32 s1, s1, _ZN12_GLOBAL__N_112calc_igammacIfEET_S1_S1_@rel32@hi+12
	s_swappc_b64 s[30:31], s[0:1]
	v_mov_b32_e32 v45, v0
.LBB43_15:
	v_lshrrev_b32_e32 v0, 16, v108
	v_cvt_f16_f32_e32 v1, v47
	s_and_b32 vcc_lo, exec_lo, s39
	s_delay_alu instid0(VALU_DEP_2) | instskip(NEXT) | instid1(VALU_DEP_2)
	v_cvt_f32_f16_e32 v40, v0
	v_cvt_f32_f16_e32 v47, v1
	s_cbranch_vccnz .LBB43_17
; %bb.16:
	s_delay_alu instid0(VALU_DEP_1) | instskip(SKIP_3) | instid1(SALU_CYCLE_1)
	v_dual_mov_b32 v0, v40 :: v_dual_mov_b32 v1, v47
	s_getpc_b64 s[0:1]
	s_add_u32 s0, s0, _ZN12_GLOBAL__N_111calc_igammaIfEET_S1_S1_@rel32@lo+4
	s_addc_u32 s1, s1, _ZN12_GLOBAL__N_111calc_igammaIfEET_S1_S1_@rel32@hi+12
	s_swappc_b64 s[30:31], s[0:1]
	v_mov_b32_e32 v46, v0
	s_cbranch_execz .LBB43_18
	s_branch .LBB43_19
.LBB43_17:
                                        ; implicit-def: $vgpr46
.LBB43_18:
	s_delay_alu instid0(VALU_DEP_1) | instskip(SKIP_3) | instid1(SALU_CYCLE_1)
	v_dual_mov_b32 v0, v40 :: v_dual_mov_b32 v1, v47
	s_getpc_b64 s[0:1]
	s_add_u32 s0, s0, _ZN12_GLOBAL__N_112calc_igammacIfEET_S1_S1_@rel32@lo+4
	s_addc_u32 s1, s1, _ZN12_GLOBAL__N_112calc_igammacIfEET_S1_S1_@rel32@hi+12
	s_swappc_b64 s[30:31], s[0:1]
	v_mov_b32_e32 v46, v0
.LBB43_19:
	s_waitcnt vmcnt(13)
	v_cvt_f16_f32_e32 v0, v56
	v_cvt_f32_f16_e32 v40, v107
	s_and_b32 vcc_lo, exec_lo, s39
	s_delay_alu instid0(VALU_DEP_2)
	v_cvt_f32_f16_e32 v56, v0
	s_cbranch_vccnz .LBB43_21
; %bb.20:
	s_delay_alu instid0(VALU_DEP_2) | instskip(NEXT) | instid1(VALU_DEP_2)
	v_mov_b32_e32 v0, v40
	v_mov_b32_e32 v1, v56
	s_getpc_b64 s[0:1]
	s_add_u32 s0, s0, _ZN12_GLOBAL__N_111calc_igammaIfEET_S1_S1_@rel32@lo+4
	s_addc_u32 s1, s1, _ZN12_GLOBAL__N_111calc_igammaIfEET_S1_S1_@rel32@hi+12
	s_delay_alu instid0(SALU_CYCLE_1)
	s_swappc_b64 s[30:31], s[0:1]
	v_mov_b32_e32 v47, v0
	s_cbranch_execz .LBB43_22
	s_branch .LBB43_23
.LBB43_21:
                                        ; implicit-def: $vgpr47
.LBB43_22:
	s_delay_alu instid0(VALU_DEP_2) | instskip(NEXT) | instid1(VALU_DEP_2)
	v_mov_b32_e32 v0, v40
	v_mov_b32_e32 v1, v56
	s_getpc_b64 s[0:1]
	s_add_u32 s0, s0, _ZN12_GLOBAL__N_112calc_igammacIfEET_S1_S1_@rel32@lo+4
	s_addc_u32 s1, s1, _ZN12_GLOBAL__N_112calc_igammacIfEET_S1_S1_@rel32@hi+12
	s_delay_alu instid0(SALU_CYCLE_1)
	s_swappc_b64 s[30:31], s[0:1]
	v_mov_b32_e32 v47, v0
.LBB43_23:
	v_lshrrev_b32_e32 v0, 16, v107
	v_cvt_f16_f32_e32 v1, v57
	s_and_b32 vcc_lo, exec_lo, s39
	s_delay_alu instid0(VALU_DEP_2) | instskip(NEXT) | instid1(VALU_DEP_2)
	v_cvt_f32_f16_e32 v40, v0
	v_cvt_f32_f16_e32 v57, v1
	s_cbranch_vccnz .LBB43_25
; %bb.24:
	s_delay_alu instid0(VALU_DEP_1) | instskip(SKIP_3) | instid1(SALU_CYCLE_1)
	v_dual_mov_b32 v0, v40 :: v_dual_mov_b32 v1, v57
	s_getpc_b64 s[0:1]
	s_add_u32 s0, s0, _ZN12_GLOBAL__N_111calc_igammaIfEET_S1_S1_@rel32@lo+4
	s_addc_u32 s1, s1, _ZN12_GLOBAL__N_111calc_igammaIfEET_S1_S1_@rel32@hi+12
	s_swappc_b64 s[30:31], s[0:1]
	v_mov_b32_e32 v56, v0
	s_cbranch_execz .LBB43_26
	s_branch .LBB43_27
.LBB43_25:
                                        ; implicit-def: $vgpr56
.LBB43_26:
	s_delay_alu instid0(VALU_DEP_1) | instskip(SKIP_3) | instid1(SALU_CYCLE_1)
	v_dual_mov_b32 v0, v40 :: v_dual_mov_b32 v1, v57
	s_getpc_b64 s[0:1]
	s_add_u32 s0, s0, _ZN12_GLOBAL__N_112calc_igammacIfEET_S1_S1_@rel32@lo+4
	s_addc_u32 s1, s1, _ZN12_GLOBAL__N_112calc_igammacIfEET_S1_S1_@rel32@hi+12
	s_swappc_b64 s[30:31], s[0:1]
	v_mov_b32_e32 v56, v0
.LBB43_27:
	s_waitcnt vmcnt(12)
	v_cvt_f16_f32_e32 v0, v58
	v_cvt_f32_f16_e32 v40, v106
	s_and_b32 vcc_lo, exec_lo, s39
	s_delay_alu instid0(VALU_DEP_2)
	v_cvt_f32_f16_e32 v58, v0
	s_cbranch_vccnz .LBB43_29
; %bb.28:
	s_delay_alu instid0(VALU_DEP_1) | instskip(SKIP_3) | instid1(SALU_CYCLE_1)
	v_dual_mov_b32 v0, v40 :: v_dual_mov_b32 v1, v58
	s_getpc_b64 s[0:1]
	s_add_u32 s0, s0, _ZN12_GLOBAL__N_111calc_igammaIfEET_S1_S1_@rel32@lo+4
	s_addc_u32 s1, s1, _ZN12_GLOBAL__N_111calc_igammaIfEET_S1_S1_@rel32@hi+12
	s_swappc_b64 s[30:31], s[0:1]
	v_mov_b32_e32 v57, v0
	s_cbranch_execz .LBB43_30
	s_branch .LBB43_31
.LBB43_29:
                                        ; implicit-def: $vgpr57
.LBB43_30:
	s_delay_alu instid0(VALU_DEP_1) | instskip(SKIP_3) | instid1(SALU_CYCLE_1)
	v_dual_mov_b32 v0, v40 :: v_dual_mov_b32 v1, v58
	s_getpc_b64 s[0:1]
	s_add_u32 s0, s0, _ZN12_GLOBAL__N_112calc_igammacIfEET_S1_S1_@rel32@lo+4
	s_addc_u32 s1, s1, _ZN12_GLOBAL__N_112calc_igammacIfEET_S1_S1_@rel32@hi+12
	s_swappc_b64 s[30:31], s[0:1]
	v_mov_b32_e32 v57, v0
.LBB43_31:
	v_lshrrev_b32_e32 v0, 16, v106
	v_cvt_f16_f32_e32 v1, v59
	s_and_b32 vcc_lo, exec_lo, s39
	s_delay_alu instid0(VALU_DEP_2) | instskip(NEXT) | instid1(VALU_DEP_2)
	v_cvt_f32_f16_e32 v40, v0
	v_cvt_f32_f16_e32 v59, v1
	s_cbranch_vccnz .LBB43_33
; %bb.32:
	s_delay_alu instid0(VALU_DEP_1) | instskip(SKIP_3) | instid1(SALU_CYCLE_1)
	v_dual_mov_b32 v0, v40 :: v_dual_mov_b32 v1, v59
	s_getpc_b64 s[0:1]
	s_add_u32 s0, s0, _ZN12_GLOBAL__N_111calc_igammaIfEET_S1_S1_@rel32@lo+4
	s_addc_u32 s1, s1, _ZN12_GLOBAL__N_111calc_igammaIfEET_S1_S1_@rel32@hi+12
	s_swappc_b64 s[30:31], s[0:1]
	v_mov_b32_e32 v58, v0
	s_cbranch_execz .LBB43_34
	s_branch .LBB43_35
.LBB43_33:
                                        ; implicit-def: $vgpr58
.LBB43_34:
	s_delay_alu instid0(VALU_DEP_1) | instskip(SKIP_3) | instid1(SALU_CYCLE_1)
	v_dual_mov_b32 v0, v40 :: v_dual_mov_b32 v1, v59
	s_getpc_b64 s[0:1]
	s_add_u32 s0, s0, _ZN12_GLOBAL__N_112calc_igammacIfEET_S1_S1_@rel32@lo+4
	s_addc_u32 s1, s1, _ZN12_GLOBAL__N_112calc_igammacIfEET_S1_S1_@rel32@hi+12
	s_swappc_b64 s[30:31], s[0:1]
	v_mov_b32_e32 v58, v0
.LBB43_35:
	s_waitcnt vmcnt(11)
	v_cvt_f16_f32_e32 v0, v60
	v_cvt_f32_f16_e32 v40, v105
	s_and_b32 vcc_lo, exec_lo, s39
	s_delay_alu instid0(VALU_DEP_2)
	v_cvt_f32_f16_e32 v60, v0
	s_cbranch_vccnz .LBB43_37
; %bb.36:
	s_delay_alu instid0(VALU_DEP_2) | instskip(NEXT) | instid1(VALU_DEP_2)
	v_mov_b32_e32 v0, v40
	v_mov_b32_e32 v1, v60
	s_getpc_b64 s[0:1]
	s_add_u32 s0, s0, _ZN12_GLOBAL__N_111calc_igammaIfEET_S1_S1_@rel32@lo+4
	s_addc_u32 s1, s1, _ZN12_GLOBAL__N_111calc_igammaIfEET_S1_S1_@rel32@hi+12
	s_delay_alu instid0(SALU_CYCLE_1)
	s_swappc_b64 s[30:31], s[0:1]
	v_mov_b32_e32 v59, v0
	s_cbranch_execz .LBB43_38
	s_branch .LBB43_39
.LBB43_37:
                                        ; implicit-def: $vgpr59
.LBB43_38:
	s_delay_alu instid0(VALU_DEP_2) | instskip(NEXT) | instid1(VALU_DEP_2)
	v_mov_b32_e32 v0, v40
	v_mov_b32_e32 v1, v60
	s_getpc_b64 s[0:1]
	s_add_u32 s0, s0, _ZN12_GLOBAL__N_112calc_igammacIfEET_S1_S1_@rel32@lo+4
	s_addc_u32 s1, s1, _ZN12_GLOBAL__N_112calc_igammacIfEET_S1_S1_@rel32@hi+12
	s_delay_alu instid0(SALU_CYCLE_1)
	s_swappc_b64 s[30:31], s[0:1]
	v_mov_b32_e32 v59, v0
.LBB43_39:
	v_lshrrev_b32_e32 v0, 16, v105
	v_cvt_f16_f32_e32 v1, v61
	s_and_b32 vcc_lo, exec_lo, s39
	s_delay_alu instid0(VALU_DEP_2) | instskip(NEXT) | instid1(VALU_DEP_2)
	v_cvt_f32_f16_e32 v40, v0
	v_cvt_f32_f16_e32 v61, v1
	s_cbranch_vccnz .LBB43_41
; %bb.40:
	s_delay_alu instid0(VALU_DEP_1) | instskip(SKIP_3) | instid1(SALU_CYCLE_1)
	v_dual_mov_b32 v0, v40 :: v_dual_mov_b32 v1, v61
	s_getpc_b64 s[0:1]
	s_add_u32 s0, s0, _ZN12_GLOBAL__N_111calc_igammaIfEET_S1_S1_@rel32@lo+4
	s_addc_u32 s1, s1, _ZN12_GLOBAL__N_111calc_igammaIfEET_S1_S1_@rel32@hi+12
	s_swappc_b64 s[30:31], s[0:1]
	v_mov_b32_e32 v60, v0
	s_cbranch_execz .LBB43_42
	s_branch .LBB43_43
.LBB43_41:
                                        ; implicit-def: $vgpr60
.LBB43_42:
	s_delay_alu instid0(VALU_DEP_1) | instskip(SKIP_3) | instid1(SALU_CYCLE_1)
	v_dual_mov_b32 v0, v40 :: v_dual_mov_b32 v1, v61
	s_getpc_b64 s[0:1]
	s_add_u32 s0, s0, _ZN12_GLOBAL__N_112calc_igammacIfEET_S1_S1_@rel32@lo+4
	s_addc_u32 s1, s1, _ZN12_GLOBAL__N_112calc_igammacIfEET_S1_S1_@rel32@hi+12
	s_swappc_b64 s[30:31], s[0:1]
	v_mov_b32_e32 v60, v0
.LBB43_43:
	s_waitcnt vmcnt(10)
	v_cvt_f16_f32_e32 v0, v62
	v_cvt_f32_f16_e32 v40, v104
	s_and_b32 vcc_lo, exec_lo, s39
	s_delay_alu instid0(VALU_DEP_2)
	v_cvt_f32_f16_e32 v62, v0
	s_cbranch_vccnz .LBB43_45
; %bb.44:
	s_delay_alu instid0(VALU_DEP_1) | instskip(SKIP_3) | instid1(SALU_CYCLE_1)
	v_dual_mov_b32 v0, v40 :: v_dual_mov_b32 v1, v62
	s_getpc_b64 s[0:1]
	s_add_u32 s0, s0, _ZN12_GLOBAL__N_111calc_igammaIfEET_S1_S1_@rel32@lo+4
	s_addc_u32 s1, s1, _ZN12_GLOBAL__N_111calc_igammaIfEET_S1_S1_@rel32@hi+12
	s_swappc_b64 s[30:31], s[0:1]
	v_mov_b32_e32 v61, v0
	s_cbranch_execz .LBB43_46
	s_branch .LBB43_47
.LBB43_45:
                                        ; implicit-def: $vgpr61
.LBB43_46:
	s_delay_alu instid0(VALU_DEP_1) | instskip(SKIP_3) | instid1(SALU_CYCLE_1)
	v_dual_mov_b32 v0, v40 :: v_dual_mov_b32 v1, v62
	s_getpc_b64 s[0:1]
	s_add_u32 s0, s0, _ZN12_GLOBAL__N_112calc_igammacIfEET_S1_S1_@rel32@lo+4
	s_addc_u32 s1, s1, _ZN12_GLOBAL__N_112calc_igammacIfEET_S1_S1_@rel32@hi+12
	s_swappc_b64 s[30:31], s[0:1]
	v_mov_b32_e32 v61, v0
.LBB43_47:
	v_lshrrev_b32_e32 v0, 16, v104
	v_cvt_f16_f32_e32 v1, v63
	s_and_b32 vcc_lo, exec_lo, s39
	s_delay_alu instid0(VALU_DEP_2) | instskip(NEXT) | instid1(VALU_DEP_2)
	v_cvt_f32_f16_e32 v40, v0
	v_cvt_f32_f16_e32 v63, v1
	s_cbranch_vccnz .LBB43_49
; %bb.48:
	s_delay_alu instid0(VALU_DEP_1) | instskip(SKIP_3) | instid1(SALU_CYCLE_1)
	v_dual_mov_b32 v0, v40 :: v_dual_mov_b32 v1, v63
	s_getpc_b64 s[0:1]
	s_add_u32 s0, s0, _ZN12_GLOBAL__N_111calc_igammaIfEET_S1_S1_@rel32@lo+4
	s_addc_u32 s1, s1, _ZN12_GLOBAL__N_111calc_igammaIfEET_S1_S1_@rel32@hi+12
	s_swappc_b64 s[30:31], s[0:1]
	v_mov_b32_e32 v62, v0
	s_cbranch_execz .LBB43_50
	s_branch .LBB43_51
.LBB43_49:
                                        ; implicit-def: $vgpr62
.LBB43_50:
	s_delay_alu instid0(VALU_DEP_1) | instskip(SKIP_3) | instid1(SALU_CYCLE_1)
	v_dual_mov_b32 v0, v40 :: v_dual_mov_b32 v1, v63
	s_getpc_b64 s[0:1]
	s_add_u32 s0, s0, _ZN12_GLOBAL__N_112calc_igammacIfEET_S1_S1_@rel32@lo+4
	s_addc_u32 s1, s1, _ZN12_GLOBAL__N_112calc_igammacIfEET_S1_S1_@rel32@hi+12
	s_swappc_b64 s[30:31], s[0:1]
	v_mov_b32_e32 v62, v0
.LBB43_51:
	s_waitcnt vmcnt(9)
	v_cvt_f16_f32_e32 v0, v66
	v_cvt_f32_f16_e32 v40, v103
	s_and_b32 vcc_lo, exec_lo, s39
	s_delay_alu instid0(VALU_DEP_2)
	v_cvt_f32_f16_e32 v66, v0
	s_cbranch_vccnz .LBB43_53
; %bb.52:
	s_delay_alu instid0(VALU_DEP_1) | instskip(SKIP_3) | instid1(SALU_CYCLE_1)
	v_dual_mov_b32 v0, v40 :: v_dual_mov_b32 v1, v66
	s_getpc_b64 s[0:1]
	s_add_u32 s0, s0, _ZN12_GLOBAL__N_111calc_igammaIfEET_S1_S1_@rel32@lo+4
	s_addc_u32 s1, s1, _ZN12_GLOBAL__N_111calc_igammaIfEET_S1_S1_@rel32@hi+12
	s_swappc_b64 s[30:31], s[0:1]
	v_mov_b32_e32 v63, v0
	s_cbranch_execz .LBB43_54
	s_branch .LBB43_55
.LBB43_53:
                                        ; implicit-def: $vgpr63
.LBB43_54:
	s_delay_alu instid0(VALU_DEP_1) | instskip(SKIP_3) | instid1(SALU_CYCLE_1)
	v_dual_mov_b32 v0, v40 :: v_dual_mov_b32 v1, v66
	s_getpc_b64 s[0:1]
	s_add_u32 s0, s0, _ZN12_GLOBAL__N_112calc_igammacIfEET_S1_S1_@rel32@lo+4
	s_addc_u32 s1, s1, _ZN12_GLOBAL__N_112calc_igammacIfEET_S1_S1_@rel32@hi+12
	s_swappc_b64 s[30:31], s[0:1]
	v_mov_b32_e32 v63, v0
.LBB43_55:
	v_lshrrev_b32_e32 v0, 16, v103
	v_cvt_f16_f32_e32 v1, v67
	s_and_b32 vcc_lo, exec_lo, s39
	s_delay_alu instid0(VALU_DEP_2) | instskip(NEXT) | instid1(VALU_DEP_2)
	v_cvt_f32_f16_e32 v40, v0
	v_cvt_f32_f16_e32 v67, v1
	s_cbranch_vccnz .LBB43_57
; %bb.56:
	s_delay_alu instid0(VALU_DEP_1) | instskip(SKIP_3) | instid1(SALU_CYCLE_1)
	v_dual_mov_b32 v0, v40 :: v_dual_mov_b32 v1, v67
	s_getpc_b64 s[0:1]
	s_add_u32 s0, s0, _ZN12_GLOBAL__N_111calc_igammaIfEET_S1_S1_@rel32@lo+4
	s_addc_u32 s1, s1, _ZN12_GLOBAL__N_111calc_igammaIfEET_S1_S1_@rel32@hi+12
	s_swappc_b64 s[30:31], s[0:1]
	v_mov_b32_e32 v66, v0
	s_cbranch_execz .LBB43_58
	s_branch .LBB43_59
.LBB43_57:
                                        ; implicit-def: $vgpr66
.LBB43_58:
	s_delay_alu instid0(VALU_DEP_1) | instskip(SKIP_3) | instid1(SALU_CYCLE_1)
	v_dual_mov_b32 v0, v40 :: v_dual_mov_b32 v1, v67
	s_getpc_b64 s[0:1]
	s_add_u32 s0, s0, _ZN12_GLOBAL__N_112calc_igammacIfEET_S1_S1_@rel32@lo+4
	s_addc_u32 s1, s1, _ZN12_GLOBAL__N_112calc_igammacIfEET_S1_S1_@rel32@hi+12
	s_swappc_b64 s[30:31], s[0:1]
	v_mov_b32_e32 v66, v0
.LBB43_59:
	s_waitcnt vmcnt(8)
	v_cvt_f16_f32_e32 v0, v68
	v_cvt_f32_f16_e32 v40, v102
	s_and_b32 vcc_lo, exec_lo, s39
	s_delay_alu instid0(VALU_DEP_2)
	v_cvt_f32_f16_e32 v68, v0
	s_cbranch_vccnz .LBB43_61
; %bb.60:
	s_delay_alu instid0(VALU_DEP_2) | instskip(NEXT) | instid1(VALU_DEP_2)
	v_mov_b32_e32 v0, v40
	v_mov_b32_e32 v1, v68
	s_getpc_b64 s[0:1]
	s_add_u32 s0, s0, _ZN12_GLOBAL__N_111calc_igammaIfEET_S1_S1_@rel32@lo+4
	s_addc_u32 s1, s1, _ZN12_GLOBAL__N_111calc_igammaIfEET_S1_S1_@rel32@hi+12
	s_delay_alu instid0(SALU_CYCLE_1)
	s_swappc_b64 s[30:31], s[0:1]
	v_mov_b32_e32 v67, v0
	s_cbranch_execz .LBB43_62
	s_branch .LBB43_63
.LBB43_61:
                                        ; implicit-def: $vgpr67
.LBB43_62:
	s_delay_alu instid0(VALU_DEP_2) | instskip(NEXT) | instid1(VALU_DEP_2)
	v_mov_b32_e32 v0, v40
	v_mov_b32_e32 v1, v68
	s_getpc_b64 s[0:1]
	s_add_u32 s0, s0, _ZN12_GLOBAL__N_112calc_igammacIfEET_S1_S1_@rel32@lo+4
	s_addc_u32 s1, s1, _ZN12_GLOBAL__N_112calc_igammacIfEET_S1_S1_@rel32@hi+12
	s_delay_alu instid0(SALU_CYCLE_1)
	s_swappc_b64 s[30:31], s[0:1]
	v_mov_b32_e32 v67, v0
.LBB43_63:
	v_lshrrev_b32_e32 v0, 16, v102
	v_cvt_f16_f32_e32 v1, v69
	s_and_b32 vcc_lo, exec_lo, s39
	s_delay_alu instid0(VALU_DEP_2) | instskip(NEXT) | instid1(VALU_DEP_2)
	v_cvt_f32_f16_e32 v40, v0
	v_cvt_f32_f16_e32 v69, v1
	s_cbranch_vccnz .LBB43_65
; %bb.64:
	s_delay_alu instid0(VALU_DEP_1) | instskip(SKIP_3) | instid1(SALU_CYCLE_1)
	v_dual_mov_b32 v0, v40 :: v_dual_mov_b32 v1, v69
	s_getpc_b64 s[0:1]
	s_add_u32 s0, s0, _ZN12_GLOBAL__N_111calc_igammaIfEET_S1_S1_@rel32@lo+4
	s_addc_u32 s1, s1, _ZN12_GLOBAL__N_111calc_igammaIfEET_S1_S1_@rel32@hi+12
	s_swappc_b64 s[30:31], s[0:1]
	v_mov_b32_e32 v68, v0
	s_cbranch_execz .LBB43_66
	s_branch .LBB43_67
.LBB43_65:
                                        ; implicit-def: $vgpr68
.LBB43_66:
	s_delay_alu instid0(VALU_DEP_1) | instskip(SKIP_3) | instid1(SALU_CYCLE_1)
	v_dual_mov_b32 v0, v40 :: v_dual_mov_b32 v1, v69
	s_getpc_b64 s[0:1]
	s_add_u32 s0, s0, _ZN12_GLOBAL__N_112calc_igammacIfEET_S1_S1_@rel32@lo+4
	s_addc_u32 s1, s1, _ZN12_GLOBAL__N_112calc_igammacIfEET_S1_S1_@rel32@hi+12
	s_swappc_b64 s[30:31], s[0:1]
	v_mov_b32_e32 v68, v0
.LBB43_67:
	s_waitcnt vmcnt(7)
	v_cvt_f16_f32_e32 v0, v70
	v_cvt_f32_f16_e32 v40, v101
	s_and_b32 vcc_lo, exec_lo, s39
	s_delay_alu instid0(VALU_DEP_2)
	v_cvt_f32_f16_e32 v70, v0
	s_cbranch_vccnz .LBB43_69
; %bb.68:
	s_delay_alu instid0(VALU_DEP_1) | instskip(SKIP_3) | instid1(SALU_CYCLE_1)
	v_dual_mov_b32 v0, v40 :: v_dual_mov_b32 v1, v70
	s_getpc_b64 s[0:1]
	s_add_u32 s0, s0, _ZN12_GLOBAL__N_111calc_igammaIfEET_S1_S1_@rel32@lo+4
	s_addc_u32 s1, s1, _ZN12_GLOBAL__N_111calc_igammaIfEET_S1_S1_@rel32@hi+12
	s_swappc_b64 s[30:31], s[0:1]
	v_mov_b32_e32 v69, v0
	s_cbranch_execz .LBB43_70
	s_branch .LBB43_71
.LBB43_69:
                                        ; implicit-def: $vgpr69
.LBB43_70:
	s_delay_alu instid0(VALU_DEP_1) | instskip(SKIP_3) | instid1(SALU_CYCLE_1)
	v_dual_mov_b32 v0, v40 :: v_dual_mov_b32 v1, v70
	s_getpc_b64 s[0:1]
	s_add_u32 s0, s0, _ZN12_GLOBAL__N_112calc_igammacIfEET_S1_S1_@rel32@lo+4
	s_addc_u32 s1, s1, _ZN12_GLOBAL__N_112calc_igammacIfEET_S1_S1_@rel32@hi+12
	s_swappc_b64 s[30:31], s[0:1]
	v_mov_b32_e32 v69, v0
.LBB43_71:
	v_lshrrev_b32_e32 v0, 16, v101
	v_cvt_f16_f32_e32 v1, v71
	s_and_b32 vcc_lo, exec_lo, s39
	s_delay_alu instid0(VALU_DEP_2) | instskip(NEXT) | instid1(VALU_DEP_2)
	v_cvt_f32_f16_e32 v40, v0
	v_cvt_f32_f16_e32 v71, v1
	s_cbranch_vccnz .LBB43_73
; %bb.72:
	s_delay_alu instid0(VALU_DEP_1) | instskip(SKIP_3) | instid1(SALU_CYCLE_1)
	v_dual_mov_b32 v0, v40 :: v_dual_mov_b32 v1, v71
	s_getpc_b64 s[0:1]
	s_add_u32 s0, s0, _ZN12_GLOBAL__N_111calc_igammaIfEET_S1_S1_@rel32@lo+4
	s_addc_u32 s1, s1, _ZN12_GLOBAL__N_111calc_igammaIfEET_S1_S1_@rel32@hi+12
	s_swappc_b64 s[30:31], s[0:1]
	v_mov_b32_e32 v70, v0
	s_cbranch_execz .LBB43_74
	s_branch .LBB43_75
.LBB43_73:
                                        ; implicit-def: $vgpr70
.LBB43_74:
	s_delay_alu instid0(VALU_DEP_1) | instskip(SKIP_3) | instid1(SALU_CYCLE_1)
	v_dual_mov_b32 v0, v40 :: v_dual_mov_b32 v1, v71
	s_getpc_b64 s[0:1]
	s_add_u32 s0, s0, _ZN12_GLOBAL__N_112calc_igammacIfEET_S1_S1_@rel32@lo+4
	s_addc_u32 s1, s1, _ZN12_GLOBAL__N_112calc_igammacIfEET_S1_S1_@rel32@hi+12
	s_swappc_b64 s[30:31], s[0:1]
	v_mov_b32_e32 v70, v0
.LBB43_75:
	s_waitcnt vmcnt(6)
	v_cvt_f16_f32_e32 v0, v72
	v_cvt_f32_f16_e32 v40, v100
	s_and_b32 vcc_lo, exec_lo, s39
	s_delay_alu instid0(VALU_DEP_2)
	v_cvt_f32_f16_e32 v72, v0
	s_cbranch_vccnz .LBB43_77
; %bb.76:
	s_delay_alu instid0(VALU_DEP_2) | instskip(NEXT) | instid1(VALU_DEP_2)
	v_mov_b32_e32 v0, v40
	v_mov_b32_e32 v1, v72
	s_getpc_b64 s[0:1]
	s_add_u32 s0, s0, _ZN12_GLOBAL__N_111calc_igammaIfEET_S1_S1_@rel32@lo+4
	s_addc_u32 s1, s1, _ZN12_GLOBAL__N_111calc_igammaIfEET_S1_S1_@rel32@hi+12
	s_delay_alu instid0(SALU_CYCLE_1)
	s_swappc_b64 s[30:31], s[0:1]
	v_mov_b32_e32 v71, v0
	s_cbranch_execz .LBB43_78
	s_branch .LBB43_79
.LBB43_77:
                                        ; implicit-def: $vgpr71
.LBB43_78:
	s_delay_alu instid0(VALU_DEP_2) | instskip(NEXT) | instid1(VALU_DEP_2)
	v_mov_b32_e32 v0, v40
	v_mov_b32_e32 v1, v72
	s_getpc_b64 s[0:1]
	s_add_u32 s0, s0, _ZN12_GLOBAL__N_112calc_igammacIfEET_S1_S1_@rel32@lo+4
	s_addc_u32 s1, s1, _ZN12_GLOBAL__N_112calc_igammacIfEET_S1_S1_@rel32@hi+12
	s_delay_alu instid0(SALU_CYCLE_1)
	s_swappc_b64 s[30:31], s[0:1]
	v_mov_b32_e32 v71, v0
.LBB43_79:
	v_lshrrev_b32_e32 v0, 16, v100
	v_cvt_f16_f32_e32 v1, v73
	s_and_b32 vcc_lo, exec_lo, s39
	s_delay_alu instid0(VALU_DEP_2) | instskip(NEXT) | instid1(VALU_DEP_2)
	v_cvt_f32_f16_e32 v40, v0
	v_cvt_f32_f16_e32 v73, v1
	s_cbranch_vccnz .LBB43_81
; %bb.80:
	s_delay_alu instid0(VALU_DEP_1) | instskip(SKIP_3) | instid1(SALU_CYCLE_1)
	v_dual_mov_b32 v0, v40 :: v_dual_mov_b32 v1, v73
	s_getpc_b64 s[0:1]
	s_add_u32 s0, s0, _ZN12_GLOBAL__N_111calc_igammaIfEET_S1_S1_@rel32@lo+4
	s_addc_u32 s1, s1, _ZN12_GLOBAL__N_111calc_igammaIfEET_S1_S1_@rel32@hi+12
	s_swappc_b64 s[30:31], s[0:1]
	v_mov_b32_e32 v72, v0
	s_cbranch_execz .LBB43_82
	s_branch .LBB43_83
.LBB43_81:
                                        ; implicit-def: $vgpr72
.LBB43_82:
	s_delay_alu instid0(VALU_DEP_1) | instskip(SKIP_3) | instid1(SALU_CYCLE_1)
	v_dual_mov_b32 v0, v40 :: v_dual_mov_b32 v1, v73
	s_getpc_b64 s[0:1]
	s_add_u32 s0, s0, _ZN12_GLOBAL__N_112calc_igammacIfEET_S1_S1_@rel32@lo+4
	s_addc_u32 s1, s1, _ZN12_GLOBAL__N_112calc_igammacIfEET_S1_S1_@rel32@hi+12
	s_swappc_b64 s[30:31], s[0:1]
	v_mov_b32_e32 v72, v0
.LBB43_83:
	s_waitcnt vmcnt(5)
	v_cvt_f16_f32_e32 v0, v74
	v_cvt_f32_f16_e32 v40, v99
	s_and_b32 vcc_lo, exec_lo, s39
	s_delay_alu instid0(VALU_DEP_2)
	v_cvt_f32_f16_e32 v74, v0
	s_cbranch_vccnz .LBB43_85
; %bb.84:
	s_delay_alu instid0(VALU_DEP_1) | instskip(SKIP_3) | instid1(SALU_CYCLE_1)
	v_dual_mov_b32 v0, v40 :: v_dual_mov_b32 v1, v74
	s_getpc_b64 s[0:1]
	s_add_u32 s0, s0, _ZN12_GLOBAL__N_111calc_igammaIfEET_S1_S1_@rel32@lo+4
	s_addc_u32 s1, s1, _ZN12_GLOBAL__N_111calc_igammaIfEET_S1_S1_@rel32@hi+12
	s_swappc_b64 s[30:31], s[0:1]
	v_mov_b32_e32 v73, v0
	s_cbranch_execz .LBB43_86
	s_branch .LBB43_87
.LBB43_85:
                                        ; implicit-def: $vgpr73
.LBB43_86:
	s_delay_alu instid0(VALU_DEP_1) | instskip(SKIP_3) | instid1(SALU_CYCLE_1)
	v_dual_mov_b32 v0, v40 :: v_dual_mov_b32 v1, v74
	s_getpc_b64 s[0:1]
	s_add_u32 s0, s0, _ZN12_GLOBAL__N_112calc_igammacIfEET_S1_S1_@rel32@lo+4
	s_addc_u32 s1, s1, _ZN12_GLOBAL__N_112calc_igammacIfEET_S1_S1_@rel32@hi+12
	s_swappc_b64 s[30:31], s[0:1]
	v_mov_b32_e32 v73, v0
.LBB43_87:
	v_lshrrev_b32_e32 v0, 16, v99
	v_cvt_f16_f32_e32 v1, v75
	s_and_b32 vcc_lo, exec_lo, s39
	s_delay_alu instid0(VALU_DEP_2) | instskip(NEXT) | instid1(VALU_DEP_2)
	v_cvt_f32_f16_e32 v40, v0
	v_cvt_f32_f16_e32 v75, v1
	s_cbranch_vccnz .LBB43_89
; %bb.88:
	s_delay_alu instid0(VALU_DEP_1) | instskip(SKIP_3) | instid1(SALU_CYCLE_1)
	v_dual_mov_b32 v0, v40 :: v_dual_mov_b32 v1, v75
	s_getpc_b64 s[0:1]
	s_add_u32 s0, s0, _ZN12_GLOBAL__N_111calc_igammaIfEET_S1_S1_@rel32@lo+4
	s_addc_u32 s1, s1, _ZN12_GLOBAL__N_111calc_igammaIfEET_S1_S1_@rel32@hi+12
	s_swappc_b64 s[30:31], s[0:1]
	v_mov_b32_e32 v74, v0
	s_cbranch_execz .LBB43_90
	s_branch .LBB43_91
.LBB43_89:
                                        ; implicit-def: $vgpr74
.LBB43_90:
	s_delay_alu instid0(VALU_DEP_1) | instskip(SKIP_3) | instid1(SALU_CYCLE_1)
	v_dual_mov_b32 v0, v40 :: v_dual_mov_b32 v1, v75
	s_getpc_b64 s[0:1]
	s_add_u32 s0, s0, _ZN12_GLOBAL__N_112calc_igammacIfEET_S1_S1_@rel32@lo+4
	s_addc_u32 s1, s1, _ZN12_GLOBAL__N_112calc_igammacIfEET_S1_S1_@rel32@hi+12
	s_swappc_b64 s[30:31], s[0:1]
	v_mov_b32_e32 v74, v0
.LBB43_91:
	s_waitcnt vmcnt(4)
	v_cvt_f16_f32_e32 v0, v76
	v_cvt_f32_f16_e32 v40, v98
	s_and_b32 vcc_lo, exec_lo, s39
	s_delay_alu instid0(VALU_DEP_2)
	v_cvt_f32_f16_e32 v76, v0
	s_cbranch_vccnz .LBB43_93
; %bb.92:
	s_delay_alu instid0(VALU_DEP_2) | instskip(NEXT) | instid1(VALU_DEP_2)
	v_mov_b32_e32 v0, v40
	v_mov_b32_e32 v1, v76
	s_getpc_b64 s[0:1]
	s_add_u32 s0, s0, _ZN12_GLOBAL__N_111calc_igammaIfEET_S1_S1_@rel32@lo+4
	s_addc_u32 s1, s1, _ZN12_GLOBAL__N_111calc_igammaIfEET_S1_S1_@rel32@hi+12
	s_delay_alu instid0(SALU_CYCLE_1)
	s_swappc_b64 s[30:31], s[0:1]
	v_mov_b32_e32 v75, v0
	s_cbranch_execz .LBB43_94
	s_branch .LBB43_95
.LBB43_93:
                                        ; implicit-def: $vgpr75
.LBB43_94:
	s_delay_alu instid0(VALU_DEP_2) | instskip(NEXT) | instid1(VALU_DEP_2)
	v_mov_b32_e32 v0, v40
	v_mov_b32_e32 v1, v76
	s_getpc_b64 s[0:1]
	s_add_u32 s0, s0, _ZN12_GLOBAL__N_112calc_igammacIfEET_S1_S1_@rel32@lo+4
	s_addc_u32 s1, s1, _ZN12_GLOBAL__N_112calc_igammacIfEET_S1_S1_@rel32@hi+12
	s_delay_alu instid0(SALU_CYCLE_1)
	s_swappc_b64 s[30:31], s[0:1]
	v_mov_b32_e32 v75, v0
.LBB43_95:
	v_lshrrev_b32_e32 v0, 16, v98
	v_cvt_f16_f32_e32 v1, v77
	s_and_b32 vcc_lo, exec_lo, s39
	s_delay_alu instid0(VALU_DEP_2) | instskip(NEXT) | instid1(VALU_DEP_2)
	v_cvt_f32_f16_e32 v40, v0
	v_cvt_f32_f16_e32 v77, v1
	s_cbranch_vccnz .LBB43_97
; %bb.96:
	s_delay_alu instid0(VALU_DEP_1) | instskip(SKIP_3) | instid1(SALU_CYCLE_1)
	v_dual_mov_b32 v0, v40 :: v_dual_mov_b32 v1, v77
	s_getpc_b64 s[0:1]
	s_add_u32 s0, s0, _ZN12_GLOBAL__N_111calc_igammaIfEET_S1_S1_@rel32@lo+4
	s_addc_u32 s1, s1, _ZN12_GLOBAL__N_111calc_igammaIfEET_S1_S1_@rel32@hi+12
	s_swappc_b64 s[30:31], s[0:1]
	v_mov_b32_e32 v76, v0
	s_cbranch_execz .LBB43_98
	s_branch .LBB43_99
.LBB43_97:
                                        ; implicit-def: $vgpr76
.LBB43_98:
	s_delay_alu instid0(VALU_DEP_1) | instskip(SKIP_3) | instid1(SALU_CYCLE_1)
	v_dual_mov_b32 v0, v40 :: v_dual_mov_b32 v1, v77
	s_getpc_b64 s[0:1]
	s_add_u32 s0, s0, _ZN12_GLOBAL__N_112calc_igammacIfEET_S1_S1_@rel32@lo+4
	s_addc_u32 s1, s1, _ZN12_GLOBAL__N_112calc_igammacIfEET_S1_S1_@rel32@hi+12
	s_swappc_b64 s[30:31], s[0:1]
	v_mov_b32_e32 v76, v0
.LBB43_99:
	s_waitcnt vmcnt(3)
	v_cvt_f16_f32_e32 v0, v78
	v_cvt_f32_f16_e32 v40, v97
	s_and_b32 vcc_lo, exec_lo, s39
	s_delay_alu instid0(VALU_DEP_2)
	v_cvt_f32_f16_e32 v78, v0
	s_cbranch_vccnz .LBB43_101
; %bb.100:
	s_delay_alu instid0(VALU_DEP_1) | instskip(SKIP_3) | instid1(SALU_CYCLE_1)
	v_dual_mov_b32 v0, v40 :: v_dual_mov_b32 v1, v78
	s_getpc_b64 s[0:1]
	s_add_u32 s0, s0, _ZN12_GLOBAL__N_111calc_igammaIfEET_S1_S1_@rel32@lo+4
	s_addc_u32 s1, s1, _ZN12_GLOBAL__N_111calc_igammaIfEET_S1_S1_@rel32@hi+12
	s_swappc_b64 s[30:31], s[0:1]
	v_mov_b32_e32 v77, v0
	s_cbranch_execz .LBB43_102
	s_branch .LBB43_103
.LBB43_101:
                                        ; implicit-def: $vgpr77
.LBB43_102:
	s_delay_alu instid0(VALU_DEP_1) | instskip(SKIP_3) | instid1(SALU_CYCLE_1)
	v_dual_mov_b32 v0, v40 :: v_dual_mov_b32 v1, v78
	s_getpc_b64 s[0:1]
	s_add_u32 s0, s0, _ZN12_GLOBAL__N_112calc_igammacIfEET_S1_S1_@rel32@lo+4
	s_addc_u32 s1, s1, _ZN12_GLOBAL__N_112calc_igammacIfEET_S1_S1_@rel32@hi+12
	s_swappc_b64 s[30:31], s[0:1]
	v_mov_b32_e32 v77, v0
.LBB43_103:
	v_lshrrev_b32_e32 v0, 16, v97
	v_cvt_f16_f32_e32 v1, v79
	s_and_b32 vcc_lo, exec_lo, s39
	s_delay_alu instid0(VALU_DEP_2) | instskip(NEXT) | instid1(VALU_DEP_2)
	v_cvt_f32_f16_e32 v40, v0
	v_cvt_f32_f16_e32 v79, v1
	s_cbranch_vccnz .LBB43_105
; %bb.104:
	s_delay_alu instid0(VALU_DEP_1) | instskip(SKIP_3) | instid1(SALU_CYCLE_1)
	v_dual_mov_b32 v0, v40 :: v_dual_mov_b32 v1, v79
	s_getpc_b64 s[0:1]
	s_add_u32 s0, s0, _ZN12_GLOBAL__N_111calc_igammaIfEET_S1_S1_@rel32@lo+4
	s_addc_u32 s1, s1, _ZN12_GLOBAL__N_111calc_igammaIfEET_S1_S1_@rel32@hi+12
	s_swappc_b64 s[30:31], s[0:1]
	v_mov_b32_e32 v78, v0
	s_cbranch_execz .LBB43_106
	s_branch .LBB43_107
.LBB43_105:
                                        ; implicit-def: $vgpr78
.LBB43_106:
	s_delay_alu instid0(VALU_DEP_1) | instskip(SKIP_3) | instid1(SALU_CYCLE_1)
	v_dual_mov_b32 v0, v40 :: v_dual_mov_b32 v1, v79
	s_getpc_b64 s[0:1]
	s_add_u32 s0, s0, _ZN12_GLOBAL__N_112calc_igammacIfEET_S1_S1_@rel32@lo+4
	s_addc_u32 s1, s1, _ZN12_GLOBAL__N_112calc_igammacIfEET_S1_S1_@rel32@hi+12
	s_swappc_b64 s[30:31], s[0:1]
	v_mov_b32_e32 v78, v0
.LBB43_107:
	s_waitcnt vmcnt(2)
	v_cvt_f16_f32_e32 v0, v80
	v_cvt_f32_f16_e32 v40, v96
	s_and_b32 vcc_lo, exec_lo, s39
	s_delay_alu instid0(VALU_DEP_2)
	v_cvt_f32_f16_e32 v80, v0
	s_cbranch_vccnz .LBB43_109
; %bb.108:
	s_delay_alu instid0(VALU_DEP_2) | instskip(NEXT) | instid1(VALU_DEP_2)
	v_mov_b32_e32 v0, v40
	v_mov_b32_e32 v1, v80
	s_getpc_b64 s[0:1]
	s_add_u32 s0, s0, _ZN12_GLOBAL__N_111calc_igammaIfEET_S1_S1_@rel32@lo+4
	s_addc_u32 s1, s1, _ZN12_GLOBAL__N_111calc_igammaIfEET_S1_S1_@rel32@hi+12
	s_delay_alu instid0(SALU_CYCLE_1)
	s_swappc_b64 s[30:31], s[0:1]
	v_mov_b32_e32 v79, v0
	s_cbranch_execz .LBB43_110
	s_branch .LBB43_111
.LBB43_109:
                                        ; implicit-def: $vgpr79
.LBB43_110:
	s_delay_alu instid0(VALU_DEP_2) | instskip(NEXT) | instid1(VALU_DEP_2)
	v_mov_b32_e32 v0, v40
	v_mov_b32_e32 v1, v80
	s_getpc_b64 s[0:1]
	s_add_u32 s0, s0, _ZN12_GLOBAL__N_112calc_igammacIfEET_S1_S1_@rel32@lo+4
	s_addc_u32 s1, s1, _ZN12_GLOBAL__N_112calc_igammacIfEET_S1_S1_@rel32@hi+12
	s_delay_alu instid0(SALU_CYCLE_1)
	s_swappc_b64 s[30:31], s[0:1]
	v_mov_b32_e32 v79, v0
.LBB43_111:
	v_lshrrev_b32_e32 v0, 16, v96
	v_cvt_f16_f32_e32 v1, v81
	s_and_b32 vcc_lo, exec_lo, s39
	s_delay_alu instid0(VALU_DEP_2) | instskip(NEXT) | instid1(VALU_DEP_2)
	v_cvt_f32_f16_e32 v40, v0
	v_cvt_f32_f16_e32 v81, v1
	s_cbranch_vccnz .LBB43_113
; %bb.112:
	s_delay_alu instid0(VALU_DEP_1) | instskip(SKIP_3) | instid1(SALU_CYCLE_1)
	v_dual_mov_b32 v0, v40 :: v_dual_mov_b32 v1, v81
	s_getpc_b64 s[0:1]
	s_add_u32 s0, s0, _ZN12_GLOBAL__N_111calc_igammaIfEET_S1_S1_@rel32@lo+4
	s_addc_u32 s1, s1, _ZN12_GLOBAL__N_111calc_igammaIfEET_S1_S1_@rel32@hi+12
	s_swappc_b64 s[30:31], s[0:1]
	v_mov_b32_e32 v80, v0
	s_cbranch_execz .LBB43_114
	s_branch .LBB43_115
.LBB43_113:
                                        ; implicit-def: $vgpr80
.LBB43_114:
	s_delay_alu instid0(VALU_DEP_1) | instskip(SKIP_3) | instid1(SALU_CYCLE_1)
	v_dual_mov_b32 v0, v40 :: v_dual_mov_b32 v1, v81
	s_getpc_b64 s[0:1]
	s_add_u32 s0, s0, _ZN12_GLOBAL__N_112calc_igammacIfEET_S1_S1_@rel32@lo+4
	s_addc_u32 s1, s1, _ZN12_GLOBAL__N_112calc_igammacIfEET_S1_S1_@rel32@hi+12
	s_swappc_b64 s[30:31], s[0:1]
	v_mov_b32_e32 v80, v0
.LBB43_115:
	s_waitcnt vmcnt(1)
	v_cvt_f16_f32_e32 v0, v82
	v_cvt_f32_f16_e32 v40, v95
	s_and_b32 vcc_lo, exec_lo, s39
	s_delay_alu instid0(VALU_DEP_2)
	v_cvt_f32_f16_e32 v82, v0
	s_cbranch_vccnz .LBB43_117
; %bb.116:
	s_delay_alu instid0(VALU_DEP_1) | instskip(SKIP_3) | instid1(SALU_CYCLE_1)
	v_dual_mov_b32 v0, v40 :: v_dual_mov_b32 v1, v82
	s_getpc_b64 s[0:1]
	s_add_u32 s0, s0, _ZN12_GLOBAL__N_111calc_igammaIfEET_S1_S1_@rel32@lo+4
	s_addc_u32 s1, s1, _ZN12_GLOBAL__N_111calc_igammaIfEET_S1_S1_@rel32@hi+12
	s_swappc_b64 s[30:31], s[0:1]
	v_mov_b32_e32 v81, v0
	s_cbranch_execz .LBB43_118
	s_branch .LBB43_119
.LBB43_117:
                                        ; implicit-def: $vgpr81
.LBB43_118:
	s_delay_alu instid0(VALU_DEP_1) | instskip(SKIP_3) | instid1(SALU_CYCLE_1)
	v_dual_mov_b32 v0, v40 :: v_dual_mov_b32 v1, v82
	s_getpc_b64 s[0:1]
	s_add_u32 s0, s0, _ZN12_GLOBAL__N_112calc_igammacIfEET_S1_S1_@rel32@lo+4
	s_addc_u32 s1, s1, _ZN12_GLOBAL__N_112calc_igammacIfEET_S1_S1_@rel32@hi+12
	s_swappc_b64 s[30:31], s[0:1]
	v_mov_b32_e32 v81, v0
.LBB43_119:
	v_lshrrev_b32_e32 v0, 16, v95
	v_cvt_f16_f32_e32 v1, v83
	s_and_b32 vcc_lo, exec_lo, s39
	s_delay_alu instid0(VALU_DEP_2) | instskip(NEXT) | instid1(VALU_DEP_2)
	v_cvt_f32_f16_e32 v40, v0
	v_cvt_f32_f16_e32 v83, v1
	s_cbranch_vccnz .LBB43_121
; %bb.120:
	s_delay_alu instid0(VALU_DEP_1) | instskip(SKIP_3) | instid1(SALU_CYCLE_1)
	v_dual_mov_b32 v0, v40 :: v_dual_mov_b32 v1, v83
	s_getpc_b64 s[0:1]
	s_add_u32 s0, s0, _ZN12_GLOBAL__N_111calc_igammaIfEET_S1_S1_@rel32@lo+4
	s_addc_u32 s1, s1, _ZN12_GLOBAL__N_111calc_igammaIfEET_S1_S1_@rel32@hi+12
	s_swappc_b64 s[30:31], s[0:1]
	v_mov_b32_e32 v82, v0
	s_cbranch_execz .LBB43_122
	s_branch .LBB43_123
.LBB43_121:
                                        ; implicit-def: $vgpr82
.LBB43_122:
	s_delay_alu instid0(VALU_DEP_1) | instskip(SKIP_3) | instid1(SALU_CYCLE_1)
	v_dual_mov_b32 v0, v40 :: v_dual_mov_b32 v1, v83
	s_getpc_b64 s[0:1]
	s_add_u32 s0, s0, _ZN12_GLOBAL__N_112calc_igammacIfEET_S1_S1_@rel32@lo+4
	s_addc_u32 s1, s1, _ZN12_GLOBAL__N_112calc_igammacIfEET_S1_S1_@rel32@hi+12
	s_swappc_b64 s[30:31], s[0:1]
	v_mov_b32_e32 v82, v0
.LBB43_123:
	s_waitcnt vmcnt(0)
	v_cvt_f16_f32_e32 v0, v84
	v_cvt_f32_f16_e32 v40, v94
	s_and_b32 vcc_lo, exec_lo, s39
	s_delay_alu instid0(VALU_DEP_2)
	v_cvt_f32_f16_e32 v84, v0
	s_cbranch_vccnz .LBB43_125
; %bb.124:
	s_delay_alu instid0(VALU_DEP_2) | instskip(NEXT) | instid1(VALU_DEP_2)
	v_mov_b32_e32 v0, v40
	v_mov_b32_e32 v1, v84
	s_getpc_b64 s[0:1]
	s_add_u32 s0, s0, _ZN12_GLOBAL__N_111calc_igammaIfEET_S1_S1_@rel32@lo+4
	s_addc_u32 s1, s1, _ZN12_GLOBAL__N_111calc_igammaIfEET_S1_S1_@rel32@hi+12
	s_delay_alu instid0(SALU_CYCLE_1)
	s_swappc_b64 s[30:31], s[0:1]
	v_mov_b32_e32 v83, v0
	s_cbranch_execz .LBB43_126
	s_branch .LBB43_127
.LBB43_125:
                                        ; implicit-def: $vgpr83
.LBB43_126:
	s_delay_alu instid0(VALU_DEP_2) | instskip(NEXT) | instid1(VALU_DEP_2)
	v_mov_b32_e32 v0, v40
	v_mov_b32_e32 v1, v84
	s_getpc_b64 s[0:1]
	s_add_u32 s0, s0, _ZN12_GLOBAL__N_112calc_igammacIfEET_S1_S1_@rel32@lo+4
	s_addc_u32 s1, s1, _ZN12_GLOBAL__N_112calc_igammacIfEET_S1_S1_@rel32@hi+12
	s_delay_alu instid0(SALU_CYCLE_1)
	s_swappc_b64 s[30:31], s[0:1]
	v_mov_b32_e32 v83, v0
.LBB43_127:
	v_lshrrev_b32_e32 v0, 16, v94
	v_cvt_f16_f32_e32 v1, v85
	s_and_b32 vcc_lo, exec_lo, s39
	s_delay_alu instid0(VALU_DEP_2) | instskip(NEXT) | instid1(VALU_DEP_2)
	v_cvt_f32_f16_e32 v40, v0
	v_cvt_f32_f16_e32 v84, v1
	s_cbranch_vccnz .LBB43_129
; %bb.128:
	s_delay_alu instid0(VALU_DEP_2) | instskip(NEXT) | instid1(VALU_DEP_2)
	v_mov_b32_e32 v0, v40
	v_mov_b32_e32 v1, v84
	s_getpc_b64 s[0:1]
	s_add_u32 s0, s0, _ZN12_GLOBAL__N_111calc_igammaIfEET_S1_S1_@rel32@lo+4
	s_addc_u32 s1, s1, _ZN12_GLOBAL__N_111calc_igammaIfEET_S1_S1_@rel32@hi+12
	s_delay_alu instid0(SALU_CYCLE_1)
	s_swappc_b64 s[30:31], s[0:1]
	s_cbranch_execz .LBB43_130
	s_branch .LBB43_131
.LBB43_129:
                                        ; implicit-def: $vgpr0
.LBB43_130:
	s_delay_alu instid0(VALU_DEP_2) | instskip(NEXT) | instid1(VALU_DEP_2)
	v_mov_b32_e32 v0, v40
	v_mov_b32_e32 v1, v84
	s_getpc_b64 s[0:1]
	s_add_u32 s0, s0, _ZN12_GLOBAL__N_112calc_igammacIfEET_S1_S1_@rel32@lo+4
	s_addc_u32 s1, s1, _ZN12_GLOBAL__N_112calc_igammacIfEET_S1_S1_@rel32@hi+12
	s_delay_alu instid0(SALU_CYCLE_1)
	s_swappc_b64 s[30:31], s[0:1]
.LBB43_131:
	v_cvt_f16_f32_e32 v5, v47
	v_cvt_f16_f32_e32 v6, v56
	s_add_u32 s0, s40, s46
	v_cvt_f16_f32_e32 v3, v45
	v_cvt_f16_f32_e32 v4, v46
	;; [unrolled: 1-line block ×4, first 2 shown]
	s_addc_u32 s1, s41, s47
	v_cvt_f16_f32_e32 v1, v43
	v_cvt_f16_f32_e32 v2, v44
	v_add_co_u32 v13, s3, s0, v86
	v_pack_b32_f16 v15, v5, v6
	v_cvt_f16_f32_e32 v5, v61
	v_cvt_f16_f32_e32 v6, v62
	v_add_co_ci_u32_e64 v14, null, s1, 0, s3
	v_pack_b32_f16 v12, v3, v4
	v_cvt_f16_f32_e32 v3, v59
	v_cvt_f16_f32_e32 v4, v60
	v_pack_b32_f16 v16, v7, v8
	v_cvt_f16_f32_e32 v7, v67
	v_cvt_f16_f32_e32 v8, v68
	v_pack_b32_f16 v11, v1, v2
	v_add_co_u32 v1, vcc_lo, 0x1000, v13
	v_pack_b32_f16 v18, v5, v6
	v_cvt_f16_f32_e32 v5, v63
	v_cvt_f16_f32_e32 v6, v66
	v_add_co_ci_u32_e32 v2, vcc_lo, 0, v14, vcc_lo
	v_cvt_f16_f32_e32 v9, v71
	v_cvt_f16_f32_e32 v10, v72
	v_pack_b32_f16 v17, v3, v4
	v_add_co_u32 v3, vcc_lo, 0x2000, v13
	v_pack_b32_f16 v20, v7, v8
	v_cvt_f16_f32_e32 v7, v69
	v_cvt_f16_f32_e32 v8, v70
	v_add_co_ci_u32_e32 v4, vcc_lo, 0, v14, vcc_lo
	;; [unrolled: 8-line block ×3, first 2 shown]
	v_pack_b32_f16 v21, v7, v8
	v_add_co_u32 v7, vcc_lo, 0x4000, v13
	v_pack_b32_f16 v23, v23, v24
	v_cvt_f16_f32_e32 v24, v77
	v_cvt_f16_f32_e32 v26, v78
	v_cvt_f16_f32_e32 v28, v81
	v_cvt_f16_f32_e32 v29, v82
	v_add_co_ci_u32_e32 v8, vcc_lo, 0, v14, vcc_lo
	v_pack_b32_f16 v25, v9, v10
	v_add_co_u32 v9, vcc_lo, 0x5000, v13
	v_add_co_ci_u32_e32 v10, vcc_lo, 0, v14, vcc_lo
	v_pack_b32_f16 v24, v24, v26
	v_cvt_f16_f32_e32 v26, v79
	v_cvt_f16_f32_e32 v27, v80
	s_clause 0x7
	global_store_b32 v86, v11, s[0:1]
	global_store_b32 v86, v12, s[0:1] offset:2048
	global_store_b32 v87, v15, s[0:1]
	global_store_b32 v88, v17, s[0:1]
	global_store_b32 v89, v19, s[0:1]
	global_store_b32 v90, v21, s[0:1]
	global_store_b32 v91, v25, s[0:1]
	global_store_b32 v92, v24, s[0:1]
	v_pack_b32_f16 v17, v28, v29
	v_cvt_f16_f32_e32 v19, v83
	v_cvt_f16_f32_e32 v0, v0
	v_add_co_u32 v11, vcc_lo, 0x6000, v13
	v_add_co_ci_u32_e32 v12, vcc_lo, 0, v14, vcc_lo
	v_add_co_u32 v13, vcc_lo, 0x7000, v13
	v_pack_b32_f16 v15, v26, v27
	global_store_b32 v93, v17, s[0:1]
	v_pack_b32_f16 v0, v19, v0
	v_add_co_ci_u32_e32 v14, vcc_lo, 0, v14, vcc_lo
	s_clause 0x6
	global_store_b32 v[1:2], v16, off offset:2048
	global_store_b32 v[3:4], v18, off offset:2048
	;; [unrolled: 1-line block ×7, first 2 shown]
	s_branch .LBB43_2
.LBB43_132:
	s_clause 0x1
	s_load_b32 s6, s[36:37], 0x24
	s_load_b128 s[0:3], s[36:37], 0x28
	v_cndmask_b32_e64 v0, 0, 1, s49
	v_dual_mov_b32 v31, v42 :: v_dual_mov_b32 v2, s41
	v_dual_mov_b32 v1, s40 :: v_dual_mov_b32 v4, s43
	;; [unrolled: 1-line block ×3, first 2 shown]
	v_mov_b32_e32 v5, s44
	v_mov_b32_e32 v7, s48
	s_add_u32 s8, s36, 56
	s_addc_u32 s9, s37, 0
	s_mov_b32 s12, s38
	s_getpc_b64 s[4:5]
	s_add_u32 s4, s4, _ZN2at6native25elementwise_kernel_helperILb1EN12_GLOBAL__N_110CalcIgammaIfEENS0_6memory8policies11unroll_baseILi512ESt5arrayIPcLm3EE23TrivialOffsetCalculatorILi2EjESB_ILi1EjENS5_12LoadWithCastILi2EEENS5_13StoreWithCastILi1EEELi32ELi1EEEEEvT0_T1_@rel32@lo+4
	s_addc_u32 s5, s5, _ZN2at6native25elementwise_kernel_helperILb1EN12_GLOBAL__N_110CalcIgammaIfEENS0_6memory8policies11unroll_baseILi512ESt5arrayIPcLm3EE23TrivialOffsetCalculatorILi2EjESB_ILi1EjENS5_12LoadWithCastILi2EEENS5_13StoreWithCastILi1EEELi32ELi1EEEEEvT0_T1_@rel32@hi+12
	s_waitcnt lgkmcnt(0)
	v_lshrrev_b16 v9, 8, s6
	v_mov_b32_e32 v10, s0
	v_dual_mov_b32 v8, s6 :: v_dual_mov_b32 v11, s1
	v_dual_mov_b32 v12, s2 :: v_dual_mov_b32 v13, s3
	s_swappc_b64 s[30:31], s[4:5]
	s_endpgm
	.section	.rodata,"a",@progbits
	.p2align	6, 0x0
	.amdhsa_kernel _ZN2at6native39vectorized_templated_elementwise_kernelILi2EN12_GLOBAL__N_110CalcIgammaIfEESt5arrayIPcLm3EE23TrivialOffsetCalculatorILi2EjES8_ILi1EjENS0_6memory12LoadWithCastILi2EEENSB_13StoreWithCastILi1EEEN3c104HalfEJSH_fEEEviT0_T1_T2_T3_T4_T5_
		.amdhsa_group_segment_fixed_size 0
		.amdhsa_private_segment_fixed_size 448
		.amdhsa_kernarg_size 312
		.amdhsa_user_sgpr_count 15
		.amdhsa_user_sgpr_dispatch_ptr 0
		.amdhsa_user_sgpr_queue_ptr 0
		.amdhsa_user_sgpr_kernarg_segment_ptr 1
		.amdhsa_user_sgpr_dispatch_id 0
		.amdhsa_user_sgpr_private_segment_size 0
		.amdhsa_wavefront_size32 1
		.amdhsa_uses_dynamic_stack 0
		.amdhsa_enable_private_segment 1
		.amdhsa_system_sgpr_workgroup_id_x 1
		.amdhsa_system_sgpr_workgroup_id_y 0
		.amdhsa_system_sgpr_workgroup_id_z 0
		.amdhsa_system_sgpr_workgroup_info 0
		.amdhsa_system_vgpr_workitem_id 0
		.amdhsa_next_free_vgpr 147
		.amdhsa_next_free_sgpr 77
		.amdhsa_reserve_vcc 1
		.amdhsa_float_round_mode_32 0
		.amdhsa_float_round_mode_16_64 0
		.amdhsa_float_denorm_mode_32 3
		.amdhsa_float_denorm_mode_16_64 3
		.amdhsa_dx10_clamp 1
		.amdhsa_ieee_mode 1
		.amdhsa_fp16_overflow 0
		.amdhsa_workgroup_processor_mode 1
		.amdhsa_memory_ordered 1
		.amdhsa_forward_progress 0
		.amdhsa_shared_vgpr_count 0
		.amdhsa_exception_fp_ieee_invalid_op 0
		.amdhsa_exception_fp_denorm_src 0
		.amdhsa_exception_fp_ieee_div_zero 0
		.amdhsa_exception_fp_ieee_overflow 0
		.amdhsa_exception_fp_ieee_underflow 0
		.amdhsa_exception_fp_ieee_inexact 0
		.amdhsa_exception_int_div_zero 0
	.end_amdhsa_kernel
	.section	.text._ZN2at6native39vectorized_templated_elementwise_kernelILi2EN12_GLOBAL__N_110CalcIgammaIfEESt5arrayIPcLm3EE23TrivialOffsetCalculatorILi2EjES8_ILi1EjENS0_6memory12LoadWithCastILi2EEENSB_13StoreWithCastILi1EEEN3c104HalfEJSH_fEEEviT0_T1_T2_T3_T4_T5_,"axG",@progbits,_ZN2at6native39vectorized_templated_elementwise_kernelILi2EN12_GLOBAL__N_110CalcIgammaIfEESt5arrayIPcLm3EE23TrivialOffsetCalculatorILi2EjES8_ILi1EjENS0_6memory12LoadWithCastILi2EEENSB_13StoreWithCastILi1EEEN3c104HalfEJSH_fEEEviT0_T1_T2_T3_T4_T5_,comdat
.Lfunc_end43:
	.size	_ZN2at6native39vectorized_templated_elementwise_kernelILi2EN12_GLOBAL__N_110CalcIgammaIfEESt5arrayIPcLm3EE23TrivialOffsetCalculatorILi2EjES8_ILi1EjENS0_6memory12LoadWithCastILi2EEENSB_13StoreWithCastILi1EEEN3c104HalfEJSH_fEEEviT0_T1_T2_T3_T4_T5_, .Lfunc_end43-_ZN2at6native39vectorized_templated_elementwise_kernelILi2EN12_GLOBAL__N_110CalcIgammaIfEESt5arrayIPcLm3EE23TrivialOffsetCalculatorILi2EjES8_ILi1EjENS0_6memory12LoadWithCastILi2EEENSB_13StoreWithCastILi1EEEN3c104HalfEJSH_fEEEviT0_T1_T2_T3_T4_T5_
                                        ; -- End function
	.section	.AMDGPU.csdata,"",@progbits
; Kernel info:
; codeLenInByte = 5284
; NumSgprs: 79
; NumVgprs: 147
; ScratchSize: 448
; MemoryBound: 0
; FloatMode: 240
; IeeeMode: 1
; LDSByteSize: 0 bytes/workgroup (compile time only)
; SGPRBlocks: 9
; VGPRBlocks: 18
; NumSGPRsForWavesPerEU: 79
; NumVGPRsForWavesPerEU: 147
; Occupancy: 9
; WaveLimiterHint : 0
; COMPUTE_PGM_RSRC2:SCRATCH_EN: 1
; COMPUTE_PGM_RSRC2:USER_SGPR: 15
; COMPUTE_PGM_RSRC2:TRAP_HANDLER: 0
; COMPUTE_PGM_RSRC2:TGID_X_EN: 1
; COMPUTE_PGM_RSRC2:TGID_Y_EN: 0
; COMPUTE_PGM_RSRC2:TGID_Z_EN: 0
; COMPUTE_PGM_RSRC2:TIDIG_COMP_CNT: 0
	.section	.text._ZN2at6native32elementwise_kernel_manual_unrollILi128ELi4EZNS0_15gpu_kernel_implIN12_GLOBAL__N_110CalcIgammaIfEEEEvRNS_18TensorIteratorBaseERKT_EUlibE_EEviT1_,"axG",@progbits,_ZN2at6native32elementwise_kernel_manual_unrollILi128ELi4EZNS0_15gpu_kernel_implIN12_GLOBAL__N_110CalcIgammaIfEEEEvRNS_18TensorIteratorBaseERKT_EUlibE_EEviT1_,comdat
	.globl	_ZN2at6native32elementwise_kernel_manual_unrollILi128ELi4EZNS0_15gpu_kernel_implIN12_GLOBAL__N_110CalcIgammaIfEEEEvRNS_18TensorIteratorBaseERKT_EUlibE_EEviT1_ ; -- Begin function _ZN2at6native32elementwise_kernel_manual_unrollILi128ELi4EZNS0_15gpu_kernel_implIN12_GLOBAL__N_110CalcIgammaIfEEEEvRNS_18TensorIteratorBaseERKT_EUlibE_EEviT1_
	.p2align	8
	.type	_ZN2at6native32elementwise_kernel_manual_unrollILi128ELi4EZNS0_15gpu_kernel_implIN12_GLOBAL__N_110CalcIgammaIfEEEEvRNS_18TensorIteratorBaseERKT_EUlibE_EEviT1_,@function
_ZN2at6native32elementwise_kernel_manual_unrollILi128ELi4EZNS0_15gpu_kernel_implIN12_GLOBAL__N_110CalcIgammaIfEEEEvRNS_18TensorIteratorBaseERKT_EUlibE_EEviT1_: ; @_ZN2at6native32elementwise_kernel_manual_unrollILi128ELi4EZNS0_15gpu_kernel_implIN12_GLOBAL__N_110CalcIgammaIfEEEEvRNS_18TensorIteratorBaseERKT_EUlibE_EEviT1_
; %bb.0:
	s_clause 0x4
	s_load_b32 s47, s[0:1], 0x2c
	s_load_b32 s52, s[0:1], 0x0
	s_load_b128 s[36:39], s[0:1], 0x8
	s_load_b64 s[44:45], s[0:1], 0x18
	s_load_b128 s[40:43], s[0:1], 0x20
	v_lshl_or_b32 v45, s15, 9, v0
	s_mov_b32 s48, 0
	s_mov_b32 s51, 0
	;; [unrolled: 1-line block ×3, first 2 shown]
	s_mov_b32 s0, exec_lo
	v_or_b32_e32 v0, 0x180, v45
	s_waitcnt lgkmcnt(0)
	s_lshr_b32 s49, s47, 16
	s_lshr_b32 s43, s47, 8
	;; [unrolled: 1-line block ×3, first 2 shown]
	v_cmpx_le_i32_e64 s52, v0
	s_xor_b32 s50, exec_lo, s0
	s_cbranch_execz .LBB44_1570
; %bb.1:
	s_bitcmp1_b32 s47, 0
	s_mov_b32 s0, -1
	s_cselect_b32 s1, -1, 0
	s_mov_b32 s57, 0
	s_xor_b32 s51, s1, -1
	s_mov_b32 s55, 0
	s_mov_b32 s54, 0
	;; [unrolled: 1-line block ×3, first 2 shown]
	s_mov_b32 s56, exec_lo
	v_cmpx_gt_i32_e64 s52, v45
	s_cbranch_execz .LBB44_386
; %bb.2:
	v_mul_lo_u32 v0, v45, s41
	v_and_b32_e64 v2, 0xff, s49
	s_delay_alu instid0(VALU_DEP_1) | instskip(NEXT) | instid1(VALU_DEP_3)
	v_cmp_gt_i16_e32 vcc_lo, 11, v2
	v_ashrrev_i32_e32 v1, 31, v0
	v_add_co_u32 v0, s0, s38, v0
	s_delay_alu instid0(VALU_DEP_1)
	v_add_co_ci_u32_e64 v1, s0, s39, v1, s0
	s_cbranch_vccnz .LBB44_9
; %bb.3:
	v_cmp_lt_i16_e32 vcc_lo, 25, v2
	s_cbranch_vccz .LBB44_11
; %bb.4:
	v_cmp_lt_i16_e32 vcc_lo, 28, v2
	s_cbranch_vccz .LBB44_12
	;; [unrolled: 3-line block ×4, first 2 shown]
; %bb.7:
	v_cmp_eq_u16_e32 vcc_lo, 46, v2
	s_mov_b32 s1, 0
	s_cbranch_vccz .LBB44_15
; %bb.8:
	global_load_b32 v3, v[0:1], off
	s_mov_b32 s0, -1
	s_waitcnt vmcnt(0)
	v_lshlrev_b32_e32 v40, 16, v3
	s_branch .LBB44_17
.LBB44_9:
	s_mov_b32 s0, 0
                                        ; implicit-def: $vgpr40
	s_cbranch_execnz .LBB44_81
.LBB44_10:
	s_and_not1_b32 vcc_lo, exec_lo, s0
	s_cbranch_vccz .LBB44_128
	s_branch .LBB44_383
.LBB44_11:
	s_mov_b32 s0, 0
                                        ; implicit-def: $vgpr40
	s_cbranch_execnz .LBB44_46
	s_branch .LBB44_80
.LBB44_12:
	s_mov_b32 s1, -1
	s_mov_b32 s0, 0
                                        ; implicit-def: $vgpr40
	s_branch .LBB44_27
.LBB44_13:
	s_mov_b32 s1, -1
	s_mov_b32 s0, 0
                                        ; implicit-def: $vgpr40
	s_branch .LBB44_22
.LBB44_14:
	s_mov_b32 s1, -1
	s_branch .LBB44_16
.LBB44_15:
	s_mov_b32 s55, -1
.LBB44_16:
	s_mov_b32 s0, 0
                                        ; implicit-def: $vgpr40
.LBB44_17:
	s_and_b32 vcc_lo, exec_lo, s1
	s_cbranch_vccz .LBB44_21
; %bb.18:
	v_cmp_eq_u16_e32 vcc_lo, 44, v2
	s_cbranch_vccz .LBB44_20
; %bb.19:
	global_load_u8 v3, v[0:1], off
	s_mov_b32 s55, 0
	s_mov_b32 s0, -1
	s_waitcnt vmcnt(0)
	v_lshlrev_b32_e32 v4, 23, v3
	v_cmp_ne_u32_e32 vcc_lo, 0xff, v3
	s_delay_alu instid0(VALU_DEP_2) | instskip(SKIP_1) | instid1(VALU_DEP_2)
	v_cndmask_b32_e32 v4, 0x7f800001, v4, vcc_lo
	v_cmp_ne_u32_e32 vcc_lo, 0, v3
	v_cndmask_b32_e32 v40, 0x400000, v4, vcc_lo
	s_branch .LBB44_21
.LBB44_20:
	s_mov_b32 s55, -1
                                        ; implicit-def: $vgpr40
.LBB44_21:
	s_mov_b32 s1, 0
.LBB44_22:
	s_delay_alu instid0(SALU_CYCLE_1)
	s_and_b32 vcc_lo, exec_lo, s1
	s_cbranch_vccz .LBB44_26
; %bb.23:
	v_cmp_eq_u16_e32 vcc_lo, 29, v2
	s_cbranch_vccz .LBB44_25
; %bb.24:
	global_load_b64 v[3:4], v[0:1], off
	s_mov_b32 s0, -1
	s_mov_b32 s55, 0
	s_mov_b32 s1, 0
	s_waitcnt vmcnt(0)
	v_clz_i32_u32_e32 v5, v4
	s_delay_alu instid0(VALU_DEP_1) | instskip(NEXT) | instid1(VALU_DEP_1)
	v_min_u32_e32 v5, 32, v5
	v_lshlrev_b64 v[3:4], v5, v[3:4]
	s_delay_alu instid0(VALU_DEP_1) | instskip(NEXT) | instid1(VALU_DEP_1)
	v_min_u32_e32 v3, 1, v3
	v_or_b32_e32 v3, v4, v3
	v_sub_nc_u32_e32 v4, 32, v5
	s_delay_alu instid0(VALU_DEP_2) | instskip(NEXT) | instid1(VALU_DEP_1)
	v_cvt_f32_u32_e32 v3, v3
	v_ldexp_f32 v40, v3, v4
	s_branch .LBB44_27
.LBB44_25:
	s_mov_b32 s55, -1
                                        ; implicit-def: $vgpr40
.LBB44_26:
	s_mov_b32 s1, 0
.LBB44_27:
	s_delay_alu instid0(SALU_CYCLE_1)
	s_and_b32 vcc_lo, exec_lo, s1
	s_cbranch_vccz .LBB44_45
; %bb.28:
	v_cmp_gt_i16_e32 vcc_lo, 27, v2
	s_cbranch_vccnz .LBB44_31
; %bb.29:
	v_cmp_lt_i16_e32 vcc_lo, 27, v2
	s_cbranch_vccz .LBB44_32
; %bb.30:
	global_load_b32 v3, v[0:1], off
	s_mov_b32 s0, 0
	s_waitcnt vmcnt(0)
	v_cvt_f32_u32_e32 v40, v3
	s_branch .LBB44_33
.LBB44_31:
	s_mov_b32 s0, -1
                                        ; implicit-def: $vgpr40
	s_branch .LBB44_36
.LBB44_32:
	s_mov_b32 s0, -1
                                        ; implicit-def: $vgpr40
.LBB44_33:
	s_delay_alu instid0(SALU_CYCLE_1)
	s_and_not1_b32 vcc_lo, exec_lo, s0
	s_cbranch_vccnz .LBB44_35
; %bb.34:
	global_load_u16 v3, v[0:1], off
	s_waitcnt vmcnt(0)
	v_cvt_f32_u32_e32 v40, v3
.LBB44_35:
	s_mov_b32 s0, 0
.LBB44_36:
	s_delay_alu instid0(SALU_CYCLE_1)
	s_and_not1_b32 vcc_lo, exec_lo, s0
	s_cbranch_vccnz .LBB44_44
; %bb.37:
	global_load_u8 v3, v[0:1], off
	s_mov_b32 s0, 0
	s_mov_b32 s2, exec_lo
                                        ; implicit-def: $sgpr1
	s_waitcnt vmcnt(0)
	v_cmpx_lt_i16_e32 0x7f, v3
	s_xor_b32 s2, exec_lo, s2
	s_cbranch_execz .LBB44_57
; %bb.38:
	s_mov_b32 s0, -1
	s_mov_b32 s3, exec_lo
                                        ; implicit-def: $sgpr1
	v_cmpx_eq_u16_e32 0x80, v3
; %bb.39:
	s_mov_b32 s1, 0x7f800001
	s_xor_b32 s0, exec_lo, -1
; %bb.40:
	s_or_b32 exec_lo, exec_lo, s3
	s_delay_alu instid0(SALU_CYCLE_1)
	s_and_b32 s0, s0, exec_lo
	s_or_saveexec_b32 s2, s2
	v_mov_b32_e32 v40, s1
	s_xor_b32 exec_lo, exec_lo, s2
	s_cbranch_execnz .LBB44_58
.LBB44_41:
	s_or_b32 exec_lo, exec_lo, s2
	s_and_saveexec_b32 s1, s0
	s_cbranch_execz .LBB44_43
.LBB44_42:
	v_and_b32_e32 v4, 0xffff, v3
	v_lshlrev_b32_e32 v3, 24, v3
	s_delay_alu instid0(VALU_DEP_2) | instskip(NEXT) | instid1(VALU_DEP_2)
	v_and_b32_e32 v5, 7, v4
	v_and_b32_e32 v3, 0x80000000, v3
	s_delay_alu instid0(VALU_DEP_2) | instskip(NEXT) | instid1(VALU_DEP_1)
	v_clz_i32_u32_e32 v6, v5
	v_min_u32_e32 v6, 32, v6
	s_delay_alu instid0(VALU_DEP_1) | instskip(SKIP_1) | instid1(VALU_DEP_2)
	v_subrev_nc_u32_e32 v7, 28, v6
	v_sub_nc_u32_e32 v6, 29, v6
	v_lshlrev_b32_e32 v7, v7, v4
	v_bfe_u32 v4, v4, 3, 4
	s_delay_alu instid0(VALU_DEP_2) | instskip(NEXT) | instid1(VALU_DEP_2)
	v_and_b32_e32 v7, 7, v7
	v_cmp_eq_u32_e32 vcc_lo, 0, v4
	s_delay_alu instid0(VALU_DEP_2) | instskip(NEXT) | instid1(VALU_DEP_1)
	v_dual_cndmask_b32 v4, v4, v6 :: v_dual_cndmask_b32 v5, v5, v7
	v_lshl_add_u32 v4, v4, 23, 0x3b800000
	s_delay_alu instid0(VALU_DEP_2) | instskip(NEXT) | instid1(VALU_DEP_1)
	v_lshlrev_b32_e32 v5, 20, v5
	v_or3_b32 v40, v3, v4, v5
.LBB44_43:
	s_or_b32 exec_lo, exec_lo, s1
.LBB44_44:
	s_mov_b32 s0, -1
.LBB44_45:
	s_branch .LBB44_80
.LBB44_46:
	v_cmp_lt_i16_e32 vcc_lo, 22, v2
	s_cbranch_vccz .LBB44_56
; %bb.47:
	v_cmp_gt_i16_e32 vcc_lo, 24, v2
	s_cbranch_vccnz .LBB44_59
; %bb.48:
	v_cmp_lt_i16_e32 vcc_lo, 24, v2
	s_cbranch_vccz .LBB44_60
; %bb.49:
	global_load_u8 v3, v[0:1], off
	s_mov_b32 s0, 0
	s_mov_b32 s2, exec_lo
                                        ; implicit-def: $sgpr1
	s_waitcnt vmcnt(0)
	v_cmpx_lt_i16_e32 0x7f, v3
	s_xor_b32 s2, exec_lo, s2
	s_cbranch_execz .LBB44_72
; %bb.50:
	s_mov_b32 s0, -1
	s_mov_b32 s3, exec_lo
                                        ; implicit-def: $sgpr1
	v_cmpx_eq_u16_e32 0x80, v3
; %bb.51:
	s_mov_b32 s1, 0x7f800001
	s_xor_b32 s0, exec_lo, -1
; %bb.52:
	s_or_b32 exec_lo, exec_lo, s3
	s_delay_alu instid0(SALU_CYCLE_1)
	s_and_b32 s0, s0, exec_lo
	s_or_saveexec_b32 s2, s2
	v_mov_b32_e32 v40, s1
	s_xor_b32 exec_lo, exec_lo, s2
	s_cbranch_execnz .LBB44_73
.LBB44_53:
	s_or_b32 exec_lo, exec_lo, s2
	s_and_saveexec_b32 s1, s0
	s_cbranch_execz .LBB44_55
.LBB44_54:
	v_and_b32_e32 v4, 0xffff, v3
	v_lshlrev_b32_e32 v3, 24, v3
	s_delay_alu instid0(VALU_DEP_2) | instskip(NEXT) | instid1(VALU_DEP_2)
	v_and_b32_e32 v5, 3, v4
	v_and_b32_e32 v3, 0x80000000, v3
	s_delay_alu instid0(VALU_DEP_2) | instskip(NEXT) | instid1(VALU_DEP_1)
	v_clz_i32_u32_e32 v6, v5
	v_min_u32_e32 v6, 32, v6
	s_delay_alu instid0(VALU_DEP_1) | instskip(SKIP_1) | instid1(VALU_DEP_2)
	v_subrev_nc_u32_e32 v7, 29, v6
	v_sub_nc_u32_e32 v6, 30, v6
	v_lshlrev_b32_e32 v7, v7, v4
	v_bfe_u32 v4, v4, 2, 5
	s_delay_alu instid0(VALU_DEP_2) | instskip(NEXT) | instid1(VALU_DEP_2)
	v_and_b32_e32 v7, 3, v7
	v_cmp_eq_u32_e32 vcc_lo, 0, v4
	s_delay_alu instid0(VALU_DEP_2) | instskip(NEXT) | instid1(VALU_DEP_1)
	v_dual_cndmask_b32 v4, v4, v6 :: v_dual_cndmask_b32 v5, v5, v7
	v_lshl_add_u32 v4, v4, 23, 0x37800000
	s_delay_alu instid0(VALU_DEP_2) | instskip(NEXT) | instid1(VALU_DEP_1)
	v_lshlrev_b32_e32 v5, 21, v5
	v_or3_b32 v40, v3, v4, v5
.LBB44_55:
	s_or_b32 exec_lo, exec_lo, s1
	s_mov_b32 s0, 0
	s_branch .LBB44_61
.LBB44_56:
	s_mov_b32 s1, -1
                                        ; implicit-def: $vgpr40
	s_branch .LBB44_67
.LBB44_57:
	s_or_saveexec_b32 s2, s2
	v_mov_b32_e32 v40, s1
	s_xor_b32 exec_lo, exec_lo, s2
	s_cbranch_execz .LBB44_41
.LBB44_58:
	v_cmp_ne_u16_e32 vcc_lo, 0, v3
	v_mov_b32_e32 v40, 0
	s_and_not1_b32 s0, s0, exec_lo
	s_and_b32 s1, vcc_lo, exec_lo
	s_delay_alu instid0(SALU_CYCLE_1)
	s_or_b32 s0, s0, s1
	s_or_b32 exec_lo, exec_lo, s2
	s_and_saveexec_b32 s1, s0
	s_cbranch_execnz .LBB44_42
	s_branch .LBB44_43
.LBB44_59:
	s_mov_b32 s0, -1
                                        ; implicit-def: $vgpr40
	s_branch .LBB44_64
.LBB44_60:
	s_mov_b32 s0, -1
                                        ; implicit-def: $vgpr40
.LBB44_61:
	s_delay_alu instid0(SALU_CYCLE_1)
	s_and_b32 vcc_lo, exec_lo, s0
	s_cbranch_vccz .LBB44_63
; %bb.62:
	global_load_u8 v3, v[0:1], off
	s_waitcnt vmcnt(0)
	v_lshlrev_b32_e32 v3, 24, v3
	s_delay_alu instid0(VALU_DEP_1) | instskip(NEXT) | instid1(VALU_DEP_1)
	v_and_b32_e32 v4, 0x7f000000, v3
	v_clz_i32_u32_e32 v5, v4
	v_add_nc_u32_e32 v7, 0x1000000, v4
	v_cmp_ne_u32_e32 vcc_lo, 0, v4
	s_delay_alu instid0(VALU_DEP_3) | instskip(NEXT) | instid1(VALU_DEP_1)
	v_min_u32_e32 v5, 32, v5
	v_sub_nc_u32_e64 v5, v5, 4 clamp
	s_delay_alu instid0(VALU_DEP_1) | instskip(SKIP_1) | instid1(VALU_DEP_2)
	v_lshlrev_b32_e32 v6, v5, v4
	v_lshlrev_b32_e32 v5, 23, v5
	v_lshrrev_b32_e32 v6, 4, v6
	s_delay_alu instid0(VALU_DEP_1) | instskip(SKIP_1) | instid1(VALU_DEP_2)
	v_sub_nc_u32_e32 v5, v6, v5
	v_ashrrev_i32_e32 v6, 8, v7
	v_add_nc_u32_e32 v5, 0x3c000000, v5
	s_delay_alu instid0(VALU_DEP_1) | instskip(NEXT) | instid1(VALU_DEP_1)
	v_and_or_b32 v5, 0x7f800000, v6, v5
	v_cndmask_b32_e32 v4, 0, v5, vcc_lo
	s_delay_alu instid0(VALU_DEP_1)
	v_and_or_b32 v40, 0x80000000, v3, v4
.LBB44_63:
	s_mov_b32 s0, 0
.LBB44_64:
	s_delay_alu instid0(SALU_CYCLE_1)
	s_and_not1_b32 vcc_lo, exec_lo, s0
	s_cbranch_vccnz .LBB44_66
; %bb.65:
	global_load_u8 v3, v[0:1], off
	s_waitcnt vmcnt(0)
	v_lshlrev_b32_e32 v4, 25, v3
	v_lshlrev_b16 v3, 8, v3
	s_delay_alu instid0(VALU_DEP_2) | instskip(NEXT) | instid1(VALU_DEP_2)
	v_lshrrev_b32_e32 v5, 4, v4
	v_and_or_b32 v6, 0x7f00, v3, 0.5
	v_bfe_i32 v3, v3, 0, 16
	s_delay_alu instid0(VALU_DEP_3) | instskip(NEXT) | instid1(VALU_DEP_1)
	v_or_b32_e32 v5, 0x70000000, v5
	v_dual_add_f32 v6, -0.5, v6 :: v_dual_mul_f32 v5, 0x7800000, v5
	v_cmp_gt_u32_e32 vcc_lo, 0x8000000, v4
	s_delay_alu instid0(VALU_DEP_2) | instskip(NEXT) | instid1(VALU_DEP_1)
	v_cndmask_b32_e32 v4, v5, v6, vcc_lo
	v_and_or_b32 v40, 0x80000000, v3, v4
.LBB44_66:
	s_mov_b32 s1, 0
	s_mov_b32 s0, -1
.LBB44_67:
	s_and_not1_b32 vcc_lo, exec_lo, s1
	s_cbranch_vccnz .LBB44_80
; %bb.68:
	v_cmp_lt_i16_e32 vcc_lo, 14, v2
	s_cbranch_vccz .LBB44_71
; %bb.69:
	v_cmp_eq_u16_e32 vcc_lo, 15, v2
	s_cbranch_vccz .LBB44_74
; %bb.70:
	global_load_u16 v3, v[0:1], off
	s_mov_b32 s0, -1
	s_mov_b32 s55, 0
	s_waitcnt vmcnt(0)
	v_lshlrev_b32_e32 v40, 16, v3
	s_branch .LBB44_75
.LBB44_71:
	s_mov_b32 s1, -1
                                        ; implicit-def: $vgpr40
	s_branch .LBB44_76
.LBB44_72:
	s_or_saveexec_b32 s2, s2
	v_mov_b32_e32 v40, s1
	s_xor_b32 exec_lo, exec_lo, s2
	s_cbranch_execz .LBB44_53
.LBB44_73:
	v_cmp_ne_u16_e32 vcc_lo, 0, v3
	v_mov_b32_e32 v40, 0
	s_and_not1_b32 s0, s0, exec_lo
	s_and_b32 s1, vcc_lo, exec_lo
	s_delay_alu instid0(SALU_CYCLE_1)
	s_or_b32 s0, s0, s1
	s_or_b32 exec_lo, exec_lo, s2
	s_and_saveexec_b32 s1, s0
	s_cbranch_execnz .LBB44_54
	s_branch .LBB44_55
.LBB44_74:
	s_mov_b32 s55, -1
                                        ; implicit-def: $vgpr40
.LBB44_75:
	s_mov_b32 s1, 0
.LBB44_76:
	s_delay_alu instid0(SALU_CYCLE_1)
	s_and_b32 vcc_lo, exec_lo, s1
	s_cbranch_vccz .LBB44_80
; %bb.77:
	v_cmp_eq_u16_e32 vcc_lo, 11, v2
	s_cbranch_vccz .LBB44_79
; %bb.78:
	global_load_u8 v3, v[0:1], off
	s_mov_b32 s55, 0
	s_mov_b32 s0, -1
	s_waitcnt vmcnt(0)
	v_cmp_ne_u16_e32 vcc_lo, 0, v3
	v_cndmask_b32_e64 v40, 0, 1.0, vcc_lo
	s_branch .LBB44_80
.LBB44_79:
	s_mov_b32 s55, -1
                                        ; implicit-def: $vgpr40
.LBB44_80:
	s_branch .LBB44_10
.LBB44_81:
	v_cmp_gt_i16_e32 vcc_lo, 5, v2
	s_cbranch_vccnz .LBB44_86
; %bb.82:
	v_cmp_gt_i16_e32 vcc_lo, 8, v2
	s_cbranch_vccnz .LBB44_87
; %bb.83:
	;; [unrolled: 3-line block ×3, first 2 shown]
	v_cmp_lt_i16_e32 vcc_lo, 9, v2
	s_cbranch_vccz .LBB44_89
; %bb.85:
	global_load_b64 v[3:4], v[0:1], off
	s_mov_b32 s0, 0
	s_waitcnt vmcnt(0)
	v_cvt_f32_f64_e32 v40, v[3:4]
	s_branch .LBB44_90
.LBB44_86:
                                        ; implicit-def: $vgpr40
	s_branch .LBB44_108
.LBB44_87:
	s_mov_b32 s0, -1
                                        ; implicit-def: $vgpr40
	s_branch .LBB44_96
.LBB44_88:
	s_mov_b32 s0, -1
                                        ; implicit-def: $vgpr40
	s_branch .LBB44_93
.LBB44_89:
	s_mov_b32 s0, -1
                                        ; implicit-def: $vgpr40
.LBB44_90:
	s_delay_alu instid0(SALU_CYCLE_1)
	s_and_not1_b32 vcc_lo, exec_lo, s0
	s_cbranch_vccnz .LBB44_92
; %bb.91:
	global_load_b32 v40, v[0:1], off
.LBB44_92:
	s_mov_b32 s0, 0
.LBB44_93:
	s_delay_alu instid0(SALU_CYCLE_1)
	s_and_not1_b32 vcc_lo, exec_lo, s0
	s_cbranch_vccnz .LBB44_95
; %bb.94:
	global_load_b32 v3, v[0:1], off
	s_waitcnt vmcnt(0)
	v_cvt_f32_f16_e32 v40, v3
.LBB44_95:
	s_mov_b32 s0, 0
.LBB44_96:
	s_delay_alu instid0(SALU_CYCLE_1)
	s_and_not1_b32 vcc_lo, exec_lo, s0
	s_cbranch_vccnz .LBB44_107
; %bb.97:
	v_cmp_gt_i16_e32 vcc_lo, 6, v2
	s_cbranch_vccnz .LBB44_100
; %bb.98:
	v_cmp_lt_i16_e32 vcc_lo, 6, v2
	s_cbranch_vccz .LBB44_101
; %bb.99:
	global_load_b64 v[3:4], v[0:1], off
	s_mov_b32 s0, 0
	s_waitcnt vmcnt(0)
	v_cvt_f32_f64_e32 v40, v[3:4]
	s_branch .LBB44_102
.LBB44_100:
	s_mov_b32 s0, -1
                                        ; implicit-def: $vgpr40
	s_branch .LBB44_105
.LBB44_101:
	s_mov_b32 s0, -1
                                        ; implicit-def: $vgpr40
.LBB44_102:
	s_delay_alu instid0(SALU_CYCLE_1)
	s_and_not1_b32 vcc_lo, exec_lo, s0
	s_cbranch_vccnz .LBB44_104
; %bb.103:
	global_load_b32 v40, v[0:1], off
.LBB44_104:
	s_mov_b32 s0, 0
.LBB44_105:
	s_delay_alu instid0(SALU_CYCLE_1)
	s_and_not1_b32 vcc_lo, exec_lo, s0
	s_cbranch_vccnz .LBB44_107
; %bb.106:
	global_load_u16 v3, v[0:1], off
	s_waitcnt vmcnt(0)
	v_cvt_f32_f16_e32 v40, v3
.LBB44_107:
	s_cbranch_execnz .LBB44_127
.LBB44_108:
	v_cmp_gt_i16_e32 vcc_lo, 2, v2
	s_cbranch_vccnz .LBB44_112
; %bb.109:
	v_cmp_gt_i16_e32 vcc_lo, 3, v2
	s_cbranch_vccnz .LBB44_113
; %bb.110:
	v_cmp_lt_i16_e32 vcc_lo, 3, v2
	s_cbranch_vccz .LBB44_114
; %bb.111:
	global_load_b64 v[3:4], v[0:1], off
	s_mov_b32 s0, 0
	s_waitcnt vmcnt(0)
	v_xor_b32_e32 v5, v3, v4
	v_cls_i32_e32 v6, v4
	s_delay_alu instid0(VALU_DEP_2) | instskip(NEXT) | instid1(VALU_DEP_2)
	v_ashrrev_i32_e32 v5, 31, v5
	v_add_nc_u32_e32 v6, -1, v6
	s_delay_alu instid0(VALU_DEP_2) | instskip(NEXT) | instid1(VALU_DEP_1)
	v_add_nc_u32_e32 v5, 32, v5
	v_min_u32_e32 v5, v6, v5
	s_delay_alu instid0(VALU_DEP_1) | instskip(NEXT) | instid1(VALU_DEP_1)
	v_lshlrev_b64 v[3:4], v5, v[3:4]
	v_min_u32_e32 v3, 1, v3
	s_delay_alu instid0(VALU_DEP_1) | instskip(SKIP_1) | instid1(VALU_DEP_2)
	v_or_b32_e32 v3, v4, v3
	v_sub_nc_u32_e32 v4, 32, v5
	v_cvt_f32_i32_e32 v3, v3
	s_delay_alu instid0(VALU_DEP_1)
	v_ldexp_f32 v40, v3, v4
	s_branch .LBB44_115
.LBB44_112:
	s_mov_b32 s0, -1
                                        ; implicit-def: $vgpr40
	s_branch .LBB44_121
.LBB44_113:
	s_mov_b32 s0, -1
                                        ; implicit-def: $vgpr40
	s_branch .LBB44_118
.LBB44_114:
	s_mov_b32 s0, -1
                                        ; implicit-def: $vgpr40
.LBB44_115:
	s_delay_alu instid0(SALU_CYCLE_1)
	s_and_not1_b32 vcc_lo, exec_lo, s0
	s_cbranch_vccnz .LBB44_117
; %bb.116:
	global_load_b32 v3, v[0:1], off
	s_waitcnt vmcnt(0)
	v_cvt_f32_i32_e32 v40, v3
.LBB44_117:
	s_mov_b32 s0, 0
.LBB44_118:
	s_delay_alu instid0(SALU_CYCLE_1)
	s_and_not1_b32 vcc_lo, exec_lo, s0
	s_cbranch_vccnz .LBB44_120
; %bb.119:
	global_load_i16 v3, v[0:1], off
	s_waitcnt vmcnt(0)
	v_cvt_f32_i32_e32 v40, v3
.LBB44_120:
	s_mov_b32 s0, 0
.LBB44_121:
	s_delay_alu instid0(SALU_CYCLE_1)
	s_and_not1_b32 vcc_lo, exec_lo, s0
	s_cbranch_vccnz .LBB44_127
; %bb.122:
	v_cmp_lt_i16_e32 vcc_lo, 0, v2
	s_mov_b32 s0, 0
	s_cbranch_vccz .LBB44_124
; %bb.123:
	global_load_i8 v2, v[0:1], off
	s_waitcnt vmcnt(0)
	v_cvt_f32_i32_e32 v40, v2
	s_branch .LBB44_125
.LBB44_124:
	s_mov_b32 s0, -1
                                        ; implicit-def: $vgpr40
.LBB44_125:
	s_delay_alu instid0(SALU_CYCLE_1)
	s_and_not1_b32 vcc_lo, exec_lo, s0
	s_cbranch_vccnz .LBB44_127
; %bb.126:
	global_load_u8 v0, v[0:1], off
	s_waitcnt vmcnt(0)
	v_cvt_f32_ubyte0_e32 v40, v0
.LBB44_127:
.LBB44_128:
	v_mul_lo_u32 v0, v45, s42
	v_cmp_lt_i16_e64 s0, s46, 11
	s_delay_alu instid0(VALU_DEP_2) | instskip(SKIP_1) | instid1(VALU_DEP_2)
	v_ashrrev_i32_e32 v1, 31, v0
	v_add_co_u32 v0, vcc_lo, s44, v0
	v_add_co_ci_u32_e32 v1, vcc_lo, s45, v1, vcc_lo
	s_delay_alu instid0(VALU_DEP_4)
	s_and_b32 vcc_lo, exec_lo, s0
	s_cbranch_vccnz .LBB44_135
; %bb.129:
	v_cmp_gt_i16_e64 s0, s46, 25
	s_delay_alu instid0(VALU_DEP_1)
	s_and_b32 vcc_lo, exec_lo, s0
	s_cbranch_vccz .LBB44_139
; %bb.130:
	v_cmp_gt_i16_e64 s0, s46, 28
	s_delay_alu instid0(VALU_DEP_1)
	s_and_b32 vcc_lo, exec_lo, s0
	s_cbranch_vccz .LBB44_151
	;; [unrolled: 5-line block ×4, first 2 shown]
; %bb.133:
	v_cmp_eq_u16_e64 s0, s46, 46
	s_mov_b32 s1, 0
	s_delay_alu instid0(VALU_DEP_1)
	s_and_b32 vcc_lo, exec_lo, s0
	s_cbranch_vccz .LBB44_157
; %bb.134:
	global_load_b32 v2, v[0:1], off
	s_mov_b32 s0, -1
	s_waitcnt vmcnt(0)
	v_lshlrev_b32_e32 v42, 16, v2
	s_branch .LBB44_159
.LBB44_135:
	s_mov_b32 s0, 0
                                        ; implicit-def: $vgpr42
	s_cbranch_execnz .LBB44_335
.LBB44_136:
	s_and_not1_b32 vcc_lo, exec_lo, s0
	s_cbranch_vccnz .LBB44_383
.LBB44_137:
	s_and_b32 vcc_lo, exec_lo, s51
	s_cbranch_vccz .LBB44_140
; %bb.138:
	s_waitcnt vmcnt(0)
	s_delay_alu instid0(VALU_DEP_1) | instskip(SKIP_3) | instid1(SALU_CYCLE_1)
	v_dual_mov_b32 v0, v40 :: v_dual_mov_b32 v1, v42
	s_getpc_b64 s[0:1]
	s_add_u32 s0, s0, _ZN12_GLOBAL__N_111calc_igammaIfEET_S1_S1_@rel32@lo+4
	s_addc_u32 s1, s1, _ZN12_GLOBAL__N_111calc_igammaIfEET_S1_S1_@rel32@hi+12
	s_swappc_b64 s[30:31], s[0:1]
	s_mov_b32 s0, 0
	s_branch .LBB44_141
.LBB44_139:
	s_mov_b32 s1, -1
	s_mov_b32 s0, 0
                                        ; implicit-def: $vgpr42
	s_branch .LBB44_299
.LBB44_140:
	s_mov_b32 s0, -1
                                        ; implicit-def: $vgpr0
.LBB44_141:
	s_delay_alu instid0(SALU_CYCLE_1)
	s_and_not1_b32 vcc_lo, exec_lo, s0
	s_cbranch_vccnz .LBB44_143
; %bb.142:
	s_waitcnt vmcnt(0)
	s_delay_alu instid0(VALU_DEP_1) | instskip(SKIP_3) | instid1(SALU_CYCLE_1)
	v_dual_mov_b32 v0, v40 :: v_dual_mov_b32 v1, v42
	s_getpc_b64 s[0:1]
	s_add_u32 s0, s0, _ZN12_GLOBAL__N_112calc_igammacIfEET_S1_S1_@rel32@lo+4
	s_addc_u32 s1, s1, _ZN12_GLOBAL__N_112calc_igammacIfEET_S1_S1_@rel32@hi+12
	s_swappc_b64 s[30:31], s[0:1]
.LBB44_143:
	v_mul_lo_u32 v1, v45, s40
	v_and_b32_e64 v4, 0xff, s43
	s_delay_alu instid0(VALU_DEP_1) | instskip(NEXT) | instid1(VALU_DEP_3)
	v_cmp_gt_i16_e32 vcc_lo, 11, v4
	v_ashrrev_i32_e32 v3, 31, v1
	v_add_co_u32 v2, s0, s36, v1
	s_delay_alu instid0(VALU_DEP_1)
	v_add_co_ci_u32_e64 v3, s0, s37, v3, s0
	s_cbranch_vccnz .LBB44_150
; %bb.144:
	v_cmp_lt_i16_e32 vcc_lo, 25, v4
	s_cbranch_vccz .LBB44_152
; %bb.145:
	v_cmp_lt_i16_e32 vcc_lo, 28, v4
	s_cbranch_vccz .LBB44_154
	;; [unrolled: 3-line block ×4, first 2 shown]
; %bb.148:
	v_cmp_eq_u16_e32 vcc_lo, 46, v4
	s_mov_b32 s2, 0
	s_mov_b32 s0, -1
	s_mov_b32 s1, 0
	s_cbranch_vccz .LBB44_163
; %bb.149:
	v_bfe_u32 v1, v0, 16, 1
	v_cmp_o_f32_e32 vcc_lo, v0, v0
	s_mov_b32 s1, -1
	s_mov_b32 s0, 0
	s_delay_alu instid0(VALU_DEP_2) | instskip(NEXT) | instid1(VALU_DEP_1)
	v_add3_u32 v1, v0, v1, 0x7fff
	v_lshrrev_b32_e32 v1, 16, v1
	s_delay_alu instid0(VALU_DEP_1)
	v_cndmask_b32_e32 v1, 0x7fc0, v1, vcc_lo
	global_store_b32 v[2:3], v1, off
	s_branch .LBB44_163
.LBB44_150:
	s_mov_b32 s2, -1
	s_mov_b32 s0, 0
	s_mov_b32 s1, 0
	s_branch .LBB44_232
.LBB44_151:
	s_mov_b32 s1, -1
	s_mov_b32 s0, 0
                                        ; implicit-def: $vgpr42
	s_branch .LBB44_280
.LBB44_152:
	s_mov_b32 s2, -1
	s_mov_b32 s0, 0
	s_mov_b32 s1, 0
	s_branch .LBB44_190
.LBB44_153:
	s_mov_b32 s1, -1
	s_mov_b32 s0, 0
                                        ; implicit-def: $vgpr42
	s_branch .LBB44_275
.LBB44_154:
	s_mov_b32 s2, -1
	s_mov_b32 s0, 0
	s_mov_b32 s1, 0
	s_branch .LBB44_173
.LBB44_155:
	s_mov_b32 s1, -1
	s_branch .LBB44_158
.LBB44_156:
	s_mov_b32 s2, -1
	s_mov_b32 s0, 0
	s_mov_b32 s1, 0
	s_branch .LBB44_169
.LBB44_157:
	s_mov_b32 s54, -1
.LBB44_158:
	s_mov_b32 s0, 0
                                        ; implicit-def: $vgpr42
.LBB44_159:
	s_and_b32 vcc_lo, exec_lo, s1
	s_cbranch_vccz .LBB44_274
; %bb.160:
	v_cmp_eq_u16_e64 s1, s46, 44
	s_delay_alu instid0(VALU_DEP_1)
	s_and_b32 vcc_lo, exec_lo, s1
	s_cbranch_vccz .LBB44_273
; %bb.161:
	global_load_u8 v2, v[0:1], off
	s_mov_b32 s54, 0
	s_mov_b32 s0, -1
	s_waitcnt vmcnt(0)
	v_lshlrev_b32_e32 v3, 23, v2
	v_cmp_ne_u32_e32 vcc_lo, 0xff, v2
	s_delay_alu instid0(VALU_DEP_2) | instskip(SKIP_1) | instid1(VALU_DEP_2)
	v_cndmask_b32_e32 v3, 0x7f800001, v3, vcc_lo
	v_cmp_ne_u32_e32 vcc_lo, 0, v2
	v_cndmask_b32_e32 v42, 0x400000, v3, vcc_lo
	s_branch .LBB44_274
.LBB44_162:
	s_mov_b32 s2, -1
	s_mov_b32 s0, 0
	s_mov_b32 s1, 0
.LBB44_163:
	s_and_b32 vcc_lo, exec_lo, s2
	s_cbranch_vccz .LBB44_168
; %bb.164:
	v_cmp_eq_u16_e32 vcc_lo, 44, v4
	s_mov_b32 s0, -1
	s_cbranch_vccz .LBB44_168
; %bb.165:
	v_bfe_u32 v5, v0, 23, 8
	v_mov_b32_e32 v1, 0xff
	s_mov_b32 s1, exec_lo
	s_delay_alu instid0(VALU_DEP_2)
	v_cmpx_ne_u32_e32 0xff, v5
; %bb.166:
	v_and_b32_e32 v1, 0x400000, v0
	v_and_or_b32 v5, 0x3fffff, v0, v5
	s_delay_alu instid0(VALU_DEP_2) | instskip(NEXT) | instid1(VALU_DEP_2)
	v_cmp_ne_u32_e32 vcc_lo, 0, v1
	v_cmp_ne_u32_e64 s0, 0, v5
	v_lshrrev_b32_e32 v1, 23, v0
	s_delay_alu instid0(VALU_DEP_2) | instskip(NEXT) | instid1(SALU_CYCLE_1)
	s_and_b32 s0, vcc_lo, s0
	v_cndmask_b32_e64 v5, 0, 1, s0
	s_delay_alu instid0(VALU_DEP_1)
	v_add_nc_u32_e32 v1, v1, v5
; %bb.167:
	s_or_b32 exec_lo, exec_lo, s1
	s_mov_b32 s1, -1
	s_mov_b32 s0, 0
	global_store_b8 v[2:3], v1, off
.LBB44_168:
	s_mov_b32 s2, 0
.LBB44_169:
	s_delay_alu instid0(SALU_CYCLE_1)
	s_and_b32 vcc_lo, exec_lo, s2
	s_cbranch_vccz .LBB44_172
; %bb.170:
	v_cmp_eq_u16_e32 vcc_lo, 29, v4
	s_mov_b32 s0, -1
	s_cbranch_vccz .LBB44_172
; %bb.171:
	v_trunc_f32_e32 v1, v0
	s_mov_b32 s1, -1
	s_mov_b32 s0, 0
	s_mov_b32 s2, 0
	s_delay_alu instid0(VALU_DEP_1) | instskip(NEXT) | instid1(VALU_DEP_1)
	v_mul_f32_e32 v5, 0x2f800000, v1
	v_floor_f32_e32 v5, v5
	s_delay_alu instid0(VALU_DEP_1) | instskip(SKIP_1) | instid1(VALU_DEP_2)
	v_fmamk_f32 v1, v5, 0xcf800000, v1
	v_cvt_u32_f32_e32 v6, v5
	v_cvt_u32_f32_e32 v5, v1
	global_store_b64 v[2:3], v[5:6], off
	s_branch .LBB44_173
.LBB44_172:
	s_mov_b32 s2, 0
.LBB44_173:
	s_delay_alu instid0(SALU_CYCLE_1)
	s_and_b32 vcc_lo, exec_lo, s2
	s_cbranch_vccz .LBB44_189
; %bb.174:
	v_cmp_gt_i16_e32 vcc_lo, 27, v4
	s_mov_b32 s1, -1
	s_cbranch_vccnz .LBB44_180
; %bb.175:
	v_cmp_lt_i16_e32 vcc_lo, 27, v4
	s_cbranch_vccz .LBB44_177
; %bb.176:
	v_cvt_u32_f32_e32 v1, v0
	s_mov_b32 s1, 0
	global_store_b32 v[2:3], v1, off
.LBB44_177:
	s_and_not1_b32 vcc_lo, exec_lo, s1
	s_cbranch_vccnz .LBB44_179
; %bb.178:
	v_cvt_u32_f32_e32 v1, v0
	global_store_b16 v[2:3], v1, off
.LBB44_179:
	s_mov_b32 s1, 0
.LBB44_180:
	s_delay_alu instid0(SALU_CYCLE_1)
	s_and_not1_b32 vcc_lo, exec_lo, s1
	s_cbranch_vccnz .LBB44_188
; %bb.181:
	v_and_b32_e32 v1, 0x7fffffff, v0
	v_mov_b32_e32 v5, 0x80
	s_mov_b32 s1, exec_lo
	s_delay_alu instid0(VALU_DEP_2)
	v_cmpx_gt_u32_e32 0x43800000, v1
	s_cbranch_execz .LBB44_187
; %bb.182:
	v_cmp_lt_u32_e32 vcc_lo, 0x3bffffff, v1
	s_mov_b32 s2, 0
                                        ; implicit-def: $vgpr1
	s_and_saveexec_b32 s3, vcc_lo
	s_delay_alu instid0(SALU_CYCLE_1)
	s_xor_b32 s3, exec_lo, s3
	s_cbranch_execz .LBB44_412
; %bb.183:
	v_bfe_u32 v1, v0, 20, 1
	s_mov_b32 s2, exec_lo
	s_delay_alu instid0(VALU_DEP_1) | instskip(NEXT) | instid1(VALU_DEP_1)
	v_add3_u32 v1, v0, v1, 0x487ffff
	v_lshrrev_b32_e32 v1, 20, v1
	s_or_saveexec_b32 s3, s3
                                        ; implicit-def: $sgpr4
	s_delay_alu instid0(SALU_CYCLE_1)
	s_xor_b32 exec_lo, exec_lo, s3
	s_cbranch_execnz .LBB44_413
.LBB44_184:
	s_or_b32 exec_lo, exec_lo, s3
	v_mov_b32_e32 v5, s4
	s_and_saveexec_b32 s3, s2
.LBB44_185:
	v_lshrrev_b32_e32 v5, 24, v0
	s_delay_alu instid0(VALU_DEP_1)
	v_and_or_b32 v5, 0x80, v5, v1
.LBB44_186:
	s_or_b32 exec_lo, exec_lo, s3
.LBB44_187:
	s_delay_alu instid0(SALU_CYCLE_1)
	s_or_b32 exec_lo, exec_lo, s1
	global_store_b8 v[2:3], v5, off
.LBB44_188:
	s_mov_b32 s1, -1
.LBB44_189:
	s_mov_b32 s2, 0
.LBB44_190:
	s_delay_alu instid0(SALU_CYCLE_1)
	s_and_b32 vcc_lo, exec_lo, s2
	s_cbranch_vccz .LBB44_231
; %bb.191:
	v_cmp_lt_i16_e32 vcc_lo, 22, v4
	s_mov_b32 s2, -1
	s_cbranch_vccz .LBB44_223
; %bb.192:
	v_cmp_gt_i16_e32 vcc_lo, 24, v4
	s_mov_b32 s1, -1
	s_cbranch_vccnz .LBB44_212
; %bb.193:
	v_cmp_lt_i16_e32 vcc_lo, 24, v4
	s_cbranch_vccz .LBB44_201
; %bb.194:
	v_and_b32_e32 v1, 0x7fffffff, v0
	v_mov_b32_e32 v5, 0x80
	s_mov_b32 s1, exec_lo
	s_delay_alu instid0(VALU_DEP_2)
	v_cmpx_gt_u32_e32 0x47800000, v1
	s_cbranch_execz .LBB44_200
; %bb.195:
	v_cmp_lt_u32_e32 vcc_lo, 0x37ffffff, v1
	s_mov_b32 s2, 0
                                        ; implicit-def: $vgpr1
	s_and_saveexec_b32 s3, vcc_lo
	s_delay_alu instid0(SALU_CYCLE_1)
	s_xor_b32 s3, exec_lo, s3
	s_cbranch_execz .LBB44_531
; %bb.196:
	v_bfe_u32 v1, v0, 21, 1
	s_mov_b32 s2, exec_lo
	s_delay_alu instid0(VALU_DEP_1) | instskip(NEXT) | instid1(VALU_DEP_1)
	v_add3_u32 v1, v0, v1, 0x88fffff
	v_lshrrev_b32_e32 v1, 21, v1
	s_or_saveexec_b32 s3, s3
                                        ; implicit-def: $sgpr4
	s_delay_alu instid0(SALU_CYCLE_1)
	s_xor_b32 exec_lo, exec_lo, s3
	s_cbranch_execnz .LBB44_532
.LBB44_197:
	s_or_b32 exec_lo, exec_lo, s3
	v_mov_b32_e32 v5, s4
	s_and_saveexec_b32 s3, s2
.LBB44_198:
	v_lshrrev_b32_e32 v5, 24, v0
	s_delay_alu instid0(VALU_DEP_1)
	v_and_or_b32 v5, 0x80, v5, v1
.LBB44_199:
	s_or_b32 exec_lo, exec_lo, s3
.LBB44_200:
	s_delay_alu instid0(SALU_CYCLE_1)
	s_or_b32 exec_lo, exec_lo, s1
	s_mov_b32 s1, 0
	global_store_b8 v[2:3], v5, off
.LBB44_201:
	s_and_b32 vcc_lo, exec_lo, s1
	s_cbranch_vccz .LBB44_211
; %bb.202:
	v_and_b32_e32 v5, 0x7fffffff, v0
	s_mov_b32 s1, exec_lo
                                        ; implicit-def: $vgpr1
	s_delay_alu instid0(VALU_DEP_1)
	v_cmpx_gt_u32_e32 0x43f00000, v5
	s_xor_b32 s1, exec_lo, s1
	s_cbranch_execz .LBB44_208
; %bb.203:
	s_mov_b32 s2, exec_lo
                                        ; implicit-def: $vgpr1
	v_cmpx_lt_u32_e32 0x3c7fffff, v5
	s_xor_b32 s2, exec_lo, s2
; %bb.204:
	v_bfe_u32 v1, v0, 20, 1
	s_delay_alu instid0(VALU_DEP_1) | instskip(NEXT) | instid1(VALU_DEP_1)
	v_add3_u32 v1, v0, v1, 0x407ffff
	v_and_b32_e32 v5, 0xff00000, v1
	v_lshrrev_b32_e32 v1, 20, v1
	s_delay_alu instid0(VALU_DEP_2) | instskip(NEXT) | instid1(VALU_DEP_2)
	v_cmp_ne_u32_e32 vcc_lo, 0x7f00000, v5
	v_cndmask_b32_e32 v1, 0x7e, v1, vcc_lo
; %bb.205:
	s_and_not1_saveexec_b32 s2, s2
; %bb.206:
	v_add_f32_e64 v1, 0x46800000, |v0|
; %bb.207:
	s_or_b32 exec_lo, exec_lo, s2
                                        ; implicit-def: $vgpr5
.LBB44_208:
	s_and_not1_saveexec_b32 s1, s1
; %bb.209:
	v_mov_b32_e32 v1, 0x7f
	v_cmp_lt_u32_e32 vcc_lo, 0x7f800000, v5
	s_delay_alu instid0(VALU_DEP_2)
	v_cndmask_b32_e32 v1, 0x7e, v1, vcc_lo
; %bb.210:
	s_or_b32 exec_lo, exec_lo, s1
	v_lshrrev_b32_e32 v5, 24, v0
	s_delay_alu instid0(VALU_DEP_1)
	v_and_or_b32 v1, 0x80, v5, v1
	global_store_b8 v[2:3], v1, off
.LBB44_211:
	s_mov_b32 s1, 0
.LBB44_212:
	s_delay_alu instid0(SALU_CYCLE_1)
	s_and_not1_b32 vcc_lo, exec_lo, s1
	s_cbranch_vccnz .LBB44_222
; %bb.213:
	v_and_b32_e32 v5, 0x7fffffff, v0
	s_mov_b32 s1, exec_lo
                                        ; implicit-def: $vgpr1
	s_delay_alu instid0(VALU_DEP_1)
	v_cmpx_gt_u32_e32 0x47800000, v5
	s_xor_b32 s1, exec_lo, s1
	s_cbranch_execz .LBB44_219
; %bb.214:
	s_mov_b32 s2, exec_lo
                                        ; implicit-def: $vgpr1
	v_cmpx_lt_u32_e32 0x387fffff, v5
	s_xor_b32 s2, exec_lo, s2
; %bb.215:
	v_bfe_u32 v1, v0, 21, 1
	s_delay_alu instid0(VALU_DEP_1) | instskip(NEXT) | instid1(VALU_DEP_1)
	v_add3_u32 v1, v0, v1, 0x80fffff
	v_lshrrev_b32_e32 v1, 21, v1
; %bb.216:
	s_and_not1_saveexec_b32 s2, s2
; %bb.217:
	v_add_f32_e64 v1, 0x43000000, |v0|
; %bb.218:
	s_or_b32 exec_lo, exec_lo, s2
                                        ; implicit-def: $vgpr5
.LBB44_219:
	s_and_not1_saveexec_b32 s1, s1
; %bb.220:
	v_mov_b32_e32 v1, 0x7f
	v_cmp_lt_u32_e32 vcc_lo, 0x7f800000, v5
	s_delay_alu instid0(VALU_DEP_2)
	v_cndmask_b32_e32 v1, 0x7c, v1, vcc_lo
; %bb.221:
	s_or_b32 exec_lo, exec_lo, s1
	v_lshrrev_b32_e32 v5, 24, v0
	s_delay_alu instid0(VALU_DEP_1)
	v_and_or_b32 v1, 0x80, v5, v1
	global_store_b8 v[2:3], v1, off
.LBB44_222:
	s_mov_b32 s2, 0
	s_mov_b32 s1, -1
.LBB44_223:
	s_and_not1_b32 vcc_lo, exec_lo, s2
	s_cbranch_vccnz .LBB44_231
; %bb.224:
	v_cmp_lt_i16_e32 vcc_lo, 14, v4
	s_mov_b32 s2, -1
	s_cbranch_vccz .LBB44_228
; %bb.225:
	v_cmp_eq_u16_e32 vcc_lo, 15, v4
	s_mov_b32 s0, -1
	s_cbranch_vccz .LBB44_227
; %bb.226:
	v_bfe_u32 v1, v0, 16, 1
	v_cmp_o_f32_e32 vcc_lo, v0, v0
	s_mov_b32 s1, -1
	s_mov_b32 s0, 0
	s_delay_alu instid0(VALU_DEP_2) | instskip(NEXT) | instid1(VALU_DEP_1)
	v_add3_u32 v1, v0, v1, 0x7fff
	v_lshrrev_b32_e32 v1, 16, v1
	s_delay_alu instid0(VALU_DEP_1)
	v_cndmask_b32_e32 v1, 0x7fc0, v1, vcc_lo
	global_store_b16 v[2:3], v1, off
.LBB44_227:
	s_mov_b32 s2, 0
.LBB44_228:
	s_delay_alu instid0(SALU_CYCLE_1)
	s_and_b32 vcc_lo, exec_lo, s2
	s_cbranch_vccz .LBB44_231
; %bb.229:
	v_cmp_eq_u16_e32 vcc_lo, 11, v4
	s_mov_b32 s0, -1
	s_cbranch_vccz .LBB44_231
; %bb.230:
	v_cmp_neq_f32_e32 vcc_lo, 0, v0
	s_mov_b32 s0, 0
	s_mov_b32 s1, -1
	v_cndmask_b32_e64 v1, 0, 1, vcc_lo
	global_store_b8 v[2:3], v1, off
.LBB44_231:
	s_mov_b32 s2, 0
.LBB44_232:
	s_delay_alu instid0(SALU_CYCLE_1)
	s_and_b32 vcc_lo, exec_lo, s2
	s_cbranch_vccz .LBB44_271
; %bb.233:
	v_cmp_gt_i16_e32 vcc_lo, 5, v4
	s_mov_b32 s1, -1
	s_cbranch_vccnz .LBB44_254
; %bb.234:
	v_cmp_gt_i16_e32 vcc_lo, 8, v4
	s_cbranch_vccnz .LBB44_244
; %bb.235:
	v_cmp_gt_i16_e32 vcc_lo, 9, v4
	s_cbranch_vccnz .LBB44_241
; %bb.236:
	v_cmp_lt_i16_e32 vcc_lo, 9, v4
	s_cbranch_vccz .LBB44_238
; %bb.237:
	v_cvt_f64_f32_e32 v[5:6], v0
	v_mov_b32_e32 v7, 0
	s_mov_b32 s1, 0
	s_delay_alu instid0(VALU_DEP_1)
	v_mov_b32_e32 v8, v7
	global_store_b128 v[2:3], v[5:8], off
.LBB44_238:
	s_and_not1_b32 vcc_lo, exec_lo, s1
	s_cbranch_vccnz .LBB44_240
; %bb.239:
	v_mov_b32_e32 v1, 0
	global_store_b64 v[2:3], v[0:1], off
.LBB44_240:
	s_mov_b32 s1, 0
.LBB44_241:
	s_delay_alu instid0(SALU_CYCLE_1)
	s_and_not1_b32 vcc_lo, exec_lo, s1
	s_cbranch_vccnz .LBB44_243
; %bb.242:
	v_cvt_f16_f32_e32 v1, v0
	s_delay_alu instid0(VALU_DEP_1)
	v_and_b32_e32 v1, 0xffff, v1
	global_store_b32 v[2:3], v1, off
.LBB44_243:
	s_mov_b32 s1, 0
.LBB44_244:
	s_delay_alu instid0(SALU_CYCLE_1)
	s_and_not1_b32 vcc_lo, exec_lo, s1
	s_cbranch_vccnz .LBB44_253
; %bb.245:
	v_cmp_gt_i16_e32 vcc_lo, 6, v4
	s_mov_b32 s1, -1
	s_cbranch_vccnz .LBB44_251
; %bb.246:
	v_cmp_lt_i16_e32 vcc_lo, 6, v4
	s_cbranch_vccz .LBB44_248
; %bb.247:
	v_cvt_f64_f32_e32 v[5:6], v0
	s_mov_b32 s1, 0
	global_store_b64 v[2:3], v[5:6], off
.LBB44_248:
	s_and_not1_b32 vcc_lo, exec_lo, s1
	s_cbranch_vccnz .LBB44_250
; %bb.249:
	global_store_b32 v[2:3], v0, off
.LBB44_250:
	s_mov_b32 s1, 0
.LBB44_251:
	s_delay_alu instid0(SALU_CYCLE_1)
	s_and_not1_b32 vcc_lo, exec_lo, s1
	s_cbranch_vccnz .LBB44_253
; %bb.252:
	v_cvt_f16_f32_e32 v1, v0
	global_store_b16 v[2:3], v1, off
.LBB44_253:
	s_mov_b32 s1, 0
.LBB44_254:
	s_delay_alu instid0(SALU_CYCLE_1)
	s_and_not1_b32 vcc_lo, exec_lo, s1
	s_cbranch_vccnz .LBB44_270
; %bb.255:
	v_cmp_gt_i16_e32 vcc_lo, 2, v4
	s_mov_b32 s1, -1
	s_cbranch_vccnz .LBB44_265
; %bb.256:
	v_cmp_gt_i16_e32 vcc_lo, 3, v4
	s_cbranch_vccnz .LBB44_262
; %bb.257:
	v_cmp_lt_i16_e32 vcc_lo, 3, v4
	s_cbranch_vccz .LBB44_259
; %bb.258:
	v_trunc_f32_e32 v1, v0
	s_mov_b32 s1, 0
	s_delay_alu instid0(VALU_DEP_1) | instskip(NEXT) | instid1(VALU_DEP_1)
	v_mul_f32_e64 v5, 0x2f800000, |v1|
	v_floor_f32_e32 v5, v5
	s_delay_alu instid0(VALU_DEP_1) | instskip(SKIP_2) | instid1(VALU_DEP_3)
	v_fma_f32 v6, 0xcf800000, v5, |v1|
	v_ashrrev_i32_e32 v1, 31, v1
	v_cvt_u32_f32_e32 v5, v5
	v_cvt_u32_f32_e32 v6, v6
	s_delay_alu instid0(VALU_DEP_2) | instskip(NEXT) | instid1(VALU_DEP_2)
	v_xor_b32_e32 v7, v5, v1
	v_xor_b32_e32 v6, v6, v1
	s_delay_alu instid0(VALU_DEP_1) | instskip(NEXT) | instid1(VALU_DEP_3)
	v_sub_co_u32 v5, vcc_lo, v6, v1
	v_sub_co_ci_u32_e32 v6, vcc_lo, v7, v1, vcc_lo
	global_store_b64 v[2:3], v[5:6], off
.LBB44_259:
	s_and_not1_b32 vcc_lo, exec_lo, s1
	s_cbranch_vccnz .LBB44_261
; %bb.260:
	v_cvt_i32_f32_e32 v1, v0
	global_store_b32 v[2:3], v1, off
.LBB44_261:
	s_mov_b32 s1, 0
.LBB44_262:
	s_delay_alu instid0(SALU_CYCLE_1)
	s_and_not1_b32 vcc_lo, exec_lo, s1
	s_cbranch_vccnz .LBB44_264
; %bb.263:
	v_cvt_i32_f32_e32 v1, v0
	global_store_b16 v[2:3], v1, off
.LBB44_264:
	s_mov_b32 s1, 0
.LBB44_265:
	s_delay_alu instid0(SALU_CYCLE_1)
	s_and_not1_b32 vcc_lo, exec_lo, s1
	s_cbranch_vccnz .LBB44_270
; %bb.266:
	v_cmp_lt_i16_e32 vcc_lo, 0, v4
	s_mov_b32 s1, -1
	s_cbranch_vccz .LBB44_268
; %bb.267:
	v_cvt_i32_f32_e32 v1, v0
	s_mov_b32 s1, 0
	global_store_b8 v[2:3], v1, off
.LBB44_268:
	s_and_not1_b32 vcc_lo, exec_lo, s1
	s_cbranch_vccnz .LBB44_270
; %bb.269:
	v_trunc_f32_e32 v0, v0
	s_delay_alu instid0(VALU_DEP_1) | instskip(NEXT) | instid1(VALU_DEP_1)
	v_mul_f32_e64 v1, 0x2f800000, |v0|
	v_floor_f32_e32 v1, v1
	s_delay_alu instid0(VALU_DEP_1) | instskip(SKIP_1) | instid1(VALU_DEP_2)
	v_fma_f32 v1, 0xcf800000, v1, |v0|
	v_ashrrev_i32_e32 v0, 31, v0
	v_cvt_u32_f32_e32 v1, v1
	s_delay_alu instid0(VALU_DEP_1) | instskip(NEXT) | instid1(VALU_DEP_1)
	v_xor_b32_e32 v1, v1, v0
	v_sub_nc_u32_e32 v0, v1, v0
	global_store_b8 v[2:3], v0, off
.LBB44_270:
	s_mov_b32 s1, -1
.LBB44_271:
	s_delay_alu instid0(SALU_CYCLE_1)
	s_and_not1_b32 vcc_lo, exec_lo, s1
	s_cbranch_vccnz .LBB44_384
; %bb.272:
	v_add_nc_u32_e32 v45, 0x80, v45
	s_mov_b32 s1, -1
	s_branch .LBB44_385
.LBB44_273:
	s_mov_b32 s54, -1
                                        ; implicit-def: $vgpr42
.LBB44_274:
	s_mov_b32 s1, 0
.LBB44_275:
	s_delay_alu instid0(SALU_CYCLE_1)
	s_and_b32 vcc_lo, exec_lo, s1
	s_cbranch_vccz .LBB44_279
; %bb.276:
	v_cmp_eq_u16_e64 s1, s46, 29
	s_delay_alu instid0(VALU_DEP_1)
	s_and_b32 vcc_lo, exec_lo, s1
	s_cbranch_vccz .LBB44_278
; %bb.277:
	global_load_b64 v[2:3], v[0:1], off
	s_mov_b32 s0, -1
	s_mov_b32 s54, 0
	s_mov_b32 s1, 0
	s_waitcnt vmcnt(0)
	v_clz_i32_u32_e32 v4, v3
	s_delay_alu instid0(VALU_DEP_1) | instskip(NEXT) | instid1(VALU_DEP_1)
	v_min_u32_e32 v4, 32, v4
	v_lshlrev_b64 v[2:3], v4, v[2:3]
	s_delay_alu instid0(VALU_DEP_1) | instskip(NEXT) | instid1(VALU_DEP_1)
	v_min_u32_e32 v2, 1, v2
	v_or_b32_e32 v2, v3, v2
	v_sub_nc_u32_e32 v3, 32, v4
	s_delay_alu instid0(VALU_DEP_2) | instskip(NEXT) | instid1(VALU_DEP_1)
	v_cvt_f32_u32_e32 v2, v2
	v_ldexp_f32 v42, v2, v3
	s_branch .LBB44_280
.LBB44_278:
	s_mov_b32 s54, -1
                                        ; implicit-def: $vgpr42
.LBB44_279:
	s_mov_b32 s1, 0
.LBB44_280:
	s_delay_alu instid0(SALU_CYCLE_1)
	s_and_b32 vcc_lo, exec_lo, s1
	s_cbranch_vccz .LBB44_298
; %bb.281:
	v_cmp_lt_i16_e64 s0, s46, 27
	s_delay_alu instid0(VALU_DEP_1)
	s_and_b32 vcc_lo, exec_lo, s0
	s_cbranch_vccnz .LBB44_284
; %bb.282:
	v_cmp_gt_i16_e64 s0, s46, 27
	s_delay_alu instid0(VALU_DEP_1)
	s_and_b32 vcc_lo, exec_lo, s0
	s_cbranch_vccz .LBB44_285
; %bb.283:
	global_load_b32 v2, v[0:1], off
	s_mov_b32 s0, 0
	s_waitcnt vmcnt(0)
	v_cvt_f32_u32_e32 v42, v2
	s_branch .LBB44_286
.LBB44_284:
	s_mov_b32 s0, -1
                                        ; implicit-def: $vgpr42
	s_branch .LBB44_289
.LBB44_285:
	s_mov_b32 s0, -1
                                        ; implicit-def: $vgpr42
.LBB44_286:
	s_delay_alu instid0(SALU_CYCLE_1)
	s_and_not1_b32 vcc_lo, exec_lo, s0
	s_cbranch_vccnz .LBB44_288
; %bb.287:
	global_load_u16 v2, v[0:1], off
	s_waitcnt vmcnt(0)
	v_cvt_f32_u32_e32 v42, v2
.LBB44_288:
	s_mov_b32 s0, 0
.LBB44_289:
	s_delay_alu instid0(SALU_CYCLE_1)
	s_and_not1_b32 vcc_lo, exec_lo, s0
	s_cbranch_vccnz .LBB44_297
; %bb.290:
	global_load_u8 v2, v[0:1], off
	s_mov_b32 s0, 0
	s_mov_b32 s2, exec_lo
                                        ; implicit-def: $sgpr1
	s_waitcnt vmcnt(0)
	v_cmpx_lt_i16_e32 0x7f, v2
	s_xor_b32 s2, exec_lo, s2
	s_cbranch_execz .LBB44_311
; %bb.291:
	s_mov_b32 s0, -1
	s_mov_b32 s3, exec_lo
                                        ; implicit-def: $sgpr1
	v_cmpx_eq_u16_e32 0x80, v2
; %bb.292:
	s_mov_b32 s1, 0x7f800001
	s_xor_b32 s0, exec_lo, -1
; %bb.293:
	s_or_b32 exec_lo, exec_lo, s3
	s_delay_alu instid0(SALU_CYCLE_1)
	s_and_b32 s0, s0, exec_lo
	s_or_saveexec_b32 s2, s2
	v_mov_b32_e32 v42, s1
	s_xor_b32 exec_lo, exec_lo, s2
	s_cbranch_execnz .LBB44_312
.LBB44_294:
	s_or_b32 exec_lo, exec_lo, s2
	s_and_saveexec_b32 s1, s0
	s_cbranch_execz .LBB44_296
.LBB44_295:
	v_and_b32_e32 v3, 0xffff, v2
	v_lshlrev_b32_e32 v2, 24, v2
	s_delay_alu instid0(VALU_DEP_2) | instskip(NEXT) | instid1(VALU_DEP_2)
	v_and_b32_e32 v4, 7, v3
	v_and_b32_e32 v2, 0x80000000, v2
	s_delay_alu instid0(VALU_DEP_2) | instskip(NEXT) | instid1(VALU_DEP_1)
	v_clz_i32_u32_e32 v5, v4
	v_min_u32_e32 v5, 32, v5
	s_delay_alu instid0(VALU_DEP_1) | instskip(SKIP_1) | instid1(VALU_DEP_2)
	v_subrev_nc_u32_e32 v6, 28, v5
	v_sub_nc_u32_e32 v5, 29, v5
	v_lshlrev_b32_e32 v6, v6, v3
	v_bfe_u32 v3, v3, 3, 4
	s_delay_alu instid0(VALU_DEP_2) | instskip(NEXT) | instid1(VALU_DEP_2)
	v_and_b32_e32 v6, 7, v6
	v_cmp_eq_u32_e32 vcc_lo, 0, v3
	s_delay_alu instid0(VALU_DEP_2) | instskip(NEXT) | instid1(VALU_DEP_1)
	v_dual_cndmask_b32 v3, v3, v5 :: v_dual_cndmask_b32 v4, v4, v6
	v_lshl_add_u32 v3, v3, 23, 0x3b800000
	s_delay_alu instid0(VALU_DEP_2) | instskip(NEXT) | instid1(VALU_DEP_1)
	v_lshlrev_b32_e32 v4, 20, v4
	v_or3_b32 v42, v2, v3, v4
.LBB44_296:
	s_or_b32 exec_lo, exec_lo, s1
.LBB44_297:
	s_mov_b32 s0, -1
.LBB44_298:
	s_mov_b32 s1, 0
.LBB44_299:
	s_delay_alu instid0(SALU_CYCLE_1)
	s_and_b32 vcc_lo, exec_lo, s1
	s_cbranch_vccz .LBB44_334
; %bb.300:
	v_cmp_gt_i16_e64 s1, s46, 22
	s_delay_alu instid0(VALU_DEP_1)
	s_and_b32 vcc_lo, exec_lo, s1
	s_cbranch_vccz .LBB44_310
; %bb.301:
	v_cmp_lt_i16_e64 s0, s46, 24
	s_delay_alu instid0(VALU_DEP_1)
	s_and_b32 vcc_lo, exec_lo, s0
	s_cbranch_vccnz .LBB44_313
; %bb.302:
	v_cmp_gt_i16_e64 s0, s46, 24
	s_delay_alu instid0(VALU_DEP_1)
	s_and_b32 vcc_lo, exec_lo, s0
	s_cbranch_vccz .LBB44_314
; %bb.303:
	global_load_u8 v2, v[0:1], off
	s_mov_b32 s0, 0
	s_mov_b32 s2, exec_lo
                                        ; implicit-def: $sgpr1
	s_waitcnt vmcnt(0)
	v_cmpx_lt_i16_e32 0x7f, v2
	s_xor_b32 s2, exec_lo, s2
	s_cbranch_execz .LBB44_326
; %bb.304:
	s_mov_b32 s0, -1
	s_mov_b32 s3, exec_lo
                                        ; implicit-def: $sgpr1
	v_cmpx_eq_u16_e32 0x80, v2
; %bb.305:
	s_mov_b32 s1, 0x7f800001
	s_xor_b32 s0, exec_lo, -1
; %bb.306:
	s_or_b32 exec_lo, exec_lo, s3
	s_delay_alu instid0(SALU_CYCLE_1)
	s_and_b32 s0, s0, exec_lo
	s_or_saveexec_b32 s2, s2
	v_mov_b32_e32 v42, s1
	s_xor_b32 exec_lo, exec_lo, s2
	s_cbranch_execnz .LBB44_327
.LBB44_307:
	s_or_b32 exec_lo, exec_lo, s2
	s_and_saveexec_b32 s1, s0
	s_cbranch_execz .LBB44_309
.LBB44_308:
	v_and_b32_e32 v3, 0xffff, v2
	v_lshlrev_b32_e32 v2, 24, v2
	s_delay_alu instid0(VALU_DEP_2) | instskip(NEXT) | instid1(VALU_DEP_2)
	v_and_b32_e32 v4, 3, v3
	v_and_b32_e32 v2, 0x80000000, v2
	s_delay_alu instid0(VALU_DEP_2) | instskip(NEXT) | instid1(VALU_DEP_1)
	v_clz_i32_u32_e32 v5, v4
	v_min_u32_e32 v5, 32, v5
	s_delay_alu instid0(VALU_DEP_1) | instskip(SKIP_1) | instid1(VALU_DEP_2)
	v_subrev_nc_u32_e32 v6, 29, v5
	v_sub_nc_u32_e32 v5, 30, v5
	v_lshlrev_b32_e32 v6, v6, v3
	v_bfe_u32 v3, v3, 2, 5
	s_delay_alu instid0(VALU_DEP_2) | instskip(NEXT) | instid1(VALU_DEP_2)
	v_and_b32_e32 v6, 3, v6
	v_cmp_eq_u32_e32 vcc_lo, 0, v3
	s_delay_alu instid0(VALU_DEP_2) | instskip(NEXT) | instid1(VALU_DEP_1)
	v_dual_cndmask_b32 v3, v3, v5 :: v_dual_cndmask_b32 v4, v4, v6
	v_lshl_add_u32 v3, v3, 23, 0x37800000
	s_delay_alu instid0(VALU_DEP_2) | instskip(NEXT) | instid1(VALU_DEP_1)
	v_lshlrev_b32_e32 v4, 21, v4
	v_or3_b32 v42, v2, v3, v4
.LBB44_309:
	s_or_b32 exec_lo, exec_lo, s1
	s_mov_b32 s0, 0
	s_branch .LBB44_315
.LBB44_310:
	s_mov_b32 s1, -1
                                        ; implicit-def: $vgpr42
	s_branch .LBB44_321
.LBB44_311:
	s_or_saveexec_b32 s2, s2
	v_mov_b32_e32 v42, s1
	s_xor_b32 exec_lo, exec_lo, s2
	s_cbranch_execz .LBB44_294
.LBB44_312:
	v_cmp_ne_u16_e32 vcc_lo, 0, v2
	v_mov_b32_e32 v42, 0
	s_and_not1_b32 s0, s0, exec_lo
	s_and_b32 s1, vcc_lo, exec_lo
	s_delay_alu instid0(SALU_CYCLE_1)
	s_or_b32 s0, s0, s1
	s_or_b32 exec_lo, exec_lo, s2
	s_and_saveexec_b32 s1, s0
	s_cbranch_execnz .LBB44_295
	s_branch .LBB44_296
.LBB44_313:
	s_mov_b32 s0, -1
                                        ; implicit-def: $vgpr42
	s_branch .LBB44_318
.LBB44_314:
	s_mov_b32 s0, -1
                                        ; implicit-def: $vgpr42
.LBB44_315:
	s_delay_alu instid0(SALU_CYCLE_1)
	s_and_b32 vcc_lo, exec_lo, s0
	s_cbranch_vccz .LBB44_317
; %bb.316:
	global_load_u8 v2, v[0:1], off
	s_waitcnt vmcnt(0)
	v_lshlrev_b32_e32 v2, 24, v2
	s_delay_alu instid0(VALU_DEP_1) | instskip(NEXT) | instid1(VALU_DEP_1)
	v_and_b32_e32 v3, 0x7f000000, v2
	v_clz_i32_u32_e32 v4, v3
	v_add_nc_u32_e32 v6, 0x1000000, v3
	v_cmp_ne_u32_e32 vcc_lo, 0, v3
	s_delay_alu instid0(VALU_DEP_3) | instskip(NEXT) | instid1(VALU_DEP_1)
	v_min_u32_e32 v4, 32, v4
	v_sub_nc_u32_e64 v4, v4, 4 clamp
	s_delay_alu instid0(VALU_DEP_1) | instskip(SKIP_1) | instid1(VALU_DEP_2)
	v_lshlrev_b32_e32 v5, v4, v3
	v_lshlrev_b32_e32 v4, 23, v4
	v_lshrrev_b32_e32 v5, 4, v5
	s_delay_alu instid0(VALU_DEP_1) | instskip(SKIP_1) | instid1(VALU_DEP_2)
	v_sub_nc_u32_e32 v4, v5, v4
	v_ashrrev_i32_e32 v5, 8, v6
	v_add_nc_u32_e32 v4, 0x3c000000, v4
	s_delay_alu instid0(VALU_DEP_1) | instskip(NEXT) | instid1(VALU_DEP_1)
	v_and_or_b32 v4, 0x7f800000, v5, v4
	v_cndmask_b32_e32 v3, 0, v4, vcc_lo
	s_delay_alu instid0(VALU_DEP_1)
	v_and_or_b32 v42, 0x80000000, v2, v3
.LBB44_317:
	s_mov_b32 s0, 0
.LBB44_318:
	s_delay_alu instid0(SALU_CYCLE_1)
	s_and_not1_b32 vcc_lo, exec_lo, s0
	s_cbranch_vccnz .LBB44_320
; %bb.319:
	global_load_u8 v2, v[0:1], off
	s_waitcnt vmcnt(0)
	v_lshlrev_b32_e32 v3, 25, v2
	v_lshlrev_b16 v2, 8, v2
	s_delay_alu instid0(VALU_DEP_2) | instskip(NEXT) | instid1(VALU_DEP_2)
	v_lshrrev_b32_e32 v4, 4, v3
	v_and_or_b32 v5, 0x7f00, v2, 0.5
	v_bfe_i32 v2, v2, 0, 16
	s_delay_alu instid0(VALU_DEP_3) | instskip(NEXT) | instid1(VALU_DEP_1)
	v_or_b32_e32 v4, 0x70000000, v4
	v_dual_add_f32 v5, -0.5, v5 :: v_dual_mul_f32 v4, 0x7800000, v4
	v_cmp_gt_u32_e32 vcc_lo, 0x8000000, v3
	s_delay_alu instid0(VALU_DEP_2) | instskip(NEXT) | instid1(VALU_DEP_1)
	v_cndmask_b32_e32 v3, v4, v5, vcc_lo
	v_and_or_b32 v42, 0x80000000, v2, v3
.LBB44_320:
	s_mov_b32 s1, 0
	s_mov_b32 s0, -1
.LBB44_321:
	s_and_not1_b32 vcc_lo, exec_lo, s1
	s_cbranch_vccnz .LBB44_334
; %bb.322:
	v_cmp_gt_i16_e64 s1, s46, 14
	s_delay_alu instid0(VALU_DEP_1)
	s_and_b32 vcc_lo, exec_lo, s1
	s_cbranch_vccz .LBB44_325
; %bb.323:
	v_cmp_eq_u16_e64 s1, s46, 15
	s_delay_alu instid0(VALU_DEP_1)
	s_and_b32 vcc_lo, exec_lo, s1
	s_cbranch_vccz .LBB44_328
; %bb.324:
	global_load_u16 v2, v[0:1], off
	s_mov_b32 s0, -1
	s_mov_b32 s54, 0
	s_waitcnt vmcnt(0)
	v_lshlrev_b32_e32 v42, 16, v2
	s_branch .LBB44_329
.LBB44_325:
	s_mov_b32 s1, -1
                                        ; implicit-def: $vgpr42
	s_branch .LBB44_330
.LBB44_326:
	s_or_saveexec_b32 s2, s2
	v_mov_b32_e32 v42, s1
	s_xor_b32 exec_lo, exec_lo, s2
	s_cbranch_execz .LBB44_307
.LBB44_327:
	v_cmp_ne_u16_e32 vcc_lo, 0, v2
	v_mov_b32_e32 v42, 0
	s_and_not1_b32 s0, s0, exec_lo
	s_and_b32 s1, vcc_lo, exec_lo
	s_delay_alu instid0(SALU_CYCLE_1)
	s_or_b32 s0, s0, s1
	s_or_b32 exec_lo, exec_lo, s2
	s_and_saveexec_b32 s1, s0
	s_cbranch_execnz .LBB44_308
	s_branch .LBB44_309
.LBB44_328:
	s_mov_b32 s54, -1
                                        ; implicit-def: $vgpr42
.LBB44_329:
	s_mov_b32 s1, 0
.LBB44_330:
	s_delay_alu instid0(SALU_CYCLE_1)
	s_and_b32 vcc_lo, exec_lo, s1
	s_cbranch_vccz .LBB44_334
; %bb.331:
	v_cmp_eq_u16_e64 s1, s46, 11
	s_delay_alu instid0(VALU_DEP_1)
	s_and_b32 vcc_lo, exec_lo, s1
	s_cbranch_vccz .LBB44_333
; %bb.332:
	global_load_u8 v2, v[0:1], off
	s_mov_b32 s54, 0
	s_mov_b32 s0, -1
	s_waitcnt vmcnt(0)
	v_cmp_ne_u16_e32 vcc_lo, 0, v2
	v_cndmask_b32_e64 v42, 0, 1.0, vcc_lo
	s_branch .LBB44_334
.LBB44_333:
	s_mov_b32 s54, -1
                                        ; implicit-def: $vgpr42
.LBB44_334:
	s_branch .LBB44_136
.LBB44_335:
	v_cmp_lt_i16_e64 s0, s46, 5
	s_delay_alu instid0(VALU_DEP_1)
	s_and_b32 vcc_lo, exec_lo, s0
	s_cbranch_vccnz .LBB44_340
; %bb.336:
	v_cmp_lt_i16_e64 s0, s46, 8
	s_delay_alu instid0(VALU_DEP_1)
	s_and_b32 vcc_lo, exec_lo, s0
	s_cbranch_vccnz .LBB44_341
; %bb.337:
	;; [unrolled: 5-line block ×3, first 2 shown]
	v_cmp_gt_i16_e64 s0, s46, 9
	s_delay_alu instid0(VALU_DEP_1)
	s_and_b32 vcc_lo, exec_lo, s0
	s_cbranch_vccz .LBB44_343
; %bb.339:
	global_load_b64 v[2:3], v[0:1], off
	s_mov_b32 s0, 0
	s_waitcnt vmcnt(0)
	v_cvt_f32_f64_e32 v42, v[2:3]
	s_branch .LBB44_344
.LBB44_340:
	s_mov_b32 s0, -1
                                        ; implicit-def: $vgpr42
	s_branch .LBB44_362
.LBB44_341:
	s_mov_b32 s0, -1
                                        ; implicit-def: $vgpr42
	s_branch .LBB44_350
.LBB44_342:
	s_mov_b32 s0, -1
                                        ; implicit-def: $vgpr42
	s_branch .LBB44_347
.LBB44_343:
	s_mov_b32 s0, -1
                                        ; implicit-def: $vgpr42
.LBB44_344:
	s_delay_alu instid0(SALU_CYCLE_1)
	s_and_not1_b32 vcc_lo, exec_lo, s0
	s_cbranch_vccnz .LBB44_346
; %bb.345:
	global_load_b32 v42, v[0:1], off
.LBB44_346:
	s_mov_b32 s0, 0
.LBB44_347:
	s_delay_alu instid0(SALU_CYCLE_1)
	s_and_not1_b32 vcc_lo, exec_lo, s0
	s_cbranch_vccnz .LBB44_349
; %bb.348:
	global_load_b32 v2, v[0:1], off
	s_waitcnt vmcnt(0)
	v_cvt_f32_f16_e32 v42, v2
.LBB44_349:
	s_mov_b32 s0, 0
.LBB44_350:
	s_delay_alu instid0(SALU_CYCLE_1)
	s_and_not1_b32 vcc_lo, exec_lo, s0
	s_cbranch_vccnz .LBB44_361
; %bb.351:
	v_cmp_lt_i16_e64 s0, s46, 6
	s_delay_alu instid0(VALU_DEP_1)
	s_and_b32 vcc_lo, exec_lo, s0
	s_cbranch_vccnz .LBB44_354
; %bb.352:
	v_cmp_gt_i16_e64 s0, s46, 6
	s_delay_alu instid0(VALU_DEP_1)
	s_and_b32 vcc_lo, exec_lo, s0
	s_cbranch_vccz .LBB44_355
; %bb.353:
	global_load_b64 v[2:3], v[0:1], off
	s_mov_b32 s0, 0
	s_waitcnt vmcnt(0)
	v_cvt_f32_f64_e32 v42, v[2:3]
	s_branch .LBB44_356
.LBB44_354:
	s_mov_b32 s0, -1
                                        ; implicit-def: $vgpr42
	s_branch .LBB44_359
.LBB44_355:
	s_mov_b32 s0, -1
                                        ; implicit-def: $vgpr42
.LBB44_356:
	s_delay_alu instid0(SALU_CYCLE_1)
	s_and_not1_b32 vcc_lo, exec_lo, s0
	s_cbranch_vccnz .LBB44_358
; %bb.357:
	global_load_b32 v42, v[0:1], off
.LBB44_358:
	s_mov_b32 s0, 0
.LBB44_359:
	s_delay_alu instid0(SALU_CYCLE_1)
	s_and_not1_b32 vcc_lo, exec_lo, s0
	s_cbranch_vccnz .LBB44_361
; %bb.360:
	global_load_u16 v2, v[0:1], off
	s_waitcnt vmcnt(0)
	v_cvt_f32_f16_e32 v42, v2
.LBB44_361:
	s_mov_b32 s0, 0
.LBB44_362:
	s_delay_alu instid0(SALU_CYCLE_1)
	s_and_not1_b32 vcc_lo, exec_lo, s0
	s_cbranch_vccnz .LBB44_382
; %bb.363:
	v_cmp_lt_i16_e64 s0, s46, 2
	s_delay_alu instid0(VALU_DEP_1)
	s_and_b32 vcc_lo, exec_lo, s0
	s_cbranch_vccnz .LBB44_367
; %bb.364:
	v_cmp_lt_i16_e64 s0, s46, 3
	s_delay_alu instid0(VALU_DEP_1)
	s_and_b32 vcc_lo, exec_lo, s0
	s_cbranch_vccnz .LBB44_368
; %bb.365:
	v_cmp_gt_i16_e64 s0, s46, 3
	s_delay_alu instid0(VALU_DEP_1)
	s_and_b32 vcc_lo, exec_lo, s0
	s_cbranch_vccz .LBB44_369
; %bb.366:
	global_load_b64 v[2:3], v[0:1], off
	s_mov_b32 s0, 0
	s_waitcnt vmcnt(0)
	v_xor_b32_e32 v4, v2, v3
	v_cls_i32_e32 v5, v3
	s_delay_alu instid0(VALU_DEP_2) | instskip(NEXT) | instid1(VALU_DEP_2)
	v_ashrrev_i32_e32 v4, 31, v4
	v_add_nc_u32_e32 v5, -1, v5
	s_delay_alu instid0(VALU_DEP_2) | instskip(NEXT) | instid1(VALU_DEP_1)
	v_add_nc_u32_e32 v4, 32, v4
	v_min_u32_e32 v4, v5, v4
	s_delay_alu instid0(VALU_DEP_1) | instskip(NEXT) | instid1(VALU_DEP_1)
	v_lshlrev_b64 v[2:3], v4, v[2:3]
	v_min_u32_e32 v2, 1, v2
	s_delay_alu instid0(VALU_DEP_1) | instskip(SKIP_1) | instid1(VALU_DEP_2)
	v_or_b32_e32 v2, v3, v2
	v_sub_nc_u32_e32 v3, 32, v4
	v_cvt_f32_i32_e32 v2, v2
	s_delay_alu instid0(VALU_DEP_1)
	v_ldexp_f32 v42, v2, v3
	s_branch .LBB44_370
.LBB44_367:
	s_mov_b32 s0, -1
                                        ; implicit-def: $vgpr42
	s_branch .LBB44_376
.LBB44_368:
	s_mov_b32 s0, -1
                                        ; implicit-def: $vgpr42
	s_branch .LBB44_373
.LBB44_369:
	s_mov_b32 s0, -1
                                        ; implicit-def: $vgpr42
.LBB44_370:
	s_delay_alu instid0(SALU_CYCLE_1)
	s_and_not1_b32 vcc_lo, exec_lo, s0
	s_cbranch_vccnz .LBB44_372
; %bb.371:
	global_load_b32 v2, v[0:1], off
	s_waitcnt vmcnt(0)
	v_cvt_f32_i32_e32 v42, v2
.LBB44_372:
	s_mov_b32 s0, 0
.LBB44_373:
	s_delay_alu instid0(SALU_CYCLE_1)
	s_and_not1_b32 vcc_lo, exec_lo, s0
	s_cbranch_vccnz .LBB44_375
; %bb.374:
	global_load_i16 v2, v[0:1], off
	s_waitcnt vmcnt(0)
	v_cvt_f32_i32_e32 v42, v2
.LBB44_375:
	s_mov_b32 s0, 0
.LBB44_376:
	s_delay_alu instid0(SALU_CYCLE_1)
	s_and_not1_b32 vcc_lo, exec_lo, s0
	s_cbranch_vccnz .LBB44_382
; %bb.377:
	v_cmp_gt_i16_e64 s0, s46, 0
	s_delay_alu instid0(VALU_DEP_1)
	s_and_b32 vcc_lo, exec_lo, s0
	s_mov_b32 s0, 0
	s_cbranch_vccz .LBB44_379
; %bb.378:
	global_load_i8 v2, v[0:1], off
	s_waitcnt vmcnt(0)
	v_cvt_f32_i32_e32 v42, v2
	s_branch .LBB44_380
.LBB44_379:
	s_mov_b32 s0, -1
                                        ; implicit-def: $vgpr42
.LBB44_380:
	s_delay_alu instid0(SALU_CYCLE_1)
	s_and_not1_b32 vcc_lo, exec_lo, s0
	s_cbranch_vccnz .LBB44_382
; %bb.381:
	global_load_u8 v0, v[0:1], off
	s_waitcnt vmcnt(0)
	v_cvt_f32_ubyte0_e32 v42, v0
.LBB44_382:
	s_branch .LBB44_137
.LBB44_383:
	s_mov_b32 s0, 0
.LBB44_384:
	s_mov_b32 s1, 0
                                        ; implicit-def: $vgpr45
.LBB44_385:
	s_and_b32 s53, s0, exec_lo
	s_and_b32 s54, s54, exec_lo
	;; [unrolled: 1-line block ×3, first 2 shown]
	s_or_not1_b32 s0, s1, exec_lo
.LBB44_386:
	s_or_b32 exec_lo, exec_lo, s56
	s_mov_b32 s2, 0
	s_mov_b32 s1, 0
                                        ; implicit-def: $vgpr2
                                        ; implicit-def: $vgpr0_vgpr1
                                        ; implicit-def: $vgpr40
	s_and_saveexec_b32 s56, s0
	s_cbranch_execz .LBB44_1262
; %bb.387:
	s_mov_b32 s1, -1
	s_mov_b32 s57, s55
	s_mov_b32 s59, s54
	;; [unrolled: 1-line block ×3, first 2 shown]
	s_mov_b32 s60, exec_lo
	v_cmpx_gt_i32_e64 s52, v45
	s_cbranch_execz .LBB44_781
; %bb.388:
	v_mul_lo_u32 v0, v45, s41
	v_and_b32_e64 v2, 0xff, s49
	s_delay_alu instid0(VALU_DEP_1) | instskip(NEXT) | instid1(VALU_DEP_3)
	v_cmp_gt_i16_e32 vcc_lo, 11, v2
	v_ashrrev_i32_e32 v1, 31, v0
	v_add_co_u32 v0, s0, s38, v0
	s_delay_alu instid0(VALU_DEP_1)
	v_add_co_ci_u32_e64 v1, s0, s39, v1, s0
	s_cbranch_vccnz .LBB44_395
; %bb.389:
	v_cmp_lt_i16_e32 vcc_lo, 25, v2
	s_cbranch_vccz .LBB44_404
; %bb.390:
	v_cmp_lt_i16_e32 vcc_lo, 28, v2
	s_cbranch_vccz .LBB44_406
	;; [unrolled: 3-line block ×4, first 2 shown]
; %bb.393:
	v_cmp_eq_u16_e32 vcc_lo, 46, v2
	s_mov_b32 s1, 0
	s_cbranch_vccz .LBB44_414
; %bb.394:
	global_load_b32 v3, v[0:1], off
	s_mov_b32 s0, -1
	s_mov_b32 s57, 0
	s_waitcnt vmcnt(0)
	v_lshlrev_b32_e32 v40, 16, v3
	s_branch .LBB44_416
.LBB44_395:
	s_mov_b32 s0, 0
	s_mov_b32 s57, s55
                                        ; implicit-def: $vgpr40
	s_and_b32 vcc_lo, exec_lo, s1
	s_cbranch_vccnz .LBB44_482
.LBB44_396:
	s_and_not1_b32 vcc_lo, exec_lo, s0
	s_cbranch_vccnz .LBB44_530
.LBB44_397:
	v_mul_lo_u32 v0, v45, s42
	v_cmp_lt_i16_e64 s0, s46, 11
	s_delay_alu instid0(VALU_DEP_2) | instskip(SKIP_1) | instid1(VALU_DEP_2)
	v_ashrrev_i32_e32 v1, 31, v0
	v_add_co_u32 v0, vcc_lo, s44, v0
	v_add_co_ci_u32_e32 v1, vcc_lo, s45, v1, vcc_lo
	s_delay_alu instid0(VALU_DEP_4)
	s_and_b32 vcc_lo, exec_lo, s0
	s_cbranch_vccnz .LBB44_405
; %bb.398:
	v_cmp_gt_i16_e64 s0, s46, 25
	s_delay_alu instid0(VALU_DEP_1)
	s_and_b32 vcc_lo, exec_lo, s0
	s_cbranch_vccz .LBB44_407
; %bb.399:
	v_cmp_gt_i16_e64 s0, s46, 28
	s_delay_alu instid0(VALU_DEP_1)
	s_and_b32 vcc_lo, exec_lo, s0
	s_cbranch_vccz .LBB44_409
	;; [unrolled: 5-line block ×4, first 2 shown]
; %bb.402:
	v_cmp_eq_u16_e64 s0, s46, 46
	s_mov_b32 s1, 0
	s_delay_alu instid0(VALU_DEP_1)
	s_and_b32 vcc_lo, exec_lo, s0
	s_cbranch_vccz .LBB44_533
; %bb.403:
	global_load_b32 v2, v[0:1], off
	s_mov_b32 s0, -1
	s_mov_b32 s59, 0
	s_waitcnt vmcnt(0)
	v_lshlrev_b32_e32 v42, 16, v2
	s_branch .LBB44_535
.LBB44_404:
	s_mov_b32 s0, 0
	s_mov_b32 s57, s55
                                        ; implicit-def: $vgpr40
	s_branch .LBB44_446
.LBB44_405:
	s_mov_b32 s1, -1
	s_mov_b32 s0, 0
	s_mov_b32 s59, s54
                                        ; implicit-def: $vgpr42
	s_branch .LBB44_600
.LBB44_406:
	s_mov_b32 s0, 0
	s_mov_b32 s57, s55
                                        ; implicit-def: $vgpr40
	s_branch .LBB44_427
.LBB44_407:
	s_mov_b32 s1, -1
	s_mov_b32 s0, 0
	s_mov_b32 s59, s54
                                        ; implicit-def: $vgpr42
	s_branch .LBB44_564
.LBB44_408:
	s_mov_b32 s0, 0
	s_mov_b32 s57, s55
                                        ; implicit-def: $vgpr40
	s_branch .LBB44_422
.LBB44_409:
	s_mov_b32 s1, -1
	s_mov_b32 s0, 0
	s_mov_b32 s59, s54
                                        ; implicit-def: $vgpr42
	s_branch .LBB44_545
.LBB44_410:
	s_mov_b32 s0, 0
	s_mov_b32 s57, s55
	s_branch .LBB44_415
.LBB44_411:
	s_mov_b32 s1, -1
	s_mov_b32 s0, 0
	s_mov_b32 s59, s54
                                        ; implicit-def: $vgpr42
	s_branch .LBB44_540
.LBB44_412:
	s_or_saveexec_b32 s3, s3
                                        ; implicit-def: $sgpr4
	s_delay_alu instid0(SALU_CYCLE_1)
	s_xor_b32 exec_lo, exec_lo, s3
	s_cbranch_execz .LBB44_184
.LBB44_413:
	v_add_f32_e64 v1, 0x46000000, |v0|
	s_and_not1_b32 s2, s2, exec_lo
	s_mov_b32 s4, 0
	s_delay_alu instid0(VALU_DEP_1) | instskip(NEXT) | instid1(VALU_DEP_1)
	v_and_b32_e32 v1, 0xff, v1
	v_cmp_ne_u32_e32 vcc_lo, 0, v1
	s_and_b32 s5, vcc_lo, exec_lo
	s_delay_alu instid0(SALU_CYCLE_1)
	s_or_b32 s2, s2, s5
	s_or_b32 exec_lo, exec_lo, s3
	v_mov_b32_e32 v5, s4
	s_and_saveexec_b32 s3, s2
	s_cbranch_execnz .LBB44_185
	s_branch .LBB44_186
.LBB44_414:
	s_mov_b32 s57, -1
	s_mov_b32 s0, 0
.LBB44_415:
                                        ; implicit-def: $vgpr40
.LBB44_416:
	s_and_b32 vcc_lo, exec_lo, s1
	s_cbranch_vccz .LBB44_421
; %bb.417:
	v_cmp_eq_u16_e32 vcc_lo, 44, v2
	s_cbranch_vccz .LBB44_420
; %bb.418:
	global_load_u8 v3, v[0:1], off
	s_mov_b32 s57, 0
	s_mov_b32 s0, -1
	s_waitcnt vmcnt(0)
	v_lshlrev_b32_e32 v4, 23, v3
	v_cmp_ne_u32_e32 vcc_lo, 0xff, v3
	s_delay_alu instid0(VALU_DEP_2) | instskip(SKIP_1) | instid1(VALU_DEP_2)
	v_cndmask_b32_e32 v4, 0x7f800001, v4, vcc_lo
	v_cmp_ne_u32_e32 vcc_lo, 0, v3
	v_cndmask_b32_e32 v40, 0x400000, v4, vcc_lo
	s_branch .LBB44_421
.LBB44_419:
	s_mov_b32 s1, -1
	s_mov_b32 s0, 0
	s_mov_b32 s59, s54
	s_branch .LBB44_534
.LBB44_420:
	s_mov_b32 s57, -1
                                        ; implicit-def: $vgpr40
.LBB44_421:
	s_mov_b32 s1, 0
.LBB44_422:
	s_delay_alu instid0(SALU_CYCLE_1)
	s_and_b32 vcc_lo, exec_lo, s1
	s_cbranch_vccz .LBB44_426
; %bb.423:
	v_cmp_eq_u16_e32 vcc_lo, 29, v2
	s_cbranch_vccz .LBB44_425
; %bb.424:
	global_load_b64 v[3:4], v[0:1], off
	s_mov_b32 s0, -1
	s_mov_b32 s57, 0
	s_mov_b32 s1, 0
	s_waitcnt vmcnt(0)
	v_clz_i32_u32_e32 v5, v4
	s_delay_alu instid0(VALU_DEP_1) | instskip(NEXT) | instid1(VALU_DEP_1)
	v_min_u32_e32 v5, 32, v5
	v_lshlrev_b64 v[3:4], v5, v[3:4]
	s_delay_alu instid0(VALU_DEP_1) | instskip(NEXT) | instid1(VALU_DEP_1)
	v_min_u32_e32 v3, 1, v3
	v_or_b32_e32 v3, v4, v3
	v_sub_nc_u32_e32 v4, 32, v5
	s_delay_alu instid0(VALU_DEP_2) | instskip(NEXT) | instid1(VALU_DEP_1)
	v_cvt_f32_u32_e32 v3, v3
	v_ldexp_f32 v40, v3, v4
	s_branch .LBB44_427
.LBB44_425:
	s_mov_b32 s57, -1
                                        ; implicit-def: $vgpr40
.LBB44_426:
	s_mov_b32 s1, 0
.LBB44_427:
	s_delay_alu instid0(SALU_CYCLE_1)
	s_and_b32 vcc_lo, exec_lo, s1
	s_cbranch_vccz .LBB44_445
; %bb.428:
	v_cmp_gt_i16_e32 vcc_lo, 27, v2
	s_cbranch_vccnz .LBB44_431
; %bb.429:
	v_cmp_lt_i16_e32 vcc_lo, 27, v2
	s_cbranch_vccz .LBB44_432
; %bb.430:
	global_load_b32 v3, v[0:1], off
	s_mov_b32 s0, 0
	s_waitcnt vmcnt(0)
	v_cvt_f32_u32_e32 v40, v3
	s_branch .LBB44_433
.LBB44_431:
	s_mov_b32 s0, -1
                                        ; implicit-def: $vgpr40
	s_branch .LBB44_436
.LBB44_432:
	s_mov_b32 s0, -1
                                        ; implicit-def: $vgpr40
.LBB44_433:
	s_delay_alu instid0(SALU_CYCLE_1)
	s_and_not1_b32 vcc_lo, exec_lo, s0
	s_cbranch_vccnz .LBB44_435
; %bb.434:
	global_load_u16 v3, v[0:1], off
	s_waitcnt vmcnt(0)
	v_cvt_f32_u32_e32 v40, v3
.LBB44_435:
	s_mov_b32 s0, 0
.LBB44_436:
	s_delay_alu instid0(SALU_CYCLE_1)
	s_and_not1_b32 vcc_lo, exec_lo, s0
	s_cbranch_vccnz .LBB44_444
; %bb.437:
	global_load_u8 v3, v[0:1], off
	s_mov_b32 s0, 0
	s_mov_b32 s2, exec_lo
                                        ; implicit-def: $sgpr1
	s_waitcnt vmcnt(0)
	v_cmpx_lt_i16_e32 0x7f, v3
	s_xor_b32 s2, exec_lo, s2
	s_cbranch_execz .LBB44_458
; %bb.438:
	s_mov_b32 s0, -1
	s_mov_b32 s3, exec_lo
                                        ; implicit-def: $sgpr1
	v_cmpx_eq_u16_e32 0x80, v3
; %bb.439:
	s_mov_b32 s1, 0x7f800001
	s_xor_b32 s0, exec_lo, -1
; %bb.440:
	s_or_b32 exec_lo, exec_lo, s3
	s_delay_alu instid0(SALU_CYCLE_1)
	s_and_b32 s0, s0, exec_lo
	s_or_saveexec_b32 s2, s2
	v_mov_b32_e32 v40, s1
	s_xor_b32 exec_lo, exec_lo, s2
	s_cbranch_execnz .LBB44_459
.LBB44_441:
	s_or_b32 exec_lo, exec_lo, s2
	s_and_saveexec_b32 s1, s0
	s_cbranch_execz .LBB44_443
.LBB44_442:
	v_and_b32_e32 v4, 0xffff, v3
	v_lshlrev_b32_e32 v3, 24, v3
	s_delay_alu instid0(VALU_DEP_2) | instskip(NEXT) | instid1(VALU_DEP_2)
	v_and_b32_e32 v5, 7, v4
	v_and_b32_e32 v3, 0x80000000, v3
	s_delay_alu instid0(VALU_DEP_2) | instskip(NEXT) | instid1(VALU_DEP_1)
	v_clz_i32_u32_e32 v6, v5
	v_min_u32_e32 v6, 32, v6
	s_delay_alu instid0(VALU_DEP_1) | instskip(SKIP_1) | instid1(VALU_DEP_2)
	v_subrev_nc_u32_e32 v7, 28, v6
	v_sub_nc_u32_e32 v6, 29, v6
	v_lshlrev_b32_e32 v7, v7, v4
	v_bfe_u32 v4, v4, 3, 4
	s_delay_alu instid0(VALU_DEP_2) | instskip(NEXT) | instid1(VALU_DEP_2)
	v_and_b32_e32 v7, 7, v7
	v_cmp_eq_u32_e32 vcc_lo, 0, v4
	s_delay_alu instid0(VALU_DEP_2) | instskip(NEXT) | instid1(VALU_DEP_1)
	v_dual_cndmask_b32 v4, v4, v6 :: v_dual_cndmask_b32 v5, v5, v7
	v_lshl_add_u32 v4, v4, 23, 0x3b800000
	s_delay_alu instid0(VALU_DEP_2) | instskip(NEXT) | instid1(VALU_DEP_1)
	v_lshlrev_b32_e32 v5, 20, v5
	v_or3_b32 v40, v3, v4, v5
.LBB44_443:
	s_or_b32 exec_lo, exec_lo, s1
.LBB44_444:
	s_mov_b32 s0, -1
.LBB44_445:
	s_mov_b32 s1, 0
.LBB44_446:
	s_delay_alu instid0(SALU_CYCLE_1)
	s_and_b32 vcc_lo, exec_lo, s1
	s_cbranch_vccz .LBB44_481
; %bb.447:
	v_cmp_lt_i16_e32 vcc_lo, 22, v2
	s_cbranch_vccz .LBB44_457
; %bb.448:
	v_cmp_gt_i16_e32 vcc_lo, 24, v2
	s_cbranch_vccnz .LBB44_460
; %bb.449:
	v_cmp_lt_i16_e32 vcc_lo, 24, v2
	s_cbranch_vccz .LBB44_461
; %bb.450:
	global_load_u8 v3, v[0:1], off
	s_mov_b32 s0, 0
	s_mov_b32 s2, exec_lo
                                        ; implicit-def: $sgpr1
	s_waitcnt vmcnt(0)
	v_cmpx_lt_i16_e32 0x7f, v3
	s_xor_b32 s2, exec_lo, s2
	s_cbranch_execz .LBB44_473
; %bb.451:
	s_mov_b32 s0, -1
	s_mov_b32 s3, exec_lo
                                        ; implicit-def: $sgpr1
	v_cmpx_eq_u16_e32 0x80, v3
; %bb.452:
	s_mov_b32 s1, 0x7f800001
	s_xor_b32 s0, exec_lo, -1
; %bb.453:
	s_or_b32 exec_lo, exec_lo, s3
	s_delay_alu instid0(SALU_CYCLE_1)
	s_and_b32 s0, s0, exec_lo
	s_or_saveexec_b32 s2, s2
	v_mov_b32_e32 v40, s1
	s_xor_b32 exec_lo, exec_lo, s2
	s_cbranch_execnz .LBB44_474
.LBB44_454:
	s_or_b32 exec_lo, exec_lo, s2
	s_and_saveexec_b32 s1, s0
	s_cbranch_execz .LBB44_456
.LBB44_455:
	v_and_b32_e32 v4, 0xffff, v3
	v_lshlrev_b32_e32 v3, 24, v3
	s_delay_alu instid0(VALU_DEP_2) | instskip(NEXT) | instid1(VALU_DEP_2)
	v_and_b32_e32 v5, 3, v4
	v_and_b32_e32 v3, 0x80000000, v3
	s_delay_alu instid0(VALU_DEP_2) | instskip(NEXT) | instid1(VALU_DEP_1)
	v_clz_i32_u32_e32 v6, v5
	v_min_u32_e32 v6, 32, v6
	s_delay_alu instid0(VALU_DEP_1) | instskip(SKIP_1) | instid1(VALU_DEP_2)
	v_subrev_nc_u32_e32 v7, 29, v6
	v_sub_nc_u32_e32 v6, 30, v6
	v_lshlrev_b32_e32 v7, v7, v4
	v_bfe_u32 v4, v4, 2, 5
	s_delay_alu instid0(VALU_DEP_2) | instskip(NEXT) | instid1(VALU_DEP_2)
	v_and_b32_e32 v7, 3, v7
	v_cmp_eq_u32_e32 vcc_lo, 0, v4
	s_delay_alu instid0(VALU_DEP_2) | instskip(NEXT) | instid1(VALU_DEP_1)
	v_dual_cndmask_b32 v4, v4, v6 :: v_dual_cndmask_b32 v5, v5, v7
	v_lshl_add_u32 v4, v4, 23, 0x37800000
	s_delay_alu instid0(VALU_DEP_2) | instskip(NEXT) | instid1(VALU_DEP_1)
	v_lshlrev_b32_e32 v5, 21, v5
	v_or3_b32 v40, v3, v4, v5
.LBB44_456:
	s_or_b32 exec_lo, exec_lo, s1
	s_mov_b32 s0, 0
	s_branch .LBB44_462
.LBB44_457:
	s_mov_b32 s1, -1
                                        ; implicit-def: $vgpr40
	s_branch .LBB44_468
.LBB44_458:
	s_or_saveexec_b32 s2, s2
	v_mov_b32_e32 v40, s1
	s_xor_b32 exec_lo, exec_lo, s2
	s_cbranch_execz .LBB44_441
.LBB44_459:
	v_cmp_ne_u16_e32 vcc_lo, 0, v3
	v_mov_b32_e32 v40, 0
	s_and_not1_b32 s0, s0, exec_lo
	s_and_b32 s1, vcc_lo, exec_lo
	s_delay_alu instid0(SALU_CYCLE_1)
	s_or_b32 s0, s0, s1
	s_or_b32 exec_lo, exec_lo, s2
	s_and_saveexec_b32 s1, s0
	s_cbranch_execnz .LBB44_442
	s_branch .LBB44_443
.LBB44_460:
	s_mov_b32 s0, -1
                                        ; implicit-def: $vgpr40
	s_branch .LBB44_465
.LBB44_461:
	s_mov_b32 s0, -1
                                        ; implicit-def: $vgpr40
.LBB44_462:
	s_delay_alu instid0(SALU_CYCLE_1)
	s_and_b32 vcc_lo, exec_lo, s0
	s_cbranch_vccz .LBB44_464
; %bb.463:
	global_load_u8 v3, v[0:1], off
	s_waitcnt vmcnt(0)
	v_lshlrev_b32_e32 v3, 24, v3
	s_delay_alu instid0(VALU_DEP_1) | instskip(NEXT) | instid1(VALU_DEP_1)
	v_and_b32_e32 v4, 0x7f000000, v3
	v_clz_i32_u32_e32 v5, v4
	v_add_nc_u32_e32 v7, 0x1000000, v4
	v_cmp_ne_u32_e32 vcc_lo, 0, v4
	s_delay_alu instid0(VALU_DEP_3) | instskip(NEXT) | instid1(VALU_DEP_1)
	v_min_u32_e32 v5, 32, v5
	v_sub_nc_u32_e64 v5, v5, 4 clamp
	s_delay_alu instid0(VALU_DEP_1) | instskip(SKIP_1) | instid1(VALU_DEP_2)
	v_lshlrev_b32_e32 v6, v5, v4
	v_lshlrev_b32_e32 v5, 23, v5
	v_lshrrev_b32_e32 v6, 4, v6
	s_delay_alu instid0(VALU_DEP_1) | instskip(SKIP_1) | instid1(VALU_DEP_2)
	v_sub_nc_u32_e32 v5, v6, v5
	v_ashrrev_i32_e32 v6, 8, v7
	v_add_nc_u32_e32 v5, 0x3c000000, v5
	s_delay_alu instid0(VALU_DEP_1) | instskip(NEXT) | instid1(VALU_DEP_1)
	v_and_or_b32 v5, 0x7f800000, v6, v5
	v_cndmask_b32_e32 v4, 0, v5, vcc_lo
	s_delay_alu instid0(VALU_DEP_1)
	v_and_or_b32 v40, 0x80000000, v3, v4
.LBB44_464:
	s_mov_b32 s0, 0
.LBB44_465:
	s_delay_alu instid0(SALU_CYCLE_1)
	s_and_not1_b32 vcc_lo, exec_lo, s0
	s_cbranch_vccnz .LBB44_467
; %bb.466:
	global_load_u8 v3, v[0:1], off
	s_waitcnt vmcnt(0)
	v_lshlrev_b32_e32 v4, 25, v3
	v_lshlrev_b16 v3, 8, v3
	s_delay_alu instid0(VALU_DEP_2) | instskip(NEXT) | instid1(VALU_DEP_2)
	v_lshrrev_b32_e32 v5, 4, v4
	v_and_or_b32 v6, 0x7f00, v3, 0.5
	v_bfe_i32 v3, v3, 0, 16
	s_delay_alu instid0(VALU_DEP_3) | instskip(NEXT) | instid1(VALU_DEP_1)
	v_or_b32_e32 v5, 0x70000000, v5
	v_dual_add_f32 v6, -0.5, v6 :: v_dual_mul_f32 v5, 0x7800000, v5
	v_cmp_gt_u32_e32 vcc_lo, 0x8000000, v4
	s_delay_alu instid0(VALU_DEP_2) | instskip(NEXT) | instid1(VALU_DEP_1)
	v_cndmask_b32_e32 v4, v5, v6, vcc_lo
	v_and_or_b32 v40, 0x80000000, v3, v4
.LBB44_467:
	s_mov_b32 s1, 0
	s_mov_b32 s0, -1
.LBB44_468:
	s_and_not1_b32 vcc_lo, exec_lo, s1
	s_cbranch_vccnz .LBB44_481
; %bb.469:
	v_cmp_lt_i16_e32 vcc_lo, 14, v2
	s_cbranch_vccz .LBB44_472
; %bb.470:
	v_cmp_eq_u16_e32 vcc_lo, 15, v2
	s_cbranch_vccz .LBB44_475
; %bb.471:
	global_load_u16 v3, v[0:1], off
	s_mov_b32 s0, -1
	s_mov_b32 s57, 0
	s_waitcnt vmcnt(0)
	v_lshlrev_b32_e32 v40, 16, v3
	s_branch .LBB44_476
.LBB44_472:
	s_mov_b32 s1, -1
                                        ; implicit-def: $vgpr40
	s_branch .LBB44_477
.LBB44_473:
	s_or_saveexec_b32 s2, s2
	v_mov_b32_e32 v40, s1
	s_xor_b32 exec_lo, exec_lo, s2
	s_cbranch_execz .LBB44_454
.LBB44_474:
	v_cmp_ne_u16_e32 vcc_lo, 0, v3
	v_mov_b32_e32 v40, 0
	s_and_not1_b32 s0, s0, exec_lo
	s_and_b32 s1, vcc_lo, exec_lo
	s_delay_alu instid0(SALU_CYCLE_1)
	s_or_b32 s0, s0, s1
	s_or_b32 exec_lo, exec_lo, s2
	s_and_saveexec_b32 s1, s0
	s_cbranch_execnz .LBB44_455
	s_branch .LBB44_456
.LBB44_475:
	s_mov_b32 s57, -1
                                        ; implicit-def: $vgpr40
.LBB44_476:
	s_mov_b32 s1, 0
.LBB44_477:
	s_delay_alu instid0(SALU_CYCLE_1)
	s_and_b32 vcc_lo, exec_lo, s1
	s_cbranch_vccz .LBB44_481
; %bb.478:
	v_cmp_eq_u16_e32 vcc_lo, 11, v2
	s_cbranch_vccz .LBB44_480
; %bb.479:
	global_load_u8 v3, v[0:1], off
	s_mov_b32 s57, 0
	s_mov_b32 s0, -1
	s_waitcnt vmcnt(0)
	v_cmp_ne_u16_e32 vcc_lo, 0, v3
	v_cndmask_b32_e64 v40, 0, 1.0, vcc_lo
	s_branch .LBB44_481
.LBB44_480:
	s_mov_b32 s57, -1
                                        ; implicit-def: $vgpr40
.LBB44_481:
	s_branch .LBB44_396
.LBB44_482:
	v_cmp_gt_i16_e32 vcc_lo, 5, v2
	s_cbranch_vccnz .LBB44_487
; %bb.483:
	v_cmp_gt_i16_e32 vcc_lo, 8, v2
	s_cbranch_vccnz .LBB44_488
; %bb.484:
	;; [unrolled: 3-line block ×3, first 2 shown]
	v_cmp_lt_i16_e32 vcc_lo, 9, v2
	s_cbranch_vccz .LBB44_490
; %bb.486:
	global_load_b64 v[3:4], v[0:1], off
	s_mov_b32 s0, 0
	s_waitcnt vmcnt(0)
	v_cvt_f32_f64_e32 v40, v[3:4]
	s_branch .LBB44_491
.LBB44_487:
	s_mov_b32 s0, -1
                                        ; implicit-def: $vgpr40
	s_branch .LBB44_509
.LBB44_488:
	s_mov_b32 s0, -1
                                        ; implicit-def: $vgpr40
	s_branch .LBB44_497
.LBB44_489:
	s_mov_b32 s0, -1
                                        ; implicit-def: $vgpr40
	s_branch .LBB44_494
.LBB44_490:
	s_mov_b32 s0, -1
                                        ; implicit-def: $vgpr40
.LBB44_491:
	s_delay_alu instid0(SALU_CYCLE_1)
	s_and_not1_b32 vcc_lo, exec_lo, s0
	s_cbranch_vccnz .LBB44_493
; %bb.492:
	global_load_b32 v40, v[0:1], off
.LBB44_493:
	s_mov_b32 s0, 0
.LBB44_494:
	s_delay_alu instid0(SALU_CYCLE_1)
	s_and_not1_b32 vcc_lo, exec_lo, s0
	s_cbranch_vccnz .LBB44_496
; %bb.495:
	global_load_b32 v3, v[0:1], off
	s_waitcnt vmcnt(0)
	v_cvt_f32_f16_e32 v40, v3
.LBB44_496:
	s_mov_b32 s0, 0
.LBB44_497:
	s_delay_alu instid0(SALU_CYCLE_1)
	s_and_not1_b32 vcc_lo, exec_lo, s0
	s_cbranch_vccnz .LBB44_508
; %bb.498:
	v_cmp_gt_i16_e32 vcc_lo, 6, v2
	s_cbranch_vccnz .LBB44_501
; %bb.499:
	v_cmp_lt_i16_e32 vcc_lo, 6, v2
	s_cbranch_vccz .LBB44_502
; %bb.500:
	global_load_b64 v[3:4], v[0:1], off
	s_mov_b32 s0, 0
	s_waitcnt vmcnt(0)
	v_cvt_f32_f64_e32 v40, v[3:4]
	s_branch .LBB44_503
.LBB44_501:
	s_mov_b32 s0, -1
                                        ; implicit-def: $vgpr40
	s_branch .LBB44_506
.LBB44_502:
	s_mov_b32 s0, -1
                                        ; implicit-def: $vgpr40
.LBB44_503:
	s_delay_alu instid0(SALU_CYCLE_1)
	s_and_not1_b32 vcc_lo, exec_lo, s0
	s_cbranch_vccnz .LBB44_505
; %bb.504:
	global_load_b32 v40, v[0:1], off
.LBB44_505:
	s_mov_b32 s0, 0
.LBB44_506:
	s_delay_alu instid0(SALU_CYCLE_1)
	s_and_not1_b32 vcc_lo, exec_lo, s0
	s_cbranch_vccnz .LBB44_508
; %bb.507:
	global_load_u16 v3, v[0:1], off
	s_waitcnt vmcnt(0)
	v_cvt_f32_f16_e32 v40, v3
.LBB44_508:
	s_mov_b32 s0, 0
.LBB44_509:
	s_delay_alu instid0(SALU_CYCLE_1)
	s_and_not1_b32 vcc_lo, exec_lo, s0
	s_cbranch_vccnz .LBB44_529
; %bb.510:
	v_cmp_gt_i16_e32 vcc_lo, 2, v2
	s_cbranch_vccnz .LBB44_514
; %bb.511:
	v_cmp_gt_i16_e32 vcc_lo, 3, v2
	s_cbranch_vccnz .LBB44_515
; %bb.512:
	v_cmp_lt_i16_e32 vcc_lo, 3, v2
	s_cbranch_vccz .LBB44_516
; %bb.513:
	global_load_b64 v[3:4], v[0:1], off
	s_mov_b32 s0, 0
	s_waitcnt vmcnt(0)
	v_xor_b32_e32 v5, v3, v4
	v_cls_i32_e32 v6, v4
	s_delay_alu instid0(VALU_DEP_2) | instskip(NEXT) | instid1(VALU_DEP_2)
	v_ashrrev_i32_e32 v5, 31, v5
	v_add_nc_u32_e32 v6, -1, v6
	s_delay_alu instid0(VALU_DEP_2) | instskip(NEXT) | instid1(VALU_DEP_1)
	v_add_nc_u32_e32 v5, 32, v5
	v_min_u32_e32 v5, v6, v5
	s_delay_alu instid0(VALU_DEP_1) | instskip(NEXT) | instid1(VALU_DEP_1)
	v_lshlrev_b64 v[3:4], v5, v[3:4]
	v_min_u32_e32 v3, 1, v3
	s_delay_alu instid0(VALU_DEP_1) | instskip(SKIP_1) | instid1(VALU_DEP_2)
	v_or_b32_e32 v3, v4, v3
	v_sub_nc_u32_e32 v4, 32, v5
	v_cvt_f32_i32_e32 v3, v3
	s_delay_alu instid0(VALU_DEP_1)
	v_ldexp_f32 v40, v3, v4
	s_branch .LBB44_517
.LBB44_514:
	s_mov_b32 s0, -1
                                        ; implicit-def: $vgpr40
	s_branch .LBB44_523
.LBB44_515:
	s_mov_b32 s0, -1
                                        ; implicit-def: $vgpr40
	s_branch .LBB44_520
.LBB44_516:
	s_mov_b32 s0, -1
                                        ; implicit-def: $vgpr40
.LBB44_517:
	s_delay_alu instid0(SALU_CYCLE_1)
	s_and_not1_b32 vcc_lo, exec_lo, s0
	s_cbranch_vccnz .LBB44_519
; %bb.518:
	global_load_b32 v3, v[0:1], off
	s_waitcnt vmcnt(0)
	v_cvt_f32_i32_e32 v40, v3
.LBB44_519:
	s_mov_b32 s0, 0
.LBB44_520:
	s_delay_alu instid0(SALU_CYCLE_1)
	s_and_not1_b32 vcc_lo, exec_lo, s0
	s_cbranch_vccnz .LBB44_522
; %bb.521:
	global_load_i16 v3, v[0:1], off
	s_waitcnt vmcnt(0)
	v_cvt_f32_i32_e32 v40, v3
.LBB44_522:
	s_mov_b32 s0, 0
.LBB44_523:
	s_delay_alu instid0(SALU_CYCLE_1)
	s_and_not1_b32 vcc_lo, exec_lo, s0
	s_cbranch_vccnz .LBB44_529
; %bb.524:
	v_cmp_lt_i16_e32 vcc_lo, 0, v2
	s_mov_b32 s0, 0
	s_cbranch_vccz .LBB44_526
; %bb.525:
	global_load_i8 v2, v[0:1], off
	s_waitcnt vmcnt(0)
	v_cvt_f32_i32_e32 v40, v2
	s_branch .LBB44_527
.LBB44_526:
	s_mov_b32 s0, -1
                                        ; implicit-def: $vgpr40
.LBB44_527:
	s_delay_alu instid0(SALU_CYCLE_1)
	s_and_not1_b32 vcc_lo, exec_lo, s0
	s_cbranch_vccnz .LBB44_529
; %bb.528:
	global_load_u8 v0, v[0:1], off
	s_waitcnt vmcnt(0)
	v_cvt_f32_ubyte0_e32 v40, v0
.LBB44_529:
	s_branch .LBB44_397
.LBB44_530:
	s_mov_b32 s1, 0
	s_mov_b32 s0, s53
	;; [unrolled: 1-line block ×3, first 2 shown]
	s_branch .LBB44_779
.LBB44_531:
	s_or_saveexec_b32 s3, s3
                                        ; implicit-def: $sgpr4
	s_delay_alu instid0(SALU_CYCLE_1)
	s_xor_b32 exec_lo, exec_lo, s3
	s_cbranch_execz .LBB44_197
.LBB44_532:
	v_add_f32_e64 v1, 0x42800000, |v0|
	s_and_not1_b32 s2, s2, exec_lo
	s_mov_b32 s4, 0
	s_delay_alu instid0(VALU_DEP_1) | instskip(NEXT) | instid1(VALU_DEP_1)
	v_and_b32_e32 v1, 0xff, v1
	v_cmp_ne_u32_e32 vcc_lo, 0, v1
	s_and_b32 s5, vcc_lo, exec_lo
	s_delay_alu instid0(SALU_CYCLE_1)
	s_or_b32 s2, s2, s5
	s_or_b32 exec_lo, exec_lo, s3
	v_mov_b32_e32 v5, s4
	s_and_saveexec_b32 s3, s2
	s_cbranch_execnz .LBB44_198
	s_branch .LBB44_199
.LBB44_533:
	s_mov_b32 s59, -1
	s_mov_b32 s0, 0
.LBB44_534:
                                        ; implicit-def: $vgpr42
.LBB44_535:
	s_and_b32 vcc_lo, exec_lo, s1
	s_cbranch_vccz .LBB44_539
; %bb.536:
	v_cmp_eq_u16_e64 s1, s46, 44
	s_delay_alu instid0(VALU_DEP_1)
	s_and_b32 vcc_lo, exec_lo, s1
	s_cbranch_vccz .LBB44_538
; %bb.537:
	global_load_u8 v2, v[0:1], off
	s_mov_b32 s59, 0
	s_mov_b32 s0, -1
	s_waitcnt vmcnt(0)
	v_lshlrev_b32_e32 v3, 23, v2
	v_cmp_ne_u32_e32 vcc_lo, 0xff, v2
	s_delay_alu instid0(VALU_DEP_2) | instskip(SKIP_1) | instid1(VALU_DEP_2)
	v_cndmask_b32_e32 v3, 0x7f800001, v3, vcc_lo
	v_cmp_ne_u32_e32 vcc_lo, 0, v2
	v_cndmask_b32_e32 v42, 0x400000, v3, vcc_lo
	s_branch .LBB44_539
.LBB44_538:
	s_mov_b32 s59, -1
                                        ; implicit-def: $vgpr42
.LBB44_539:
	s_mov_b32 s1, 0
.LBB44_540:
	s_delay_alu instid0(SALU_CYCLE_1)
	s_and_b32 vcc_lo, exec_lo, s1
	s_cbranch_vccz .LBB44_544
; %bb.541:
	v_cmp_eq_u16_e64 s1, s46, 29
	s_delay_alu instid0(VALU_DEP_1)
	s_and_b32 vcc_lo, exec_lo, s1
	s_cbranch_vccz .LBB44_543
; %bb.542:
	global_load_b64 v[2:3], v[0:1], off
	s_mov_b32 s0, -1
	s_mov_b32 s59, 0
	s_mov_b32 s1, 0
	s_waitcnt vmcnt(0)
	v_clz_i32_u32_e32 v4, v3
	s_delay_alu instid0(VALU_DEP_1) | instskip(NEXT) | instid1(VALU_DEP_1)
	v_min_u32_e32 v4, 32, v4
	v_lshlrev_b64 v[2:3], v4, v[2:3]
	s_delay_alu instid0(VALU_DEP_1) | instskip(NEXT) | instid1(VALU_DEP_1)
	v_min_u32_e32 v2, 1, v2
	v_or_b32_e32 v2, v3, v2
	v_sub_nc_u32_e32 v3, 32, v4
	s_delay_alu instid0(VALU_DEP_2) | instskip(NEXT) | instid1(VALU_DEP_1)
	v_cvt_f32_u32_e32 v2, v2
	v_ldexp_f32 v42, v2, v3
	s_branch .LBB44_545
.LBB44_543:
	s_mov_b32 s59, -1
                                        ; implicit-def: $vgpr42
.LBB44_544:
	s_mov_b32 s1, 0
.LBB44_545:
	s_delay_alu instid0(SALU_CYCLE_1)
	s_and_b32 vcc_lo, exec_lo, s1
	s_cbranch_vccz .LBB44_563
; %bb.546:
	v_cmp_lt_i16_e64 s0, s46, 27
	s_delay_alu instid0(VALU_DEP_1)
	s_and_b32 vcc_lo, exec_lo, s0
	s_cbranch_vccnz .LBB44_549
; %bb.547:
	v_cmp_gt_i16_e64 s0, s46, 27
	s_delay_alu instid0(VALU_DEP_1)
	s_and_b32 vcc_lo, exec_lo, s0
	s_cbranch_vccz .LBB44_550
; %bb.548:
	global_load_b32 v2, v[0:1], off
	s_mov_b32 s0, 0
	s_waitcnt vmcnt(0)
	v_cvt_f32_u32_e32 v42, v2
	s_branch .LBB44_551
.LBB44_549:
	s_mov_b32 s0, -1
                                        ; implicit-def: $vgpr42
	s_branch .LBB44_554
.LBB44_550:
	s_mov_b32 s0, -1
                                        ; implicit-def: $vgpr42
.LBB44_551:
	s_delay_alu instid0(SALU_CYCLE_1)
	s_and_not1_b32 vcc_lo, exec_lo, s0
	s_cbranch_vccnz .LBB44_553
; %bb.552:
	global_load_u16 v2, v[0:1], off
	s_waitcnt vmcnt(0)
	v_cvt_f32_u32_e32 v42, v2
.LBB44_553:
	s_mov_b32 s0, 0
.LBB44_554:
	s_delay_alu instid0(SALU_CYCLE_1)
	s_and_not1_b32 vcc_lo, exec_lo, s0
	s_cbranch_vccnz .LBB44_562
; %bb.555:
	global_load_u8 v2, v[0:1], off
	s_mov_b32 s0, 0
	s_mov_b32 s2, exec_lo
                                        ; implicit-def: $sgpr1
	s_waitcnt vmcnt(0)
	v_cmpx_lt_i16_e32 0x7f, v2
	s_xor_b32 s2, exec_lo, s2
	s_cbranch_execz .LBB44_576
; %bb.556:
	s_mov_b32 s0, -1
	s_mov_b32 s3, exec_lo
                                        ; implicit-def: $sgpr1
	v_cmpx_eq_u16_e32 0x80, v2
; %bb.557:
	s_mov_b32 s1, 0x7f800001
	s_xor_b32 s0, exec_lo, -1
; %bb.558:
	s_or_b32 exec_lo, exec_lo, s3
	s_delay_alu instid0(SALU_CYCLE_1)
	s_and_b32 s0, s0, exec_lo
	s_or_saveexec_b32 s2, s2
	v_mov_b32_e32 v42, s1
	s_xor_b32 exec_lo, exec_lo, s2
	s_cbranch_execnz .LBB44_577
.LBB44_559:
	s_or_b32 exec_lo, exec_lo, s2
	s_and_saveexec_b32 s1, s0
	s_cbranch_execz .LBB44_561
.LBB44_560:
	v_and_b32_e32 v3, 0xffff, v2
	v_lshlrev_b32_e32 v2, 24, v2
	s_delay_alu instid0(VALU_DEP_2) | instskip(NEXT) | instid1(VALU_DEP_2)
	v_and_b32_e32 v4, 7, v3
	v_and_b32_e32 v2, 0x80000000, v2
	s_delay_alu instid0(VALU_DEP_2) | instskip(NEXT) | instid1(VALU_DEP_1)
	v_clz_i32_u32_e32 v5, v4
	v_min_u32_e32 v5, 32, v5
	s_delay_alu instid0(VALU_DEP_1) | instskip(SKIP_1) | instid1(VALU_DEP_2)
	v_subrev_nc_u32_e32 v6, 28, v5
	v_sub_nc_u32_e32 v5, 29, v5
	v_lshlrev_b32_e32 v6, v6, v3
	v_bfe_u32 v3, v3, 3, 4
	s_delay_alu instid0(VALU_DEP_2) | instskip(NEXT) | instid1(VALU_DEP_2)
	v_and_b32_e32 v6, 7, v6
	v_cmp_eq_u32_e32 vcc_lo, 0, v3
	s_delay_alu instid0(VALU_DEP_2) | instskip(NEXT) | instid1(VALU_DEP_1)
	v_dual_cndmask_b32 v3, v3, v5 :: v_dual_cndmask_b32 v4, v4, v6
	v_lshl_add_u32 v3, v3, 23, 0x3b800000
	s_delay_alu instid0(VALU_DEP_2) | instskip(NEXT) | instid1(VALU_DEP_1)
	v_lshlrev_b32_e32 v4, 20, v4
	v_or3_b32 v42, v2, v3, v4
.LBB44_561:
	s_or_b32 exec_lo, exec_lo, s1
.LBB44_562:
	s_mov_b32 s0, -1
.LBB44_563:
	s_mov_b32 s1, 0
.LBB44_564:
	s_delay_alu instid0(SALU_CYCLE_1)
	s_and_b32 vcc_lo, exec_lo, s1
	s_cbranch_vccz .LBB44_599
; %bb.565:
	v_cmp_gt_i16_e64 s1, s46, 22
	s_delay_alu instid0(VALU_DEP_1)
	s_and_b32 vcc_lo, exec_lo, s1
	s_cbranch_vccz .LBB44_575
; %bb.566:
	v_cmp_lt_i16_e64 s0, s46, 24
	s_delay_alu instid0(VALU_DEP_1)
	s_and_b32 vcc_lo, exec_lo, s0
	s_cbranch_vccnz .LBB44_578
; %bb.567:
	v_cmp_gt_i16_e64 s0, s46, 24
	s_delay_alu instid0(VALU_DEP_1)
	s_and_b32 vcc_lo, exec_lo, s0
	s_cbranch_vccz .LBB44_579
; %bb.568:
	global_load_u8 v2, v[0:1], off
	s_mov_b32 s0, 0
	s_mov_b32 s2, exec_lo
                                        ; implicit-def: $sgpr1
	s_waitcnt vmcnt(0)
	v_cmpx_lt_i16_e32 0x7f, v2
	s_xor_b32 s2, exec_lo, s2
	s_cbranch_execz .LBB44_591
; %bb.569:
	s_mov_b32 s0, -1
	s_mov_b32 s3, exec_lo
                                        ; implicit-def: $sgpr1
	v_cmpx_eq_u16_e32 0x80, v2
; %bb.570:
	s_mov_b32 s1, 0x7f800001
	s_xor_b32 s0, exec_lo, -1
; %bb.571:
	s_or_b32 exec_lo, exec_lo, s3
	s_delay_alu instid0(SALU_CYCLE_1)
	s_and_b32 s0, s0, exec_lo
	s_or_saveexec_b32 s2, s2
	v_mov_b32_e32 v42, s1
	s_xor_b32 exec_lo, exec_lo, s2
	s_cbranch_execnz .LBB44_592
.LBB44_572:
	s_or_b32 exec_lo, exec_lo, s2
	s_and_saveexec_b32 s1, s0
	s_cbranch_execz .LBB44_574
.LBB44_573:
	v_and_b32_e32 v3, 0xffff, v2
	v_lshlrev_b32_e32 v2, 24, v2
	s_delay_alu instid0(VALU_DEP_2) | instskip(NEXT) | instid1(VALU_DEP_2)
	v_and_b32_e32 v4, 3, v3
	v_and_b32_e32 v2, 0x80000000, v2
	s_delay_alu instid0(VALU_DEP_2) | instskip(NEXT) | instid1(VALU_DEP_1)
	v_clz_i32_u32_e32 v5, v4
	v_min_u32_e32 v5, 32, v5
	s_delay_alu instid0(VALU_DEP_1) | instskip(SKIP_1) | instid1(VALU_DEP_2)
	v_subrev_nc_u32_e32 v6, 29, v5
	v_sub_nc_u32_e32 v5, 30, v5
	v_lshlrev_b32_e32 v6, v6, v3
	v_bfe_u32 v3, v3, 2, 5
	s_delay_alu instid0(VALU_DEP_2) | instskip(NEXT) | instid1(VALU_DEP_2)
	v_and_b32_e32 v6, 3, v6
	v_cmp_eq_u32_e32 vcc_lo, 0, v3
	s_delay_alu instid0(VALU_DEP_2) | instskip(NEXT) | instid1(VALU_DEP_1)
	v_dual_cndmask_b32 v3, v3, v5 :: v_dual_cndmask_b32 v4, v4, v6
	v_lshl_add_u32 v3, v3, 23, 0x37800000
	s_delay_alu instid0(VALU_DEP_2) | instskip(NEXT) | instid1(VALU_DEP_1)
	v_lshlrev_b32_e32 v4, 21, v4
	v_or3_b32 v42, v2, v3, v4
.LBB44_574:
	s_or_b32 exec_lo, exec_lo, s1
	s_mov_b32 s0, 0
	s_branch .LBB44_580
.LBB44_575:
	s_mov_b32 s1, -1
                                        ; implicit-def: $vgpr42
	s_branch .LBB44_586
.LBB44_576:
	s_or_saveexec_b32 s2, s2
	v_mov_b32_e32 v42, s1
	s_xor_b32 exec_lo, exec_lo, s2
	s_cbranch_execz .LBB44_559
.LBB44_577:
	v_cmp_ne_u16_e32 vcc_lo, 0, v2
	v_mov_b32_e32 v42, 0
	s_and_not1_b32 s0, s0, exec_lo
	s_and_b32 s1, vcc_lo, exec_lo
	s_delay_alu instid0(SALU_CYCLE_1)
	s_or_b32 s0, s0, s1
	s_or_b32 exec_lo, exec_lo, s2
	s_and_saveexec_b32 s1, s0
	s_cbranch_execnz .LBB44_560
	s_branch .LBB44_561
.LBB44_578:
	s_mov_b32 s0, -1
                                        ; implicit-def: $vgpr42
	s_branch .LBB44_583
.LBB44_579:
	s_mov_b32 s0, -1
                                        ; implicit-def: $vgpr42
.LBB44_580:
	s_delay_alu instid0(SALU_CYCLE_1)
	s_and_b32 vcc_lo, exec_lo, s0
	s_cbranch_vccz .LBB44_582
; %bb.581:
	global_load_u8 v2, v[0:1], off
	s_waitcnt vmcnt(0)
	v_lshlrev_b32_e32 v2, 24, v2
	s_delay_alu instid0(VALU_DEP_1) | instskip(NEXT) | instid1(VALU_DEP_1)
	v_and_b32_e32 v3, 0x7f000000, v2
	v_clz_i32_u32_e32 v4, v3
	v_add_nc_u32_e32 v6, 0x1000000, v3
	v_cmp_ne_u32_e32 vcc_lo, 0, v3
	s_delay_alu instid0(VALU_DEP_3) | instskip(NEXT) | instid1(VALU_DEP_1)
	v_min_u32_e32 v4, 32, v4
	v_sub_nc_u32_e64 v4, v4, 4 clamp
	s_delay_alu instid0(VALU_DEP_1) | instskip(SKIP_1) | instid1(VALU_DEP_2)
	v_lshlrev_b32_e32 v5, v4, v3
	v_lshlrev_b32_e32 v4, 23, v4
	v_lshrrev_b32_e32 v5, 4, v5
	s_delay_alu instid0(VALU_DEP_1) | instskip(SKIP_1) | instid1(VALU_DEP_2)
	v_sub_nc_u32_e32 v4, v5, v4
	v_ashrrev_i32_e32 v5, 8, v6
	v_add_nc_u32_e32 v4, 0x3c000000, v4
	s_delay_alu instid0(VALU_DEP_1) | instskip(NEXT) | instid1(VALU_DEP_1)
	v_and_or_b32 v4, 0x7f800000, v5, v4
	v_cndmask_b32_e32 v3, 0, v4, vcc_lo
	s_delay_alu instid0(VALU_DEP_1)
	v_and_or_b32 v42, 0x80000000, v2, v3
.LBB44_582:
	s_mov_b32 s0, 0
.LBB44_583:
	s_delay_alu instid0(SALU_CYCLE_1)
	s_and_not1_b32 vcc_lo, exec_lo, s0
	s_cbranch_vccnz .LBB44_585
; %bb.584:
	global_load_u8 v2, v[0:1], off
	s_waitcnt vmcnt(0)
	v_lshlrev_b32_e32 v3, 25, v2
	v_lshlrev_b16 v2, 8, v2
	s_delay_alu instid0(VALU_DEP_2) | instskip(NEXT) | instid1(VALU_DEP_2)
	v_lshrrev_b32_e32 v4, 4, v3
	v_and_or_b32 v5, 0x7f00, v2, 0.5
	v_bfe_i32 v2, v2, 0, 16
	s_delay_alu instid0(VALU_DEP_3) | instskip(NEXT) | instid1(VALU_DEP_1)
	v_or_b32_e32 v4, 0x70000000, v4
	v_dual_add_f32 v5, -0.5, v5 :: v_dual_mul_f32 v4, 0x7800000, v4
	v_cmp_gt_u32_e32 vcc_lo, 0x8000000, v3
	s_delay_alu instid0(VALU_DEP_2) | instskip(NEXT) | instid1(VALU_DEP_1)
	v_cndmask_b32_e32 v3, v4, v5, vcc_lo
	v_and_or_b32 v42, 0x80000000, v2, v3
.LBB44_585:
	s_mov_b32 s1, 0
	s_mov_b32 s0, -1
.LBB44_586:
	s_and_not1_b32 vcc_lo, exec_lo, s1
	s_cbranch_vccnz .LBB44_599
; %bb.587:
	v_cmp_gt_i16_e64 s1, s46, 14
	s_delay_alu instid0(VALU_DEP_1)
	s_and_b32 vcc_lo, exec_lo, s1
	s_cbranch_vccz .LBB44_590
; %bb.588:
	v_cmp_eq_u16_e64 s1, s46, 15
	s_delay_alu instid0(VALU_DEP_1)
	s_and_b32 vcc_lo, exec_lo, s1
	s_cbranch_vccz .LBB44_593
; %bb.589:
	global_load_u16 v2, v[0:1], off
	s_mov_b32 s0, -1
	s_mov_b32 s59, 0
	s_waitcnt vmcnt(0)
	v_lshlrev_b32_e32 v42, 16, v2
	s_branch .LBB44_594
.LBB44_590:
	s_mov_b32 s1, -1
                                        ; implicit-def: $vgpr42
	s_branch .LBB44_595
.LBB44_591:
	s_or_saveexec_b32 s2, s2
	v_mov_b32_e32 v42, s1
	s_xor_b32 exec_lo, exec_lo, s2
	s_cbranch_execz .LBB44_572
.LBB44_592:
	v_cmp_ne_u16_e32 vcc_lo, 0, v2
	v_mov_b32_e32 v42, 0
	s_and_not1_b32 s0, s0, exec_lo
	s_and_b32 s1, vcc_lo, exec_lo
	s_delay_alu instid0(SALU_CYCLE_1)
	s_or_b32 s0, s0, s1
	s_or_b32 exec_lo, exec_lo, s2
	s_and_saveexec_b32 s1, s0
	s_cbranch_execnz .LBB44_573
	s_branch .LBB44_574
.LBB44_593:
	s_mov_b32 s59, -1
                                        ; implicit-def: $vgpr42
.LBB44_594:
	s_mov_b32 s1, 0
.LBB44_595:
	s_delay_alu instid0(SALU_CYCLE_1)
	s_and_b32 vcc_lo, exec_lo, s1
	s_cbranch_vccz .LBB44_599
; %bb.596:
	v_cmp_eq_u16_e64 s1, s46, 11
	s_delay_alu instid0(VALU_DEP_1)
	s_and_b32 vcc_lo, exec_lo, s1
	s_cbranch_vccz .LBB44_598
; %bb.597:
	global_load_u8 v2, v[0:1], off
	s_mov_b32 s59, 0
	s_mov_b32 s0, -1
	s_waitcnt vmcnt(0)
	v_cmp_ne_u16_e32 vcc_lo, 0, v2
	v_cndmask_b32_e64 v42, 0, 1.0, vcc_lo
	s_branch .LBB44_599
.LBB44_598:
	s_mov_b32 s59, -1
                                        ; implicit-def: $vgpr42
.LBB44_599:
	s_mov_b32 s1, 0
.LBB44_600:
	s_delay_alu instid0(SALU_CYCLE_1)
	s_and_b32 vcc_lo, exec_lo, s1
	s_cbranch_vccz .LBB44_649
; %bb.601:
	v_cmp_lt_i16_e64 s0, s46, 5
	s_delay_alu instid0(VALU_DEP_1)
	s_and_b32 vcc_lo, exec_lo, s0
	s_cbranch_vccnz .LBB44_606
; %bb.602:
	v_cmp_lt_i16_e64 s0, s46, 8
	s_delay_alu instid0(VALU_DEP_1)
	s_and_b32 vcc_lo, exec_lo, s0
	s_cbranch_vccnz .LBB44_607
; %bb.603:
	v_cmp_lt_i16_e64 s0, s46, 9
	s_delay_alu instid0(VALU_DEP_1)
	s_and_b32 vcc_lo, exec_lo, s0
	s_cbranch_vccnz .LBB44_608
; %bb.604:
	v_cmp_gt_i16_e64 s0, s46, 9
	s_delay_alu instid0(VALU_DEP_1)
	s_and_b32 vcc_lo, exec_lo, s0
	s_cbranch_vccz .LBB44_609
; %bb.605:
	global_load_b64 v[2:3], v[0:1], off
	s_mov_b32 s0, 0
	s_waitcnt vmcnt(0)
	v_cvt_f32_f64_e32 v42, v[2:3]
	s_branch .LBB44_610
.LBB44_606:
	s_mov_b32 s0, -1
                                        ; implicit-def: $vgpr42
	s_branch .LBB44_628
.LBB44_607:
	s_mov_b32 s0, -1
                                        ; implicit-def: $vgpr42
	s_branch .LBB44_616
.LBB44_608:
	s_mov_b32 s0, -1
                                        ; implicit-def: $vgpr42
	s_branch .LBB44_613
.LBB44_609:
	s_mov_b32 s0, -1
                                        ; implicit-def: $vgpr42
.LBB44_610:
	s_delay_alu instid0(SALU_CYCLE_1)
	s_and_not1_b32 vcc_lo, exec_lo, s0
	s_cbranch_vccnz .LBB44_612
; %bb.611:
	global_load_b32 v42, v[0:1], off
.LBB44_612:
	s_mov_b32 s0, 0
.LBB44_613:
	s_delay_alu instid0(SALU_CYCLE_1)
	s_and_not1_b32 vcc_lo, exec_lo, s0
	s_cbranch_vccnz .LBB44_615
; %bb.614:
	global_load_b32 v2, v[0:1], off
	s_waitcnt vmcnt(0)
	v_cvt_f32_f16_e32 v42, v2
.LBB44_615:
	s_mov_b32 s0, 0
.LBB44_616:
	s_delay_alu instid0(SALU_CYCLE_1)
	s_and_not1_b32 vcc_lo, exec_lo, s0
	s_cbranch_vccnz .LBB44_627
; %bb.617:
	v_cmp_lt_i16_e64 s0, s46, 6
	s_delay_alu instid0(VALU_DEP_1)
	s_and_b32 vcc_lo, exec_lo, s0
	s_cbranch_vccnz .LBB44_620
; %bb.618:
	v_cmp_gt_i16_e64 s0, s46, 6
	s_delay_alu instid0(VALU_DEP_1)
	s_and_b32 vcc_lo, exec_lo, s0
	s_cbranch_vccz .LBB44_621
; %bb.619:
	global_load_b64 v[2:3], v[0:1], off
	s_mov_b32 s0, 0
	s_waitcnt vmcnt(0)
	v_cvt_f32_f64_e32 v42, v[2:3]
	s_branch .LBB44_622
.LBB44_620:
	s_mov_b32 s0, -1
                                        ; implicit-def: $vgpr42
	s_branch .LBB44_625
.LBB44_621:
	s_mov_b32 s0, -1
                                        ; implicit-def: $vgpr42
.LBB44_622:
	s_delay_alu instid0(SALU_CYCLE_1)
	s_and_not1_b32 vcc_lo, exec_lo, s0
	s_cbranch_vccnz .LBB44_624
; %bb.623:
	global_load_b32 v42, v[0:1], off
.LBB44_624:
	s_mov_b32 s0, 0
.LBB44_625:
	s_delay_alu instid0(SALU_CYCLE_1)
	s_and_not1_b32 vcc_lo, exec_lo, s0
	s_cbranch_vccnz .LBB44_627
; %bb.626:
	global_load_u16 v2, v[0:1], off
	s_waitcnt vmcnt(0)
	v_cvt_f32_f16_e32 v42, v2
.LBB44_627:
	s_mov_b32 s0, 0
.LBB44_628:
	s_delay_alu instid0(SALU_CYCLE_1)
	s_and_not1_b32 vcc_lo, exec_lo, s0
	s_cbranch_vccnz .LBB44_648
; %bb.629:
	v_cmp_lt_i16_e64 s0, s46, 2
	s_delay_alu instid0(VALU_DEP_1)
	s_and_b32 vcc_lo, exec_lo, s0
	s_cbranch_vccnz .LBB44_633
; %bb.630:
	v_cmp_lt_i16_e64 s0, s46, 3
	s_delay_alu instid0(VALU_DEP_1)
	s_and_b32 vcc_lo, exec_lo, s0
	s_cbranch_vccnz .LBB44_634
; %bb.631:
	v_cmp_gt_i16_e64 s0, s46, 3
	s_delay_alu instid0(VALU_DEP_1)
	s_and_b32 vcc_lo, exec_lo, s0
	s_cbranch_vccz .LBB44_635
; %bb.632:
	global_load_b64 v[2:3], v[0:1], off
	s_mov_b32 s0, 0
	s_waitcnt vmcnt(0)
	v_xor_b32_e32 v4, v2, v3
	v_cls_i32_e32 v5, v3
	s_delay_alu instid0(VALU_DEP_2) | instskip(NEXT) | instid1(VALU_DEP_2)
	v_ashrrev_i32_e32 v4, 31, v4
	v_add_nc_u32_e32 v5, -1, v5
	s_delay_alu instid0(VALU_DEP_2) | instskip(NEXT) | instid1(VALU_DEP_1)
	v_add_nc_u32_e32 v4, 32, v4
	v_min_u32_e32 v4, v5, v4
	s_delay_alu instid0(VALU_DEP_1) | instskip(NEXT) | instid1(VALU_DEP_1)
	v_lshlrev_b64 v[2:3], v4, v[2:3]
	v_min_u32_e32 v2, 1, v2
	s_delay_alu instid0(VALU_DEP_1) | instskip(SKIP_1) | instid1(VALU_DEP_2)
	v_or_b32_e32 v2, v3, v2
	v_sub_nc_u32_e32 v3, 32, v4
	v_cvt_f32_i32_e32 v2, v2
	s_delay_alu instid0(VALU_DEP_1)
	v_ldexp_f32 v42, v2, v3
	s_branch .LBB44_636
.LBB44_633:
	s_mov_b32 s0, -1
                                        ; implicit-def: $vgpr42
	s_branch .LBB44_642
.LBB44_634:
	s_mov_b32 s0, -1
                                        ; implicit-def: $vgpr42
	s_branch .LBB44_639
.LBB44_635:
	s_mov_b32 s0, -1
                                        ; implicit-def: $vgpr42
.LBB44_636:
	s_delay_alu instid0(SALU_CYCLE_1)
	s_and_not1_b32 vcc_lo, exec_lo, s0
	s_cbranch_vccnz .LBB44_638
; %bb.637:
	global_load_b32 v2, v[0:1], off
	s_waitcnt vmcnt(0)
	v_cvt_f32_i32_e32 v42, v2
.LBB44_638:
	s_mov_b32 s0, 0
.LBB44_639:
	s_delay_alu instid0(SALU_CYCLE_1)
	s_and_not1_b32 vcc_lo, exec_lo, s0
	s_cbranch_vccnz .LBB44_641
; %bb.640:
	global_load_i16 v2, v[0:1], off
	s_waitcnt vmcnt(0)
	v_cvt_f32_i32_e32 v42, v2
.LBB44_641:
	s_mov_b32 s0, 0
.LBB44_642:
	s_delay_alu instid0(SALU_CYCLE_1)
	s_and_not1_b32 vcc_lo, exec_lo, s0
	s_cbranch_vccnz .LBB44_648
; %bb.643:
	v_cmp_gt_i16_e64 s0, s46, 0
	s_delay_alu instid0(VALU_DEP_1)
	s_and_b32 vcc_lo, exec_lo, s0
	s_mov_b32 s0, 0
	s_cbranch_vccz .LBB44_645
; %bb.644:
	global_load_i8 v2, v[0:1], off
	s_waitcnt vmcnt(0)
	v_cvt_f32_i32_e32 v42, v2
	s_branch .LBB44_646
.LBB44_645:
	s_mov_b32 s0, -1
                                        ; implicit-def: $vgpr42
.LBB44_646:
	s_delay_alu instid0(SALU_CYCLE_1)
	s_and_not1_b32 vcc_lo, exec_lo, s0
	s_cbranch_vccnz .LBB44_648
; %bb.647:
	global_load_u8 v0, v[0:1], off
	s_waitcnt vmcnt(0)
	v_cvt_f32_ubyte0_e32 v42, v0
.LBB44_648:
	s_mov_b32 s0, -1
.LBB44_649:
	s_delay_alu instid0(SALU_CYCLE_1)
	s_and_not1_b32 vcc_lo, exec_lo, s0
	s_cbranch_vccnz .LBB44_652
; %bb.650:
	s_and_not1_b32 vcc_lo, exec_lo, s51
	s_cbranch_vccnz .LBB44_653
; %bb.651:
	s_waitcnt vmcnt(0)
	s_delay_alu instid0(VALU_DEP_1) | instskip(SKIP_3) | instid1(SALU_CYCLE_1)
	v_dual_mov_b32 v0, v40 :: v_dual_mov_b32 v1, v42
	s_getpc_b64 s[0:1]
	s_add_u32 s0, s0, _ZN12_GLOBAL__N_111calc_igammaIfEET_S1_S1_@rel32@lo+4
	s_addc_u32 s1, s1, _ZN12_GLOBAL__N_111calc_igammaIfEET_S1_S1_@rel32@hi+12
	s_swappc_b64 s[30:31], s[0:1]
	s_mov_b32 s0, 0
	s_branch .LBB44_654
.LBB44_652:
	s_mov_b32 s1, 0
	s_mov_b32 s0, s53
	s_branch .LBB44_779
.LBB44_653:
	s_mov_b32 s0, -1
                                        ; implicit-def: $vgpr0
.LBB44_654:
	s_delay_alu instid0(SALU_CYCLE_1)
	s_and_not1_b32 vcc_lo, exec_lo, s0
	s_cbranch_vccnz .LBB44_656
; %bb.655:
	s_waitcnt vmcnt(0)
	s_delay_alu instid0(VALU_DEP_1) | instskip(SKIP_3) | instid1(SALU_CYCLE_1)
	v_dual_mov_b32 v0, v40 :: v_dual_mov_b32 v1, v42
	s_getpc_b64 s[0:1]
	s_add_u32 s0, s0, _ZN12_GLOBAL__N_112calc_igammacIfEET_S1_S1_@rel32@lo+4
	s_addc_u32 s1, s1, _ZN12_GLOBAL__N_112calc_igammacIfEET_S1_S1_@rel32@hi+12
	s_swappc_b64 s[30:31], s[0:1]
.LBB44_656:
	v_mul_lo_u32 v1, v45, s40
	v_and_b32_e64 v4, 0xff, s43
	s_delay_alu instid0(VALU_DEP_1) | instskip(NEXT) | instid1(VALU_DEP_3)
	v_cmp_gt_i16_e32 vcc_lo, 11, v4
	v_ashrrev_i32_e32 v3, 31, v1
	v_add_co_u32 v2, s0, s36, v1
	s_delay_alu instid0(VALU_DEP_1)
	v_add_co_ci_u32_e64 v3, s0, s37, v3, s0
	s_cbranch_vccnz .LBB44_663
; %bb.657:
	v_cmp_lt_i16_e32 vcc_lo, 25, v4
	s_cbranch_vccz .LBB44_664
; %bb.658:
	v_cmp_lt_i16_e32 vcc_lo, 28, v4
	s_cbranch_vccz .LBB44_665
	;; [unrolled: 3-line block ×4, first 2 shown]
; %bb.661:
	v_cmp_eq_u16_e32 vcc_lo, 46, v4
	s_mov_b32 s2, 0
	s_mov_b32 s0, -1
	s_mov_b32 s1, 0
	s_cbranch_vccz .LBB44_668
; %bb.662:
	v_bfe_u32 v1, v0, 16, 1
	v_cmp_o_f32_e32 vcc_lo, v0, v0
	s_mov_b32 s1, -1
	s_mov_b32 s0, 0
	s_delay_alu instid0(VALU_DEP_2) | instskip(NEXT) | instid1(VALU_DEP_1)
	v_add3_u32 v1, v0, v1, 0x7fff
	v_lshrrev_b32_e32 v1, 16, v1
	s_delay_alu instid0(VALU_DEP_1)
	v_cndmask_b32_e32 v1, 0x7fc0, v1, vcc_lo
	global_store_b32 v[2:3], v1, off
	s_branch .LBB44_668
.LBB44_663:
	s_mov_b32 s2, -1
	s_mov_b32 s1, 0
	s_mov_b32 s0, s53
	s_branch .LBB44_737
.LBB44_664:
	s_mov_b32 s2, -1
	s_mov_b32 s1, 0
	s_mov_b32 s0, s53
	s_branch .LBB44_695
.LBB44_665:
	s_mov_b32 s2, -1
	s_mov_b32 s1, 0
	s_mov_b32 s0, s53
	s_branch .LBB44_678
.LBB44_666:
	s_mov_b32 s2, -1
	s_mov_b32 s1, 0
	s_mov_b32 s0, s53
	s_branch .LBB44_674
.LBB44_667:
	s_mov_b32 s2, -1
	s_mov_b32 s1, 0
	s_mov_b32 s0, s53
.LBB44_668:
	s_and_b32 vcc_lo, exec_lo, s2
	s_cbranch_vccz .LBB44_673
; %bb.669:
	v_cmp_eq_u16_e32 vcc_lo, 44, v4
	s_mov_b32 s0, -1
	s_cbranch_vccz .LBB44_673
; %bb.670:
	v_bfe_u32 v5, v0, 23, 8
	v_mov_b32_e32 v1, 0xff
	s_mov_b32 s1, exec_lo
	s_delay_alu instid0(VALU_DEP_2)
	v_cmpx_ne_u32_e32 0xff, v5
; %bb.671:
	v_and_b32_e32 v1, 0x400000, v0
	v_and_or_b32 v5, 0x3fffff, v0, v5
	s_delay_alu instid0(VALU_DEP_2) | instskip(NEXT) | instid1(VALU_DEP_2)
	v_cmp_ne_u32_e32 vcc_lo, 0, v1
	v_cmp_ne_u32_e64 s0, 0, v5
	v_lshrrev_b32_e32 v1, 23, v0
	s_delay_alu instid0(VALU_DEP_2) | instskip(NEXT) | instid1(SALU_CYCLE_1)
	s_and_b32 s0, vcc_lo, s0
	v_cndmask_b32_e64 v5, 0, 1, s0
	s_delay_alu instid0(VALU_DEP_1)
	v_add_nc_u32_e32 v1, v1, v5
; %bb.672:
	s_or_b32 exec_lo, exec_lo, s1
	s_mov_b32 s1, -1
	s_mov_b32 s0, 0
	global_store_b8 v[2:3], v1, off
.LBB44_673:
	s_mov_b32 s2, 0
.LBB44_674:
	s_delay_alu instid0(SALU_CYCLE_1)
	s_and_b32 vcc_lo, exec_lo, s2
	s_cbranch_vccz .LBB44_677
; %bb.675:
	v_cmp_eq_u16_e32 vcc_lo, 29, v4
	s_mov_b32 s0, -1
	s_cbranch_vccz .LBB44_677
; %bb.676:
	v_trunc_f32_e32 v1, v0
	s_mov_b32 s1, -1
	s_mov_b32 s0, 0
	s_mov_b32 s2, 0
	s_delay_alu instid0(VALU_DEP_1) | instskip(NEXT) | instid1(VALU_DEP_1)
	v_mul_f32_e32 v5, 0x2f800000, v1
	v_floor_f32_e32 v5, v5
	s_delay_alu instid0(VALU_DEP_1) | instskip(SKIP_1) | instid1(VALU_DEP_2)
	v_fmamk_f32 v1, v5, 0xcf800000, v1
	v_cvt_u32_f32_e32 v6, v5
	v_cvt_u32_f32_e32 v5, v1
	global_store_b64 v[2:3], v[5:6], off
	s_branch .LBB44_678
.LBB44_677:
	s_mov_b32 s2, 0
.LBB44_678:
	s_delay_alu instid0(SALU_CYCLE_1)
	s_and_b32 vcc_lo, exec_lo, s2
	s_cbranch_vccz .LBB44_694
; %bb.679:
	v_cmp_gt_i16_e32 vcc_lo, 27, v4
	s_mov_b32 s1, -1
	s_cbranch_vccnz .LBB44_685
; %bb.680:
	v_cmp_lt_i16_e32 vcc_lo, 27, v4
	s_cbranch_vccz .LBB44_682
; %bb.681:
	v_cvt_u32_f32_e32 v1, v0
	s_mov_b32 s1, 0
	global_store_b32 v[2:3], v1, off
.LBB44_682:
	s_and_not1_b32 vcc_lo, exec_lo, s1
	s_cbranch_vccnz .LBB44_684
; %bb.683:
	v_cvt_u32_f32_e32 v1, v0
	global_store_b16 v[2:3], v1, off
.LBB44_684:
	s_mov_b32 s1, 0
.LBB44_685:
	s_delay_alu instid0(SALU_CYCLE_1)
	s_and_not1_b32 vcc_lo, exec_lo, s1
	s_cbranch_vccnz .LBB44_693
; %bb.686:
	v_and_b32_e32 v1, 0x7fffffff, v0
	v_mov_b32_e32 v5, 0x80
	s_mov_b32 s1, exec_lo
	s_delay_alu instid0(VALU_DEP_2)
	v_cmpx_gt_u32_e32 0x43800000, v1
	s_cbranch_execz .LBB44_692
; %bb.687:
	v_cmp_lt_u32_e32 vcc_lo, 0x3bffffff, v1
	s_mov_b32 s2, 0
                                        ; implicit-def: $vgpr1
	s_and_saveexec_b32 s3, vcc_lo
	s_delay_alu instid0(SALU_CYCLE_1)
	s_xor_b32 s3, exec_lo, s3
	s_cbranch_execz .LBB44_795
; %bb.688:
	v_bfe_u32 v1, v0, 20, 1
	s_mov_b32 s2, exec_lo
	s_delay_alu instid0(VALU_DEP_1) | instskip(NEXT) | instid1(VALU_DEP_1)
	v_add3_u32 v1, v0, v1, 0x487ffff
	v_lshrrev_b32_e32 v1, 20, v1
	s_or_saveexec_b32 s3, s3
                                        ; implicit-def: $sgpr4
	s_delay_alu instid0(SALU_CYCLE_1)
	s_xor_b32 exec_lo, exec_lo, s3
	s_cbranch_execnz .LBB44_796
.LBB44_689:
	s_or_b32 exec_lo, exec_lo, s3
	v_mov_b32_e32 v5, s4
	s_and_saveexec_b32 s3, s2
.LBB44_690:
	v_lshrrev_b32_e32 v5, 24, v0
	s_delay_alu instid0(VALU_DEP_1)
	v_and_or_b32 v5, 0x80, v5, v1
.LBB44_691:
	s_or_b32 exec_lo, exec_lo, s3
.LBB44_692:
	s_delay_alu instid0(SALU_CYCLE_1)
	s_or_b32 exec_lo, exec_lo, s1
	global_store_b8 v[2:3], v5, off
.LBB44_693:
	s_mov_b32 s1, -1
.LBB44_694:
	s_mov_b32 s2, 0
.LBB44_695:
	s_delay_alu instid0(SALU_CYCLE_1)
	s_and_b32 vcc_lo, exec_lo, s2
	s_cbranch_vccz .LBB44_736
; %bb.696:
	v_cmp_lt_i16_e32 vcc_lo, 22, v4
	s_mov_b32 s2, -1
	s_cbranch_vccz .LBB44_728
; %bb.697:
	v_cmp_gt_i16_e32 vcc_lo, 24, v4
	s_mov_b32 s1, -1
	s_cbranch_vccnz .LBB44_717
; %bb.698:
	v_cmp_lt_i16_e32 vcc_lo, 24, v4
	s_cbranch_vccz .LBB44_706
; %bb.699:
	v_and_b32_e32 v1, 0x7fffffff, v0
	v_mov_b32_e32 v5, 0x80
	s_mov_b32 s1, exec_lo
	s_delay_alu instid0(VALU_DEP_2)
	v_cmpx_gt_u32_e32 0x47800000, v1
	s_cbranch_execz .LBB44_705
; %bb.700:
	v_cmp_lt_u32_e32 vcc_lo, 0x37ffffff, v1
	s_mov_b32 s2, 0
                                        ; implicit-def: $vgpr1
	s_and_saveexec_b32 s3, vcc_lo
	s_delay_alu instid0(SALU_CYCLE_1)
	s_xor_b32 s3, exec_lo, s3
	s_cbranch_execz .LBB44_927
; %bb.701:
	v_bfe_u32 v1, v0, 21, 1
	s_mov_b32 s2, exec_lo
	s_delay_alu instid0(VALU_DEP_1) | instskip(NEXT) | instid1(VALU_DEP_1)
	v_add3_u32 v1, v0, v1, 0x88fffff
	v_lshrrev_b32_e32 v1, 21, v1
	s_or_saveexec_b32 s3, s3
                                        ; implicit-def: $sgpr4
	s_delay_alu instid0(SALU_CYCLE_1)
	s_xor_b32 exec_lo, exec_lo, s3
	s_cbranch_execnz .LBB44_928
.LBB44_702:
	s_or_b32 exec_lo, exec_lo, s3
	v_mov_b32_e32 v5, s4
	s_and_saveexec_b32 s3, s2
.LBB44_703:
	v_lshrrev_b32_e32 v5, 24, v0
	s_delay_alu instid0(VALU_DEP_1)
	v_and_or_b32 v5, 0x80, v5, v1
.LBB44_704:
	s_or_b32 exec_lo, exec_lo, s3
.LBB44_705:
	s_delay_alu instid0(SALU_CYCLE_1)
	s_or_b32 exec_lo, exec_lo, s1
	s_mov_b32 s1, 0
	global_store_b8 v[2:3], v5, off
.LBB44_706:
	s_and_b32 vcc_lo, exec_lo, s1
	s_cbranch_vccz .LBB44_716
; %bb.707:
	v_and_b32_e32 v5, 0x7fffffff, v0
	s_mov_b32 s1, exec_lo
                                        ; implicit-def: $vgpr1
	s_delay_alu instid0(VALU_DEP_1)
	v_cmpx_gt_u32_e32 0x43f00000, v5
	s_xor_b32 s1, exec_lo, s1
	s_cbranch_execz .LBB44_713
; %bb.708:
	s_mov_b32 s2, exec_lo
                                        ; implicit-def: $vgpr1
	v_cmpx_lt_u32_e32 0x3c7fffff, v5
	s_xor_b32 s2, exec_lo, s2
; %bb.709:
	v_bfe_u32 v1, v0, 20, 1
	s_delay_alu instid0(VALU_DEP_1) | instskip(NEXT) | instid1(VALU_DEP_1)
	v_add3_u32 v1, v0, v1, 0x407ffff
	v_and_b32_e32 v5, 0xff00000, v1
	v_lshrrev_b32_e32 v1, 20, v1
	s_delay_alu instid0(VALU_DEP_2) | instskip(NEXT) | instid1(VALU_DEP_2)
	v_cmp_ne_u32_e32 vcc_lo, 0x7f00000, v5
	v_cndmask_b32_e32 v1, 0x7e, v1, vcc_lo
; %bb.710:
	s_and_not1_saveexec_b32 s2, s2
; %bb.711:
	v_add_f32_e64 v1, 0x46800000, |v0|
; %bb.712:
	s_or_b32 exec_lo, exec_lo, s2
                                        ; implicit-def: $vgpr5
.LBB44_713:
	s_and_not1_saveexec_b32 s1, s1
; %bb.714:
	v_mov_b32_e32 v1, 0x7f
	v_cmp_lt_u32_e32 vcc_lo, 0x7f800000, v5
	s_delay_alu instid0(VALU_DEP_2)
	v_cndmask_b32_e32 v1, 0x7e, v1, vcc_lo
; %bb.715:
	s_or_b32 exec_lo, exec_lo, s1
	v_lshrrev_b32_e32 v5, 24, v0
	s_delay_alu instid0(VALU_DEP_1)
	v_and_or_b32 v1, 0x80, v5, v1
	global_store_b8 v[2:3], v1, off
.LBB44_716:
	s_mov_b32 s1, 0
.LBB44_717:
	s_delay_alu instid0(SALU_CYCLE_1)
	s_and_not1_b32 vcc_lo, exec_lo, s1
	s_cbranch_vccnz .LBB44_727
; %bb.718:
	v_and_b32_e32 v5, 0x7fffffff, v0
	s_mov_b32 s1, exec_lo
                                        ; implicit-def: $vgpr1
	s_delay_alu instid0(VALU_DEP_1)
	v_cmpx_gt_u32_e32 0x47800000, v5
	s_xor_b32 s1, exec_lo, s1
	s_cbranch_execz .LBB44_724
; %bb.719:
	s_mov_b32 s2, exec_lo
                                        ; implicit-def: $vgpr1
	v_cmpx_lt_u32_e32 0x387fffff, v5
	s_xor_b32 s2, exec_lo, s2
; %bb.720:
	v_bfe_u32 v1, v0, 21, 1
	s_delay_alu instid0(VALU_DEP_1) | instskip(NEXT) | instid1(VALU_DEP_1)
	v_add3_u32 v1, v0, v1, 0x80fffff
	v_lshrrev_b32_e32 v1, 21, v1
; %bb.721:
	s_and_not1_saveexec_b32 s2, s2
; %bb.722:
	v_add_f32_e64 v1, 0x43000000, |v0|
; %bb.723:
	s_or_b32 exec_lo, exec_lo, s2
                                        ; implicit-def: $vgpr5
.LBB44_724:
	s_and_not1_saveexec_b32 s1, s1
; %bb.725:
	v_mov_b32_e32 v1, 0x7f
	v_cmp_lt_u32_e32 vcc_lo, 0x7f800000, v5
	s_delay_alu instid0(VALU_DEP_2)
	v_cndmask_b32_e32 v1, 0x7c, v1, vcc_lo
; %bb.726:
	s_or_b32 exec_lo, exec_lo, s1
	v_lshrrev_b32_e32 v5, 24, v0
	s_delay_alu instid0(VALU_DEP_1)
	v_and_or_b32 v1, 0x80, v5, v1
	global_store_b8 v[2:3], v1, off
.LBB44_727:
	s_mov_b32 s2, 0
	s_mov_b32 s1, -1
.LBB44_728:
	s_and_not1_b32 vcc_lo, exec_lo, s2
	s_cbranch_vccnz .LBB44_736
; %bb.729:
	v_cmp_lt_i16_e32 vcc_lo, 14, v4
	s_mov_b32 s2, -1
	s_cbranch_vccz .LBB44_733
; %bb.730:
	v_cmp_eq_u16_e32 vcc_lo, 15, v4
	s_mov_b32 s0, -1
	s_cbranch_vccz .LBB44_732
; %bb.731:
	v_bfe_u32 v1, v0, 16, 1
	v_cmp_o_f32_e32 vcc_lo, v0, v0
	s_mov_b32 s1, -1
	s_mov_b32 s0, 0
	s_delay_alu instid0(VALU_DEP_2) | instskip(NEXT) | instid1(VALU_DEP_1)
	v_add3_u32 v1, v0, v1, 0x7fff
	v_lshrrev_b32_e32 v1, 16, v1
	s_delay_alu instid0(VALU_DEP_1)
	v_cndmask_b32_e32 v1, 0x7fc0, v1, vcc_lo
	global_store_b16 v[2:3], v1, off
.LBB44_732:
	s_mov_b32 s2, 0
.LBB44_733:
	s_delay_alu instid0(SALU_CYCLE_1)
	s_and_b32 vcc_lo, exec_lo, s2
	s_cbranch_vccz .LBB44_736
; %bb.734:
	v_cmp_eq_u16_e32 vcc_lo, 11, v4
	s_mov_b32 s0, -1
	s_cbranch_vccz .LBB44_736
; %bb.735:
	v_cmp_neq_f32_e32 vcc_lo, 0, v0
	s_mov_b32 s0, 0
	s_mov_b32 s1, -1
	v_cndmask_b32_e64 v1, 0, 1, vcc_lo
	global_store_b8 v[2:3], v1, off
.LBB44_736:
	s_mov_b32 s2, 0
.LBB44_737:
	s_delay_alu instid0(SALU_CYCLE_1)
	s_and_b32 vcc_lo, exec_lo, s2
	s_cbranch_vccz .LBB44_776
; %bb.738:
	v_cmp_gt_i16_e32 vcc_lo, 5, v4
	s_mov_b32 s1, -1
	s_cbranch_vccnz .LBB44_759
; %bb.739:
	v_cmp_gt_i16_e32 vcc_lo, 8, v4
	s_cbranch_vccnz .LBB44_749
; %bb.740:
	v_cmp_gt_i16_e32 vcc_lo, 9, v4
	s_cbranch_vccnz .LBB44_746
; %bb.741:
	v_cmp_lt_i16_e32 vcc_lo, 9, v4
	s_cbranch_vccz .LBB44_743
; %bb.742:
	v_cvt_f64_f32_e32 v[5:6], v0
	v_mov_b32_e32 v7, 0
	s_mov_b32 s1, 0
	s_delay_alu instid0(VALU_DEP_1)
	v_mov_b32_e32 v8, v7
	global_store_b128 v[2:3], v[5:8], off
.LBB44_743:
	s_and_not1_b32 vcc_lo, exec_lo, s1
	s_cbranch_vccnz .LBB44_745
; %bb.744:
	v_mov_b32_e32 v1, 0
	global_store_b64 v[2:3], v[0:1], off
.LBB44_745:
	s_mov_b32 s1, 0
.LBB44_746:
	s_delay_alu instid0(SALU_CYCLE_1)
	s_and_not1_b32 vcc_lo, exec_lo, s1
	s_cbranch_vccnz .LBB44_748
; %bb.747:
	v_cvt_f16_f32_e32 v1, v0
	s_delay_alu instid0(VALU_DEP_1)
	v_and_b32_e32 v1, 0xffff, v1
	global_store_b32 v[2:3], v1, off
.LBB44_748:
	s_mov_b32 s1, 0
.LBB44_749:
	s_delay_alu instid0(SALU_CYCLE_1)
	s_and_not1_b32 vcc_lo, exec_lo, s1
	s_cbranch_vccnz .LBB44_758
; %bb.750:
	v_cmp_gt_i16_e32 vcc_lo, 6, v4
	s_mov_b32 s1, -1
	s_cbranch_vccnz .LBB44_756
; %bb.751:
	v_cmp_lt_i16_e32 vcc_lo, 6, v4
	s_cbranch_vccz .LBB44_753
; %bb.752:
	v_cvt_f64_f32_e32 v[5:6], v0
	s_mov_b32 s1, 0
	global_store_b64 v[2:3], v[5:6], off
.LBB44_753:
	s_and_not1_b32 vcc_lo, exec_lo, s1
	s_cbranch_vccnz .LBB44_755
; %bb.754:
	global_store_b32 v[2:3], v0, off
.LBB44_755:
	s_mov_b32 s1, 0
.LBB44_756:
	s_delay_alu instid0(SALU_CYCLE_1)
	s_and_not1_b32 vcc_lo, exec_lo, s1
	s_cbranch_vccnz .LBB44_758
; %bb.757:
	v_cvt_f16_f32_e32 v1, v0
	global_store_b16 v[2:3], v1, off
.LBB44_758:
	s_mov_b32 s1, 0
.LBB44_759:
	s_delay_alu instid0(SALU_CYCLE_1)
	s_and_not1_b32 vcc_lo, exec_lo, s1
	s_cbranch_vccnz .LBB44_775
; %bb.760:
	v_cmp_gt_i16_e32 vcc_lo, 2, v4
	s_mov_b32 s1, -1
	s_cbranch_vccnz .LBB44_770
; %bb.761:
	v_cmp_gt_i16_e32 vcc_lo, 3, v4
	s_cbranch_vccnz .LBB44_767
; %bb.762:
	v_cmp_lt_i16_e32 vcc_lo, 3, v4
	s_cbranch_vccz .LBB44_764
; %bb.763:
	v_trunc_f32_e32 v1, v0
	s_mov_b32 s1, 0
	s_delay_alu instid0(VALU_DEP_1) | instskip(NEXT) | instid1(VALU_DEP_1)
	v_mul_f32_e64 v5, 0x2f800000, |v1|
	v_floor_f32_e32 v5, v5
	s_delay_alu instid0(VALU_DEP_1) | instskip(SKIP_2) | instid1(VALU_DEP_3)
	v_fma_f32 v6, 0xcf800000, v5, |v1|
	v_ashrrev_i32_e32 v1, 31, v1
	v_cvt_u32_f32_e32 v5, v5
	v_cvt_u32_f32_e32 v6, v6
	s_delay_alu instid0(VALU_DEP_2) | instskip(NEXT) | instid1(VALU_DEP_2)
	v_xor_b32_e32 v7, v5, v1
	v_xor_b32_e32 v6, v6, v1
	s_delay_alu instid0(VALU_DEP_1) | instskip(NEXT) | instid1(VALU_DEP_3)
	v_sub_co_u32 v5, vcc_lo, v6, v1
	v_sub_co_ci_u32_e32 v6, vcc_lo, v7, v1, vcc_lo
	global_store_b64 v[2:3], v[5:6], off
.LBB44_764:
	s_and_not1_b32 vcc_lo, exec_lo, s1
	s_cbranch_vccnz .LBB44_766
; %bb.765:
	v_cvt_i32_f32_e32 v1, v0
	global_store_b32 v[2:3], v1, off
.LBB44_766:
	s_mov_b32 s1, 0
.LBB44_767:
	s_delay_alu instid0(SALU_CYCLE_1)
	s_and_not1_b32 vcc_lo, exec_lo, s1
	s_cbranch_vccnz .LBB44_769
; %bb.768:
	v_cvt_i32_f32_e32 v1, v0
	global_store_b16 v[2:3], v1, off
.LBB44_769:
	s_mov_b32 s1, 0
.LBB44_770:
	s_delay_alu instid0(SALU_CYCLE_1)
	s_and_not1_b32 vcc_lo, exec_lo, s1
	s_cbranch_vccnz .LBB44_775
; %bb.771:
	v_cmp_lt_i16_e32 vcc_lo, 0, v4
	s_mov_b32 s1, -1
	s_cbranch_vccz .LBB44_773
; %bb.772:
	v_cvt_i32_f32_e32 v1, v0
	s_mov_b32 s1, 0
	global_store_b8 v[2:3], v1, off
.LBB44_773:
	s_and_not1_b32 vcc_lo, exec_lo, s1
	s_cbranch_vccnz .LBB44_775
; %bb.774:
	v_trunc_f32_e32 v0, v0
	s_delay_alu instid0(VALU_DEP_1) | instskip(NEXT) | instid1(VALU_DEP_1)
	v_mul_f32_e64 v1, 0x2f800000, |v0|
	v_floor_f32_e32 v1, v1
	s_delay_alu instid0(VALU_DEP_1) | instskip(SKIP_1) | instid1(VALU_DEP_2)
	v_fma_f32 v1, 0xcf800000, v1, |v0|
	v_ashrrev_i32_e32 v0, 31, v0
	v_cvt_u32_f32_e32 v1, v1
	s_delay_alu instid0(VALU_DEP_1) | instskip(NEXT) | instid1(VALU_DEP_1)
	v_xor_b32_e32 v1, v1, v0
	v_sub_nc_u32_e32 v0, v1, v0
	global_store_b8 v[2:3], v0, off
.LBB44_775:
	s_mov_b32 s1, -1
.LBB44_776:
	s_delay_alu instid0(SALU_CYCLE_1)
	s_and_not1_b32 vcc_lo, exec_lo, s1
	s_cbranch_vccnz .LBB44_778
; %bb.777:
	v_add_nc_u32_e32 v45, 0x80, v45
	s_mov_b32 s1, -1
	s_branch .LBB44_780
.LBB44_778:
	s_mov_b32 s1, 0
.LBB44_779:
                                        ; implicit-def: $vgpr45
.LBB44_780:
	s_and_not1_b32 s2, s53, exec_lo
	s_and_b32 s0, s0, exec_lo
	s_and_not1_b32 s3, s55, exec_lo
	s_or_b32 s58, s2, s0
	s_and_not1_b32 s0, s54, exec_lo
	s_and_b32 s2, s59, exec_lo
	s_and_b32 s4, s57, exec_lo
	s_or_b32 s59, s0, s2
	s_or_b32 s57, s3, s4
	s_or_not1_b32 s1, s1, exec_lo
.LBB44_781:
	s_or_b32 exec_lo, exec_lo, s60
	s_mov_b32 s0, 0
	s_mov_b32 s2, 0
	s_mov_b32 s3, 0
                                        ; implicit-def: $vgpr2
                                        ; implicit-def: $vgpr0_vgpr1
                                        ; implicit-def: $vgpr40
	s_and_saveexec_b32 s60, s1
	s_cbranch_execz .LBB44_1261
; %bb.782:
	s_mov_b32 s7, -1
	s_mov_b32 s1, s57
	s_mov_b32 s3, s59
	s_mov_b32 s2, s58
	s_mov_b32 s61, exec_lo
	v_cmpx_gt_i32_e64 s52, v45
	s_cbranch_execz .LBB44_1177
; %bb.783:
	v_mul_lo_u32 v0, v45, s41
	v_and_b32_e64 v2, 0xff, s49
	s_delay_alu instid0(VALU_DEP_1) | instskip(NEXT) | instid1(VALU_DEP_3)
	v_cmp_gt_i16_e32 vcc_lo, 11, v2
	v_ashrrev_i32_e32 v1, 31, v0
	v_add_co_u32 v0, s0, s38, v0
	s_delay_alu instid0(VALU_DEP_1)
	v_add_co_ci_u32_e64 v1, s0, s39, v1, s0
	s_cbranch_vccnz .LBB44_790
; %bb.784:
	v_cmp_lt_i16_e32 vcc_lo, 25, v2
	s_cbranch_vccz .LBB44_791
; %bb.785:
	v_cmp_lt_i16_e32 vcc_lo, 28, v2
	s_cbranch_vccz .LBB44_792
	;; [unrolled: 3-line block ×4, first 2 shown]
; %bb.788:
	v_cmp_eq_u16_e32 vcc_lo, 46, v2
	s_mov_b32 s1, 0
	s_cbranch_vccz .LBB44_797
; %bb.789:
	global_load_b32 v3, v[0:1], off
	s_mov_b32 s0, -1
	s_mov_b32 s62, 0
	s_waitcnt vmcnt(0)
	v_lshlrev_b32_e32 v40, 16, v3
	s_branch .LBB44_799
.LBB44_790:
	s_mov_b32 s1, -1
	s_mov_b32 s0, 0
	s_mov_b32 s62, s57
                                        ; implicit-def: $vgpr40
	s_branch .LBB44_864
.LBB44_791:
	s_mov_b32 s1, -1
	s_mov_b32 s0, 0
	s_mov_b32 s62, s57
                                        ; implicit-def: $vgpr40
	s_branch .LBB44_828
.LBB44_792:
	s_mov_b32 s1, -1
	s_mov_b32 s0, 0
	s_mov_b32 s62, s57
                                        ; implicit-def: $vgpr40
	s_branch .LBB44_809
.LBB44_793:
	s_mov_b32 s1, -1
	s_mov_b32 s0, 0
	s_mov_b32 s62, s57
                                        ; implicit-def: $vgpr40
	s_branch .LBB44_804
.LBB44_794:
	s_mov_b32 s1, -1
	s_mov_b32 s0, 0
	s_mov_b32 s62, s57
	s_branch .LBB44_798
.LBB44_795:
	s_or_saveexec_b32 s3, s3
                                        ; implicit-def: $sgpr4
	s_delay_alu instid0(SALU_CYCLE_1)
	s_xor_b32 exec_lo, exec_lo, s3
	s_cbranch_execz .LBB44_689
.LBB44_796:
	v_add_f32_e64 v1, 0x46000000, |v0|
	s_and_not1_b32 s2, s2, exec_lo
	s_mov_b32 s4, 0
	s_delay_alu instid0(VALU_DEP_1) | instskip(NEXT) | instid1(VALU_DEP_1)
	v_and_b32_e32 v1, 0xff, v1
	v_cmp_ne_u32_e32 vcc_lo, 0, v1
	s_and_b32 s5, vcc_lo, exec_lo
	s_delay_alu instid0(SALU_CYCLE_1)
	s_or_b32 s2, s2, s5
	s_or_b32 exec_lo, exec_lo, s3
	v_mov_b32_e32 v5, s4
	s_and_saveexec_b32 s3, s2
	s_cbranch_execnz .LBB44_690
	s_branch .LBB44_691
.LBB44_797:
	s_mov_b32 s62, -1
	s_mov_b32 s0, 0
.LBB44_798:
                                        ; implicit-def: $vgpr40
.LBB44_799:
	s_and_b32 vcc_lo, exec_lo, s1
	s_cbranch_vccz .LBB44_803
; %bb.800:
	v_cmp_eq_u16_e32 vcc_lo, 44, v2
	s_cbranch_vccz .LBB44_802
; %bb.801:
	global_load_u8 v3, v[0:1], off
	s_mov_b32 s62, 0
	s_mov_b32 s0, -1
	s_waitcnt vmcnt(0)
	v_lshlrev_b32_e32 v4, 23, v3
	v_cmp_ne_u32_e32 vcc_lo, 0xff, v3
	s_delay_alu instid0(VALU_DEP_2) | instskip(SKIP_1) | instid1(VALU_DEP_2)
	v_cndmask_b32_e32 v4, 0x7f800001, v4, vcc_lo
	v_cmp_ne_u32_e32 vcc_lo, 0, v3
	v_cndmask_b32_e32 v40, 0x400000, v4, vcc_lo
	s_branch .LBB44_803
.LBB44_802:
	s_mov_b32 s62, -1
                                        ; implicit-def: $vgpr40
.LBB44_803:
	s_mov_b32 s1, 0
.LBB44_804:
	s_delay_alu instid0(SALU_CYCLE_1)
	s_and_b32 vcc_lo, exec_lo, s1
	s_cbranch_vccz .LBB44_808
; %bb.805:
	v_cmp_eq_u16_e32 vcc_lo, 29, v2
	s_cbranch_vccz .LBB44_807
; %bb.806:
	global_load_b64 v[3:4], v[0:1], off
	s_mov_b32 s0, -1
	s_mov_b32 s62, 0
	s_mov_b32 s1, 0
	s_waitcnt vmcnt(0)
	v_clz_i32_u32_e32 v5, v4
	s_delay_alu instid0(VALU_DEP_1) | instskip(NEXT) | instid1(VALU_DEP_1)
	v_min_u32_e32 v5, 32, v5
	v_lshlrev_b64 v[3:4], v5, v[3:4]
	s_delay_alu instid0(VALU_DEP_1) | instskip(NEXT) | instid1(VALU_DEP_1)
	v_min_u32_e32 v3, 1, v3
	v_or_b32_e32 v3, v4, v3
	v_sub_nc_u32_e32 v4, 32, v5
	s_delay_alu instid0(VALU_DEP_2) | instskip(NEXT) | instid1(VALU_DEP_1)
	v_cvt_f32_u32_e32 v3, v3
	v_ldexp_f32 v40, v3, v4
	s_branch .LBB44_809
.LBB44_807:
	s_mov_b32 s62, -1
                                        ; implicit-def: $vgpr40
.LBB44_808:
	s_mov_b32 s1, 0
.LBB44_809:
	s_delay_alu instid0(SALU_CYCLE_1)
	s_and_b32 vcc_lo, exec_lo, s1
	s_cbranch_vccz .LBB44_827
; %bb.810:
	v_cmp_gt_i16_e32 vcc_lo, 27, v2
	s_cbranch_vccnz .LBB44_813
; %bb.811:
	v_cmp_lt_i16_e32 vcc_lo, 27, v2
	s_cbranch_vccz .LBB44_814
; %bb.812:
	global_load_b32 v3, v[0:1], off
	s_mov_b32 s0, 0
	s_waitcnt vmcnt(0)
	v_cvt_f32_u32_e32 v40, v3
	s_branch .LBB44_815
.LBB44_813:
	s_mov_b32 s0, -1
                                        ; implicit-def: $vgpr40
	s_branch .LBB44_818
.LBB44_814:
	s_mov_b32 s0, -1
                                        ; implicit-def: $vgpr40
.LBB44_815:
	s_delay_alu instid0(SALU_CYCLE_1)
	s_and_not1_b32 vcc_lo, exec_lo, s0
	s_cbranch_vccnz .LBB44_817
; %bb.816:
	global_load_u16 v3, v[0:1], off
	s_waitcnt vmcnt(0)
	v_cvt_f32_u32_e32 v40, v3
.LBB44_817:
	s_mov_b32 s0, 0
.LBB44_818:
	s_delay_alu instid0(SALU_CYCLE_1)
	s_and_not1_b32 vcc_lo, exec_lo, s0
	s_cbranch_vccnz .LBB44_826
; %bb.819:
	global_load_u8 v3, v[0:1], off
	s_mov_b32 s0, 0
	s_mov_b32 s2, exec_lo
                                        ; implicit-def: $sgpr1
	s_waitcnt vmcnt(0)
	v_cmpx_lt_i16_e32 0x7f, v3
	s_xor_b32 s2, exec_lo, s2
	s_cbranch_execz .LBB44_840
; %bb.820:
	s_mov_b32 s0, -1
	s_mov_b32 s3, exec_lo
                                        ; implicit-def: $sgpr1
	v_cmpx_eq_u16_e32 0x80, v3
; %bb.821:
	s_mov_b32 s1, 0x7f800001
	s_xor_b32 s0, exec_lo, -1
; %bb.822:
	s_or_b32 exec_lo, exec_lo, s3
	s_delay_alu instid0(SALU_CYCLE_1)
	s_and_b32 s0, s0, exec_lo
	s_or_saveexec_b32 s2, s2
	v_mov_b32_e32 v40, s1
	s_xor_b32 exec_lo, exec_lo, s2
	s_cbranch_execnz .LBB44_841
.LBB44_823:
	s_or_b32 exec_lo, exec_lo, s2
	s_and_saveexec_b32 s1, s0
	s_cbranch_execz .LBB44_825
.LBB44_824:
	v_and_b32_e32 v4, 0xffff, v3
	v_lshlrev_b32_e32 v3, 24, v3
	s_delay_alu instid0(VALU_DEP_2) | instskip(NEXT) | instid1(VALU_DEP_2)
	v_and_b32_e32 v5, 7, v4
	v_and_b32_e32 v3, 0x80000000, v3
	s_delay_alu instid0(VALU_DEP_2) | instskip(NEXT) | instid1(VALU_DEP_1)
	v_clz_i32_u32_e32 v6, v5
	v_min_u32_e32 v6, 32, v6
	s_delay_alu instid0(VALU_DEP_1) | instskip(SKIP_1) | instid1(VALU_DEP_2)
	v_subrev_nc_u32_e32 v7, 28, v6
	v_sub_nc_u32_e32 v6, 29, v6
	v_lshlrev_b32_e32 v7, v7, v4
	v_bfe_u32 v4, v4, 3, 4
	s_delay_alu instid0(VALU_DEP_2) | instskip(NEXT) | instid1(VALU_DEP_2)
	v_and_b32_e32 v7, 7, v7
	v_cmp_eq_u32_e32 vcc_lo, 0, v4
	s_delay_alu instid0(VALU_DEP_2) | instskip(NEXT) | instid1(VALU_DEP_1)
	v_dual_cndmask_b32 v4, v4, v6 :: v_dual_cndmask_b32 v5, v5, v7
	v_lshl_add_u32 v4, v4, 23, 0x3b800000
	s_delay_alu instid0(VALU_DEP_2) | instskip(NEXT) | instid1(VALU_DEP_1)
	v_lshlrev_b32_e32 v5, 20, v5
	v_or3_b32 v40, v3, v4, v5
.LBB44_825:
	s_or_b32 exec_lo, exec_lo, s1
.LBB44_826:
	s_mov_b32 s0, -1
.LBB44_827:
	s_mov_b32 s1, 0
.LBB44_828:
	s_delay_alu instid0(SALU_CYCLE_1)
	s_and_b32 vcc_lo, exec_lo, s1
	s_cbranch_vccz .LBB44_863
; %bb.829:
	v_cmp_lt_i16_e32 vcc_lo, 22, v2
	s_cbranch_vccz .LBB44_839
; %bb.830:
	v_cmp_gt_i16_e32 vcc_lo, 24, v2
	s_cbranch_vccnz .LBB44_842
; %bb.831:
	v_cmp_lt_i16_e32 vcc_lo, 24, v2
	s_cbranch_vccz .LBB44_843
; %bb.832:
	global_load_u8 v3, v[0:1], off
	s_mov_b32 s0, 0
	s_mov_b32 s2, exec_lo
                                        ; implicit-def: $sgpr1
	s_waitcnt vmcnt(0)
	v_cmpx_lt_i16_e32 0x7f, v3
	s_xor_b32 s2, exec_lo, s2
	s_cbranch_execz .LBB44_855
; %bb.833:
	s_mov_b32 s0, -1
	s_mov_b32 s3, exec_lo
                                        ; implicit-def: $sgpr1
	v_cmpx_eq_u16_e32 0x80, v3
; %bb.834:
	s_mov_b32 s1, 0x7f800001
	s_xor_b32 s0, exec_lo, -1
; %bb.835:
	s_or_b32 exec_lo, exec_lo, s3
	s_delay_alu instid0(SALU_CYCLE_1)
	s_and_b32 s0, s0, exec_lo
	s_or_saveexec_b32 s2, s2
	v_mov_b32_e32 v40, s1
	s_xor_b32 exec_lo, exec_lo, s2
	s_cbranch_execnz .LBB44_856
.LBB44_836:
	s_or_b32 exec_lo, exec_lo, s2
	s_and_saveexec_b32 s1, s0
	s_cbranch_execz .LBB44_838
.LBB44_837:
	v_and_b32_e32 v4, 0xffff, v3
	v_lshlrev_b32_e32 v3, 24, v3
	s_delay_alu instid0(VALU_DEP_2) | instskip(NEXT) | instid1(VALU_DEP_2)
	v_and_b32_e32 v5, 3, v4
	v_and_b32_e32 v3, 0x80000000, v3
	s_delay_alu instid0(VALU_DEP_2) | instskip(NEXT) | instid1(VALU_DEP_1)
	v_clz_i32_u32_e32 v6, v5
	v_min_u32_e32 v6, 32, v6
	s_delay_alu instid0(VALU_DEP_1) | instskip(SKIP_1) | instid1(VALU_DEP_2)
	v_subrev_nc_u32_e32 v7, 29, v6
	v_sub_nc_u32_e32 v6, 30, v6
	v_lshlrev_b32_e32 v7, v7, v4
	v_bfe_u32 v4, v4, 2, 5
	s_delay_alu instid0(VALU_DEP_2) | instskip(NEXT) | instid1(VALU_DEP_2)
	v_and_b32_e32 v7, 3, v7
	v_cmp_eq_u32_e32 vcc_lo, 0, v4
	s_delay_alu instid0(VALU_DEP_2) | instskip(NEXT) | instid1(VALU_DEP_1)
	v_dual_cndmask_b32 v4, v4, v6 :: v_dual_cndmask_b32 v5, v5, v7
	v_lshl_add_u32 v4, v4, 23, 0x37800000
	s_delay_alu instid0(VALU_DEP_2) | instskip(NEXT) | instid1(VALU_DEP_1)
	v_lshlrev_b32_e32 v5, 21, v5
	v_or3_b32 v40, v3, v4, v5
.LBB44_838:
	s_or_b32 exec_lo, exec_lo, s1
	s_mov_b32 s0, 0
	s_branch .LBB44_844
.LBB44_839:
	s_mov_b32 s1, -1
                                        ; implicit-def: $vgpr40
	s_branch .LBB44_850
.LBB44_840:
	s_or_saveexec_b32 s2, s2
	v_mov_b32_e32 v40, s1
	s_xor_b32 exec_lo, exec_lo, s2
	s_cbranch_execz .LBB44_823
.LBB44_841:
	v_cmp_ne_u16_e32 vcc_lo, 0, v3
	v_mov_b32_e32 v40, 0
	s_and_not1_b32 s0, s0, exec_lo
	s_and_b32 s1, vcc_lo, exec_lo
	s_delay_alu instid0(SALU_CYCLE_1)
	s_or_b32 s0, s0, s1
	s_or_b32 exec_lo, exec_lo, s2
	s_and_saveexec_b32 s1, s0
	s_cbranch_execnz .LBB44_824
	s_branch .LBB44_825
.LBB44_842:
	s_mov_b32 s0, -1
                                        ; implicit-def: $vgpr40
	s_branch .LBB44_847
.LBB44_843:
	s_mov_b32 s0, -1
                                        ; implicit-def: $vgpr40
.LBB44_844:
	s_delay_alu instid0(SALU_CYCLE_1)
	s_and_b32 vcc_lo, exec_lo, s0
	s_cbranch_vccz .LBB44_846
; %bb.845:
	global_load_u8 v3, v[0:1], off
	s_waitcnt vmcnt(0)
	v_lshlrev_b32_e32 v3, 24, v3
	s_delay_alu instid0(VALU_DEP_1) | instskip(NEXT) | instid1(VALU_DEP_1)
	v_and_b32_e32 v4, 0x7f000000, v3
	v_clz_i32_u32_e32 v5, v4
	v_add_nc_u32_e32 v7, 0x1000000, v4
	v_cmp_ne_u32_e32 vcc_lo, 0, v4
	s_delay_alu instid0(VALU_DEP_3) | instskip(NEXT) | instid1(VALU_DEP_1)
	v_min_u32_e32 v5, 32, v5
	v_sub_nc_u32_e64 v5, v5, 4 clamp
	s_delay_alu instid0(VALU_DEP_1) | instskip(SKIP_1) | instid1(VALU_DEP_2)
	v_lshlrev_b32_e32 v6, v5, v4
	v_lshlrev_b32_e32 v5, 23, v5
	v_lshrrev_b32_e32 v6, 4, v6
	s_delay_alu instid0(VALU_DEP_1) | instskip(SKIP_1) | instid1(VALU_DEP_2)
	v_sub_nc_u32_e32 v5, v6, v5
	v_ashrrev_i32_e32 v6, 8, v7
	v_add_nc_u32_e32 v5, 0x3c000000, v5
	s_delay_alu instid0(VALU_DEP_1) | instskip(NEXT) | instid1(VALU_DEP_1)
	v_and_or_b32 v5, 0x7f800000, v6, v5
	v_cndmask_b32_e32 v4, 0, v5, vcc_lo
	s_delay_alu instid0(VALU_DEP_1)
	v_and_or_b32 v40, 0x80000000, v3, v4
.LBB44_846:
	s_mov_b32 s0, 0
.LBB44_847:
	s_delay_alu instid0(SALU_CYCLE_1)
	s_and_not1_b32 vcc_lo, exec_lo, s0
	s_cbranch_vccnz .LBB44_849
; %bb.848:
	global_load_u8 v3, v[0:1], off
	s_waitcnt vmcnt(0)
	v_lshlrev_b32_e32 v4, 25, v3
	v_lshlrev_b16 v3, 8, v3
	s_delay_alu instid0(VALU_DEP_2) | instskip(NEXT) | instid1(VALU_DEP_2)
	v_lshrrev_b32_e32 v5, 4, v4
	v_and_or_b32 v6, 0x7f00, v3, 0.5
	v_bfe_i32 v3, v3, 0, 16
	s_delay_alu instid0(VALU_DEP_3) | instskip(NEXT) | instid1(VALU_DEP_1)
	v_or_b32_e32 v5, 0x70000000, v5
	v_dual_add_f32 v6, -0.5, v6 :: v_dual_mul_f32 v5, 0x7800000, v5
	v_cmp_gt_u32_e32 vcc_lo, 0x8000000, v4
	s_delay_alu instid0(VALU_DEP_2) | instskip(NEXT) | instid1(VALU_DEP_1)
	v_cndmask_b32_e32 v4, v5, v6, vcc_lo
	v_and_or_b32 v40, 0x80000000, v3, v4
.LBB44_849:
	s_mov_b32 s1, 0
	s_mov_b32 s0, -1
.LBB44_850:
	s_and_not1_b32 vcc_lo, exec_lo, s1
	s_cbranch_vccnz .LBB44_863
; %bb.851:
	v_cmp_lt_i16_e32 vcc_lo, 14, v2
	s_cbranch_vccz .LBB44_854
; %bb.852:
	v_cmp_eq_u16_e32 vcc_lo, 15, v2
	s_cbranch_vccz .LBB44_857
; %bb.853:
	global_load_u16 v3, v[0:1], off
	s_mov_b32 s0, -1
	s_mov_b32 s62, 0
	s_waitcnt vmcnt(0)
	v_lshlrev_b32_e32 v40, 16, v3
	s_branch .LBB44_858
.LBB44_854:
	s_mov_b32 s1, -1
                                        ; implicit-def: $vgpr40
	s_branch .LBB44_859
.LBB44_855:
	s_or_saveexec_b32 s2, s2
	v_mov_b32_e32 v40, s1
	s_xor_b32 exec_lo, exec_lo, s2
	s_cbranch_execz .LBB44_836
.LBB44_856:
	v_cmp_ne_u16_e32 vcc_lo, 0, v3
	v_mov_b32_e32 v40, 0
	s_and_not1_b32 s0, s0, exec_lo
	s_and_b32 s1, vcc_lo, exec_lo
	s_delay_alu instid0(SALU_CYCLE_1)
	s_or_b32 s0, s0, s1
	s_or_b32 exec_lo, exec_lo, s2
	s_and_saveexec_b32 s1, s0
	s_cbranch_execnz .LBB44_837
	s_branch .LBB44_838
.LBB44_857:
	s_mov_b32 s62, -1
                                        ; implicit-def: $vgpr40
.LBB44_858:
	s_mov_b32 s1, 0
.LBB44_859:
	s_delay_alu instid0(SALU_CYCLE_1)
	s_and_b32 vcc_lo, exec_lo, s1
	s_cbranch_vccz .LBB44_863
; %bb.860:
	v_cmp_eq_u16_e32 vcc_lo, 11, v2
	s_cbranch_vccz .LBB44_862
; %bb.861:
	global_load_u8 v3, v[0:1], off
	s_mov_b32 s62, 0
	s_mov_b32 s0, -1
	s_waitcnt vmcnt(0)
	v_cmp_ne_u16_e32 vcc_lo, 0, v3
	v_cndmask_b32_e64 v40, 0, 1.0, vcc_lo
	s_branch .LBB44_863
.LBB44_862:
	s_mov_b32 s62, -1
                                        ; implicit-def: $vgpr40
.LBB44_863:
	s_mov_b32 s1, 0
.LBB44_864:
	s_delay_alu instid0(SALU_CYCLE_1)
	s_and_b32 vcc_lo, exec_lo, s1
	s_cbranch_vccz .LBB44_913
; %bb.865:
	v_cmp_gt_i16_e32 vcc_lo, 5, v2
	s_cbranch_vccnz .LBB44_870
; %bb.866:
	v_cmp_gt_i16_e32 vcc_lo, 8, v2
	s_cbranch_vccnz .LBB44_871
	;; [unrolled: 3-line block ×3, first 2 shown]
; %bb.868:
	v_cmp_lt_i16_e32 vcc_lo, 9, v2
	s_cbranch_vccz .LBB44_873
; %bb.869:
	global_load_b64 v[3:4], v[0:1], off
	s_mov_b32 s0, 0
	s_waitcnt vmcnt(0)
	v_cvt_f32_f64_e32 v40, v[3:4]
	s_branch .LBB44_874
.LBB44_870:
	s_mov_b32 s0, -1
                                        ; implicit-def: $vgpr40
	s_branch .LBB44_892
.LBB44_871:
	s_mov_b32 s0, -1
                                        ; implicit-def: $vgpr40
	s_branch .LBB44_880
.LBB44_872:
	s_mov_b32 s0, -1
                                        ; implicit-def: $vgpr40
	s_branch .LBB44_877
.LBB44_873:
	s_mov_b32 s0, -1
                                        ; implicit-def: $vgpr40
.LBB44_874:
	s_delay_alu instid0(SALU_CYCLE_1)
	s_and_not1_b32 vcc_lo, exec_lo, s0
	s_cbranch_vccnz .LBB44_876
; %bb.875:
	global_load_b32 v40, v[0:1], off
.LBB44_876:
	s_mov_b32 s0, 0
.LBB44_877:
	s_delay_alu instid0(SALU_CYCLE_1)
	s_and_not1_b32 vcc_lo, exec_lo, s0
	s_cbranch_vccnz .LBB44_879
; %bb.878:
	global_load_b32 v3, v[0:1], off
	s_waitcnt vmcnt(0)
	v_cvt_f32_f16_e32 v40, v3
.LBB44_879:
	s_mov_b32 s0, 0
.LBB44_880:
	s_delay_alu instid0(SALU_CYCLE_1)
	s_and_not1_b32 vcc_lo, exec_lo, s0
	s_cbranch_vccnz .LBB44_891
; %bb.881:
	v_cmp_gt_i16_e32 vcc_lo, 6, v2
	s_cbranch_vccnz .LBB44_884
; %bb.882:
	v_cmp_lt_i16_e32 vcc_lo, 6, v2
	s_cbranch_vccz .LBB44_885
; %bb.883:
	global_load_b64 v[3:4], v[0:1], off
	s_mov_b32 s0, 0
	s_waitcnt vmcnt(0)
	v_cvt_f32_f64_e32 v40, v[3:4]
	s_branch .LBB44_886
.LBB44_884:
	s_mov_b32 s0, -1
                                        ; implicit-def: $vgpr40
	s_branch .LBB44_889
.LBB44_885:
	s_mov_b32 s0, -1
                                        ; implicit-def: $vgpr40
.LBB44_886:
	s_delay_alu instid0(SALU_CYCLE_1)
	s_and_not1_b32 vcc_lo, exec_lo, s0
	s_cbranch_vccnz .LBB44_888
; %bb.887:
	global_load_b32 v40, v[0:1], off
.LBB44_888:
	s_mov_b32 s0, 0
.LBB44_889:
	s_delay_alu instid0(SALU_CYCLE_1)
	s_and_not1_b32 vcc_lo, exec_lo, s0
	s_cbranch_vccnz .LBB44_891
; %bb.890:
	global_load_u16 v3, v[0:1], off
	s_waitcnt vmcnt(0)
	v_cvt_f32_f16_e32 v40, v3
.LBB44_891:
	s_mov_b32 s0, 0
.LBB44_892:
	s_delay_alu instid0(SALU_CYCLE_1)
	s_and_not1_b32 vcc_lo, exec_lo, s0
	s_cbranch_vccnz .LBB44_912
; %bb.893:
	v_cmp_gt_i16_e32 vcc_lo, 2, v2
	s_cbranch_vccnz .LBB44_897
; %bb.894:
	v_cmp_gt_i16_e32 vcc_lo, 3, v2
	s_cbranch_vccnz .LBB44_898
; %bb.895:
	v_cmp_lt_i16_e32 vcc_lo, 3, v2
	s_cbranch_vccz .LBB44_899
; %bb.896:
	global_load_b64 v[3:4], v[0:1], off
	s_mov_b32 s0, 0
	s_waitcnt vmcnt(0)
	v_xor_b32_e32 v5, v3, v4
	v_cls_i32_e32 v6, v4
	s_delay_alu instid0(VALU_DEP_2) | instskip(NEXT) | instid1(VALU_DEP_2)
	v_ashrrev_i32_e32 v5, 31, v5
	v_add_nc_u32_e32 v6, -1, v6
	s_delay_alu instid0(VALU_DEP_2) | instskip(NEXT) | instid1(VALU_DEP_1)
	v_add_nc_u32_e32 v5, 32, v5
	v_min_u32_e32 v5, v6, v5
	s_delay_alu instid0(VALU_DEP_1) | instskip(NEXT) | instid1(VALU_DEP_1)
	v_lshlrev_b64 v[3:4], v5, v[3:4]
	v_min_u32_e32 v3, 1, v3
	s_delay_alu instid0(VALU_DEP_1) | instskip(SKIP_1) | instid1(VALU_DEP_2)
	v_or_b32_e32 v3, v4, v3
	v_sub_nc_u32_e32 v4, 32, v5
	v_cvt_f32_i32_e32 v3, v3
	s_delay_alu instid0(VALU_DEP_1)
	v_ldexp_f32 v40, v3, v4
	s_branch .LBB44_900
.LBB44_897:
	s_mov_b32 s0, -1
                                        ; implicit-def: $vgpr40
	s_branch .LBB44_906
.LBB44_898:
	s_mov_b32 s0, -1
                                        ; implicit-def: $vgpr40
	s_branch .LBB44_903
.LBB44_899:
	s_mov_b32 s0, -1
                                        ; implicit-def: $vgpr40
.LBB44_900:
	s_delay_alu instid0(SALU_CYCLE_1)
	s_and_not1_b32 vcc_lo, exec_lo, s0
	s_cbranch_vccnz .LBB44_902
; %bb.901:
	global_load_b32 v3, v[0:1], off
	s_waitcnt vmcnt(0)
	v_cvt_f32_i32_e32 v40, v3
.LBB44_902:
	s_mov_b32 s0, 0
.LBB44_903:
	s_delay_alu instid0(SALU_CYCLE_1)
	s_and_not1_b32 vcc_lo, exec_lo, s0
	s_cbranch_vccnz .LBB44_905
; %bb.904:
	global_load_i16 v3, v[0:1], off
	s_waitcnt vmcnt(0)
	v_cvt_f32_i32_e32 v40, v3
.LBB44_905:
	s_mov_b32 s0, 0
.LBB44_906:
	s_delay_alu instid0(SALU_CYCLE_1)
	s_and_not1_b32 vcc_lo, exec_lo, s0
	s_cbranch_vccnz .LBB44_912
; %bb.907:
	v_cmp_lt_i16_e32 vcc_lo, 0, v2
	s_mov_b32 s0, 0
	s_cbranch_vccz .LBB44_909
; %bb.908:
	global_load_i8 v2, v[0:1], off
	s_waitcnt vmcnt(0)
	v_cvt_f32_i32_e32 v40, v2
	s_branch .LBB44_910
.LBB44_909:
	s_mov_b32 s0, -1
                                        ; implicit-def: $vgpr40
.LBB44_910:
	s_delay_alu instid0(SALU_CYCLE_1)
	s_and_not1_b32 vcc_lo, exec_lo, s0
	s_cbranch_vccnz .LBB44_912
; %bb.911:
	global_load_u8 v0, v[0:1], off
	s_waitcnt vmcnt(0)
	v_cvt_f32_ubyte0_e32 v40, v0
.LBB44_912:
	s_mov_b32 s0, -1
.LBB44_913:
	s_delay_alu instid0(SALU_CYCLE_1)
	s_and_not1_b32 vcc_lo, exec_lo, s0
	s_cbranch_vccnz .LBB44_921
; %bb.914:
	v_mul_lo_u32 v0, v45, s42
	v_cmp_lt_i16_e64 s0, s46, 11
	s_delay_alu instid0(VALU_DEP_2) | instskip(SKIP_1) | instid1(VALU_DEP_2)
	v_ashrrev_i32_e32 v1, 31, v0
	v_add_co_u32 v0, vcc_lo, s44, v0
	v_add_co_ci_u32_e32 v1, vcc_lo, s45, v1, vcc_lo
	s_delay_alu instid0(VALU_DEP_4)
	s_and_b32 vcc_lo, exec_lo, s0
	s_cbranch_vccnz .LBB44_922
; %bb.915:
	v_cmp_gt_i16_e64 s0, s46, 25
	s_delay_alu instid0(VALU_DEP_1)
	s_and_b32 vcc_lo, exec_lo, s0
	s_cbranch_vccz .LBB44_923
; %bb.916:
	v_cmp_gt_i16_e64 s0, s46, 28
	s_delay_alu instid0(VALU_DEP_1)
	s_and_b32 vcc_lo, exec_lo, s0
	s_cbranch_vccz .LBB44_924
	;; [unrolled: 5-line block ×4, first 2 shown]
; %bb.919:
	v_cmp_eq_u16_e64 s0, s46, 46
	s_mov_b32 s1, 0
	s_delay_alu instid0(VALU_DEP_1)
	s_and_b32 vcc_lo, exec_lo, s0
	s_cbranch_vccz .LBB44_929
; %bb.920:
	global_load_b32 v2, v[0:1], off
	s_mov_b32 s0, -1
	s_mov_b32 s63, 0
	s_waitcnt vmcnt(0)
	v_lshlrev_b32_e32 v42, 16, v2
	s_branch .LBB44_931
.LBB44_921:
	s_mov_b32 s4, 0
	s_mov_b32 s0, s58
	;; [unrolled: 1-line block ×3, first 2 shown]
	s_branch .LBB44_1175
.LBB44_922:
	s_mov_b32 s1, -1
	s_mov_b32 s0, 0
	s_mov_b32 s63, s59
                                        ; implicit-def: $vgpr42
	s_branch .LBB44_996
.LBB44_923:
	s_mov_b32 s1, -1
	s_mov_b32 s0, 0
	s_mov_b32 s63, s59
                                        ; implicit-def: $vgpr42
	s_branch .LBB44_960
.LBB44_924:
	s_mov_b32 s1, -1
	s_mov_b32 s0, 0
	s_mov_b32 s63, s59
                                        ; implicit-def: $vgpr42
	s_branch .LBB44_941
.LBB44_925:
	s_mov_b32 s1, -1
	s_mov_b32 s0, 0
	s_mov_b32 s63, s59
                                        ; implicit-def: $vgpr42
	s_branch .LBB44_936
.LBB44_926:
	s_mov_b32 s1, -1
	s_mov_b32 s0, 0
	s_mov_b32 s63, s59
	s_branch .LBB44_930
.LBB44_927:
	s_or_saveexec_b32 s3, s3
                                        ; implicit-def: $sgpr4
	s_delay_alu instid0(SALU_CYCLE_1)
	s_xor_b32 exec_lo, exec_lo, s3
	s_cbranch_execz .LBB44_702
.LBB44_928:
	v_add_f32_e64 v1, 0x42800000, |v0|
	s_and_not1_b32 s2, s2, exec_lo
	s_mov_b32 s4, 0
	s_delay_alu instid0(VALU_DEP_1) | instskip(NEXT) | instid1(VALU_DEP_1)
	v_and_b32_e32 v1, 0xff, v1
	v_cmp_ne_u32_e32 vcc_lo, 0, v1
	s_and_b32 s5, vcc_lo, exec_lo
	s_delay_alu instid0(SALU_CYCLE_1)
	s_or_b32 s2, s2, s5
	s_or_b32 exec_lo, exec_lo, s3
	v_mov_b32_e32 v5, s4
	s_and_saveexec_b32 s3, s2
	s_cbranch_execnz .LBB44_703
	s_branch .LBB44_704
.LBB44_929:
	s_mov_b32 s63, -1
	s_mov_b32 s0, 0
.LBB44_930:
                                        ; implicit-def: $vgpr42
.LBB44_931:
	s_and_b32 vcc_lo, exec_lo, s1
	s_cbranch_vccz .LBB44_935
; %bb.932:
	v_cmp_eq_u16_e64 s1, s46, 44
	s_delay_alu instid0(VALU_DEP_1)
	s_and_b32 vcc_lo, exec_lo, s1
	s_cbranch_vccz .LBB44_934
; %bb.933:
	global_load_u8 v2, v[0:1], off
	s_mov_b32 s63, 0
	s_mov_b32 s0, -1
	s_waitcnt vmcnt(0)
	v_lshlrev_b32_e32 v3, 23, v2
	v_cmp_ne_u32_e32 vcc_lo, 0xff, v2
	s_delay_alu instid0(VALU_DEP_2) | instskip(SKIP_1) | instid1(VALU_DEP_2)
	v_cndmask_b32_e32 v3, 0x7f800001, v3, vcc_lo
	v_cmp_ne_u32_e32 vcc_lo, 0, v2
	v_cndmask_b32_e32 v42, 0x400000, v3, vcc_lo
	s_branch .LBB44_935
.LBB44_934:
	s_mov_b32 s63, -1
                                        ; implicit-def: $vgpr42
.LBB44_935:
	s_mov_b32 s1, 0
.LBB44_936:
	s_delay_alu instid0(SALU_CYCLE_1)
	s_and_b32 vcc_lo, exec_lo, s1
	s_cbranch_vccz .LBB44_940
; %bb.937:
	v_cmp_eq_u16_e64 s1, s46, 29
	s_delay_alu instid0(VALU_DEP_1)
	s_and_b32 vcc_lo, exec_lo, s1
	s_cbranch_vccz .LBB44_939
; %bb.938:
	global_load_b64 v[2:3], v[0:1], off
	s_mov_b32 s0, -1
	s_mov_b32 s63, 0
	s_mov_b32 s1, 0
	s_waitcnt vmcnt(0)
	v_clz_i32_u32_e32 v4, v3
	s_delay_alu instid0(VALU_DEP_1) | instskip(NEXT) | instid1(VALU_DEP_1)
	v_min_u32_e32 v4, 32, v4
	v_lshlrev_b64 v[2:3], v4, v[2:3]
	s_delay_alu instid0(VALU_DEP_1) | instskip(NEXT) | instid1(VALU_DEP_1)
	v_min_u32_e32 v2, 1, v2
	v_or_b32_e32 v2, v3, v2
	v_sub_nc_u32_e32 v3, 32, v4
	s_delay_alu instid0(VALU_DEP_2) | instskip(NEXT) | instid1(VALU_DEP_1)
	v_cvt_f32_u32_e32 v2, v2
	v_ldexp_f32 v42, v2, v3
	s_branch .LBB44_941
.LBB44_939:
	s_mov_b32 s63, -1
                                        ; implicit-def: $vgpr42
.LBB44_940:
	s_mov_b32 s1, 0
.LBB44_941:
	s_delay_alu instid0(SALU_CYCLE_1)
	s_and_b32 vcc_lo, exec_lo, s1
	s_cbranch_vccz .LBB44_959
; %bb.942:
	v_cmp_lt_i16_e64 s0, s46, 27
	s_delay_alu instid0(VALU_DEP_1)
	s_and_b32 vcc_lo, exec_lo, s0
	s_cbranch_vccnz .LBB44_945
; %bb.943:
	v_cmp_gt_i16_e64 s0, s46, 27
	s_delay_alu instid0(VALU_DEP_1)
	s_and_b32 vcc_lo, exec_lo, s0
	s_cbranch_vccz .LBB44_946
; %bb.944:
	global_load_b32 v2, v[0:1], off
	s_mov_b32 s0, 0
	s_waitcnt vmcnt(0)
	v_cvt_f32_u32_e32 v42, v2
	s_branch .LBB44_947
.LBB44_945:
	s_mov_b32 s0, -1
                                        ; implicit-def: $vgpr42
	s_branch .LBB44_950
.LBB44_946:
	s_mov_b32 s0, -1
                                        ; implicit-def: $vgpr42
.LBB44_947:
	s_delay_alu instid0(SALU_CYCLE_1)
	s_and_not1_b32 vcc_lo, exec_lo, s0
	s_cbranch_vccnz .LBB44_949
; %bb.948:
	global_load_u16 v2, v[0:1], off
	s_waitcnt vmcnt(0)
	v_cvt_f32_u32_e32 v42, v2
.LBB44_949:
	s_mov_b32 s0, 0
.LBB44_950:
	s_delay_alu instid0(SALU_CYCLE_1)
	s_and_not1_b32 vcc_lo, exec_lo, s0
	s_cbranch_vccnz .LBB44_958
; %bb.951:
	global_load_u8 v2, v[0:1], off
	s_mov_b32 s0, 0
	s_mov_b32 s2, exec_lo
                                        ; implicit-def: $sgpr1
	s_waitcnt vmcnt(0)
	v_cmpx_lt_i16_e32 0x7f, v2
	s_xor_b32 s2, exec_lo, s2
	s_cbranch_execz .LBB44_972
; %bb.952:
	s_mov_b32 s0, -1
	s_mov_b32 s3, exec_lo
                                        ; implicit-def: $sgpr1
	v_cmpx_eq_u16_e32 0x80, v2
; %bb.953:
	s_mov_b32 s1, 0x7f800001
	s_xor_b32 s0, exec_lo, -1
; %bb.954:
	s_or_b32 exec_lo, exec_lo, s3
	s_delay_alu instid0(SALU_CYCLE_1)
	s_and_b32 s0, s0, exec_lo
	s_or_saveexec_b32 s2, s2
	v_mov_b32_e32 v42, s1
	s_xor_b32 exec_lo, exec_lo, s2
	s_cbranch_execnz .LBB44_973
.LBB44_955:
	s_or_b32 exec_lo, exec_lo, s2
	s_and_saveexec_b32 s1, s0
	s_cbranch_execz .LBB44_957
.LBB44_956:
	v_and_b32_e32 v3, 0xffff, v2
	v_lshlrev_b32_e32 v2, 24, v2
	s_delay_alu instid0(VALU_DEP_2) | instskip(NEXT) | instid1(VALU_DEP_2)
	v_and_b32_e32 v4, 7, v3
	v_and_b32_e32 v2, 0x80000000, v2
	s_delay_alu instid0(VALU_DEP_2) | instskip(NEXT) | instid1(VALU_DEP_1)
	v_clz_i32_u32_e32 v5, v4
	v_min_u32_e32 v5, 32, v5
	s_delay_alu instid0(VALU_DEP_1) | instskip(SKIP_1) | instid1(VALU_DEP_2)
	v_subrev_nc_u32_e32 v6, 28, v5
	v_sub_nc_u32_e32 v5, 29, v5
	v_lshlrev_b32_e32 v6, v6, v3
	v_bfe_u32 v3, v3, 3, 4
	s_delay_alu instid0(VALU_DEP_2) | instskip(NEXT) | instid1(VALU_DEP_2)
	v_and_b32_e32 v6, 7, v6
	v_cmp_eq_u32_e32 vcc_lo, 0, v3
	s_delay_alu instid0(VALU_DEP_2) | instskip(NEXT) | instid1(VALU_DEP_1)
	v_dual_cndmask_b32 v3, v3, v5 :: v_dual_cndmask_b32 v4, v4, v6
	v_lshl_add_u32 v3, v3, 23, 0x3b800000
	s_delay_alu instid0(VALU_DEP_2) | instskip(NEXT) | instid1(VALU_DEP_1)
	v_lshlrev_b32_e32 v4, 20, v4
	v_or3_b32 v42, v2, v3, v4
.LBB44_957:
	s_or_b32 exec_lo, exec_lo, s1
.LBB44_958:
	s_mov_b32 s0, -1
.LBB44_959:
	s_mov_b32 s1, 0
.LBB44_960:
	s_delay_alu instid0(SALU_CYCLE_1)
	s_and_b32 vcc_lo, exec_lo, s1
	s_cbranch_vccz .LBB44_995
; %bb.961:
	v_cmp_gt_i16_e64 s1, s46, 22
	s_delay_alu instid0(VALU_DEP_1)
	s_and_b32 vcc_lo, exec_lo, s1
	s_cbranch_vccz .LBB44_971
; %bb.962:
	v_cmp_lt_i16_e64 s0, s46, 24
	s_delay_alu instid0(VALU_DEP_1)
	s_and_b32 vcc_lo, exec_lo, s0
	s_cbranch_vccnz .LBB44_974
; %bb.963:
	v_cmp_gt_i16_e64 s0, s46, 24
	s_delay_alu instid0(VALU_DEP_1)
	s_and_b32 vcc_lo, exec_lo, s0
	s_cbranch_vccz .LBB44_975
; %bb.964:
	global_load_u8 v2, v[0:1], off
	s_mov_b32 s0, 0
	s_mov_b32 s2, exec_lo
                                        ; implicit-def: $sgpr1
	s_waitcnt vmcnt(0)
	v_cmpx_lt_i16_e32 0x7f, v2
	s_xor_b32 s2, exec_lo, s2
	s_cbranch_execz .LBB44_987
; %bb.965:
	s_mov_b32 s0, -1
	s_mov_b32 s3, exec_lo
                                        ; implicit-def: $sgpr1
	v_cmpx_eq_u16_e32 0x80, v2
; %bb.966:
	s_mov_b32 s1, 0x7f800001
	s_xor_b32 s0, exec_lo, -1
; %bb.967:
	s_or_b32 exec_lo, exec_lo, s3
	s_delay_alu instid0(SALU_CYCLE_1)
	s_and_b32 s0, s0, exec_lo
	s_or_saveexec_b32 s2, s2
	v_mov_b32_e32 v42, s1
	s_xor_b32 exec_lo, exec_lo, s2
	s_cbranch_execnz .LBB44_988
.LBB44_968:
	s_or_b32 exec_lo, exec_lo, s2
	s_and_saveexec_b32 s1, s0
	s_cbranch_execz .LBB44_970
.LBB44_969:
	v_and_b32_e32 v3, 0xffff, v2
	v_lshlrev_b32_e32 v2, 24, v2
	s_delay_alu instid0(VALU_DEP_2) | instskip(NEXT) | instid1(VALU_DEP_2)
	v_and_b32_e32 v4, 3, v3
	v_and_b32_e32 v2, 0x80000000, v2
	s_delay_alu instid0(VALU_DEP_2) | instskip(NEXT) | instid1(VALU_DEP_1)
	v_clz_i32_u32_e32 v5, v4
	v_min_u32_e32 v5, 32, v5
	s_delay_alu instid0(VALU_DEP_1) | instskip(SKIP_1) | instid1(VALU_DEP_2)
	v_subrev_nc_u32_e32 v6, 29, v5
	v_sub_nc_u32_e32 v5, 30, v5
	v_lshlrev_b32_e32 v6, v6, v3
	v_bfe_u32 v3, v3, 2, 5
	s_delay_alu instid0(VALU_DEP_2) | instskip(NEXT) | instid1(VALU_DEP_2)
	v_and_b32_e32 v6, 3, v6
	v_cmp_eq_u32_e32 vcc_lo, 0, v3
	s_delay_alu instid0(VALU_DEP_2) | instskip(NEXT) | instid1(VALU_DEP_1)
	v_dual_cndmask_b32 v3, v3, v5 :: v_dual_cndmask_b32 v4, v4, v6
	v_lshl_add_u32 v3, v3, 23, 0x37800000
	s_delay_alu instid0(VALU_DEP_2) | instskip(NEXT) | instid1(VALU_DEP_1)
	v_lshlrev_b32_e32 v4, 21, v4
	v_or3_b32 v42, v2, v3, v4
.LBB44_970:
	s_or_b32 exec_lo, exec_lo, s1
	s_mov_b32 s0, 0
	s_branch .LBB44_976
.LBB44_971:
	s_mov_b32 s1, -1
                                        ; implicit-def: $vgpr42
	s_branch .LBB44_982
.LBB44_972:
	s_or_saveexec_b32 s2, s2
	v_mov_b32_e32 v42, s1
	s_xor_b32 exec_lo, exec_lo, s2
	s_cbranch_execz .LBB44_955
.LBB44_973:
	v_cmp_ne_u16_e32 vcc_lo, 0, v2
	v_mov_b32_e32 v42, 0
	s_and_not1_b32 s0, s0, exec_lo
	s_and_b32 s1, vcc_lo, exec_lo
	s_delay_alu instid0(SALU_CYCLE_1)
	s_or_b32 s0, s0, s1
	s_or_b32 exec_lo, exec_lo, s2
	s_and_saveexec_b32 s1, s0
	s_cbranch_execnz .LBB44_956
	s_branch .LBB44_957
.LBB44_974:
	s_mov_b32 s0, -1
                                        ; implicit-def: $vgpr42
	s_branch .LBB44_979
.LBB44_975:
	s_mov_b32 s0, -1
                                        ; implicit-def: $vgpr42
.LBB44_976:
	s_delay_alu instid0(SALU_CYCLE_1)
	s_and_b32 vcc_lo, exec_lo, s0
	s_cbranch_vccz .LBB44_978
; %bb.977:
	global_load_u8 v2, v[0:1], off
	s_waitcnt vmcnt(0)
	v_lshlrev_b32_e32 v2, 24, v2
	s_delay_alu instid0(VALU_DEP_1) | instskip(NEXT) | instid1(VALU_DEP_1)
	v_and_b32_e32 v3, 0x7f000000, v2
	v_clz_i32_u32_e32 v4, v3
	v_add_nc_u32_e32 v6, 0x1000000, v3
	v_cmp_ne_u32_e32 vcc_lo, 0, v3
	s_delay_alu instid0(VALU_DEP_3) | instskip(NEXT) | instid1(VALU_DEP_1)
	v_min_u32_e32 v4, 32, v4
	v_sub_nc_u32_e64 v4, v4, 4 clamp
	s_delay_alu instid0(VALU_DEP_1) | instskip(SKIP_1) | instid1(VALU_DEP_2)
	v_lshlrev_b32_e32 v5, v4, v3
	v_lshlrev_b32_e32 v4, 23, v4
	v_lshrrev_b32_e32 v5, 4, v5
	s_delay_alu instid0(VALU_DEP_1) | instskip(SKIP_1) | instid1(VALU_DEP_2)
	v_sub_nc_u32_e32 v4, v5, v4
	v_ashrrev_i32_e32 v5, 8, v6
	v_add_nc_u32_e32 v4, 0x3c000000, v4
	s_delay_alu instid0(VALU_DEP_1) | instskip(NEXT) | instid1(VALU_DEP_1)
	v_and_or_b32 v4, 0x7f800000, v5, v4
	v_cndmask_b32_e32 v3, 0, v4, vcc_lo
	s_delay_alu instid0(VALU_DEP_1)
	v_and_or_b32 v42, 0x80000000, v2, v3
.LBB44_978:
	s_mov_b32 s0, 0
.LBB44_979:
	s_delay_alu instid0(SALU_CYCLE_1)
	s_and_not1_b32 vcc_lo, exec_lo, s0
	s_cbranch_vccnz .LBB44_981
; %bb.980:
	global_load_u8 v2, v[0:1], off
	s_waitcnt vmcnt(0)
	v_lshlrev_b32_e32 v3, 25, v2
	v_lshlrev_b16 v2, 8, v2
	s_delay_alu instid0(VALU_DEP_2) | instskip(NEXT) | instid1(VALU_DEP_2)
	v_lshrrev_b32_e32 v4, 4, v3
	v_and_or_b32 v5, 0x7f00, v2, 0.5
	v_bfe_i32 v2, v2, 0, 16
	s_delay_alu instid0(VALU_DEP_3) | instskip(NEXT) | instid1(VALU_DEP_1)
	v_or_b32_e32 v4, 0x70000000, v4
	v_dual_add_f32 v5, -0.5, v5 :: v_dual_mul_f32 v4, 0x7800000, v4
	v_cmp_gt_u32_e32 vcc_lo, 0x8000000, v3
	s_delay_alu instid0(VALU_DEP_2) | instskip(NEXT) | instid1(VALU_DEP_1)
	v_cndmask_b32_e32 v3, v4, v5, vcc_lo
	v_and_or_b32 v42, 0x80000000, v2, v3
.LBB44_981:
	s_mov_b32 s1, 0
	s_mov_b32 s0, -1
.LBB44_982:
	s_and_not1_b32 vcc_lo, exec_lo, s1
	s_cbranch_vccnz .LBB44_995
; %bb.983:
	v_cmp_gt_i16_e64 s1, s46, 14
	s_delay_alu instid0(VALU_DEP_1)
	s_and_b32 vcc_lo, exec_lo, s1
	s_cbranch_vccz .LBB44_986
; %bb.984:
	v_cmp_eq_u16_e64 s1, s46, 15
	s_delay_alu instid0(VALU_DEP_1)
	s_and_b32 vcc_lo, exec_lo, s1
	s_cbranch_vccz .LBB44_989
; %bb.985:
	global_load_u16 v2, v[0:1], off
	s_mov_b32 s0, -1
	s_mov_b32 s63, 0
	s_waitcnt vmcnt(0)
	v_lshlrev_b32_e32 v42, 16, v2
	s_branch .LBB44_990
.LBB44_986:
	s_mov_b32 s1, -1
                                        ; implicit-def: $vgpr42
	s_branch .LBB44_991
.LBB44_987:
	s_or_saveexec_b32 s2, s2
	v_mov_b32_e32 v42, s1
	s_xor_b32 exec_lo, exec_lo, s2
	s_cbranch_execz .LBB44_968
.LBB44_988:
	v_cmp_ne_u16_e32 vcc_lo, 0, v2
	v_mov_b32_e32 v42, 0
	s_and_not1_b32 s0, s0, exec_lo
	s_and_b32 s1, vcc_lo, exec_lo
	s_delay_alu instid0(SALU_CYCLE_1)
	s_or_b32 s0, s0, s1
	s_or_b32 exec_lo, exec_lo, s2
	s_and_saveexec_b32 s1, s0
	s_cbranch_execnz .LBB44_969
	s_branch .LBB44_970
.LBB44_989:
	s_mov_b32 s63, -1
                                        ; implicit-def: $vgpr42
.LBB44_990:
	s_mov_b32 s1, 0
.LBB44_991:
	s_delay_alu instid0(SALU_CYCLE_1)
	s_and_b32 vcc_lo, exec_lo, s1
	s_cbranch_vccz .LBB44_995
; %bb.992:
	v_cmp_eq_u16_e64 s1, s46, 11
	s_delay_alu instid0(VALU_DEP_1)
	s_and_b32 vcc_lo, exec_lo, s1
	s_cbranch_vccz .LBB44_994
; %bb.993:
	global_load_u8 v2, v[0:1], off
	s_mov_b32 s63, 0
	s_mov_b32 s0, -1
	s_waitcnt vmcnt(0)
	v_cmp_ne_u16_e32 vcc_lo, 0, v2
	v_cndmask_b32_e64 v42, 0, 1.0, vcc_lo
	s_branch .LBB44_995
.LBB44_994:
	s_mov_b32 s63, -1
                                        ; implicit-def: $vgpr42
.LBB44_995:
	s_mov_b32 s1, 0
.LBB44_996:
	s_delay_alu instid0(SALU_CYCLE_1)
	s_and_b32 vcc_lo, exec_lo, s1
	s_cbranch_vccz .LBB44_1045
; %bb.997:
	v_cmp_lt_i16_e64 s0, s46, 5
	s_delay_alu instid0(VALU_DEP_1)
	s_and_b32 vcc_lo, exec_lo, s0
	s_cbranch_vccnz .LBB44_1002
; %bb.998:
	v_cmp_lt_i16_e64 s0, s46, 8
	s_delay_alu instid0(VALU_DEP_1)
	s_and_b32 vcc_lo, exec_lo, s0
	s_cbranch_vccnz .LBB44_1003
	;; [unrolled: 5-line block ×3, first 2 shown]
; %bb.1000:
	v_cmp_gt_i16_e64 s0, s46, 9
	s_delay_alu instid0(VALU_DEP_1)
	s_and_b32 vcc_lo, exec_lo, s0
	s_cbranch_vccz .LBB44_1005
; %bb.1001:
	global_load_b64 v[2:3], v[0:1], off
	s_mov_b32 s0, 0
	s_waitcnt vmcnt(0)
	v_cvt_f32_f64_e32 v42, v[2:3]
	s_branch .LBB44_1006
.LBB44_1002:
	s_mov_b32 s0, -1
                                        ; implicit-def: $vgpr42
	s_branch .LBB44_1024
.LBB44_1003:
	s_mov_b32 s0, -1
                                        ; implicit-def: $vgpr42
	s_branch .LBB44_1012
.LBB44_1004:
	s_mov_b32 s0, -1
                                        ; implicit-def: $vgpr42
	s_branch .LBB44_1009
.LBB44_1005:
	s_mov_b32 s0, -1
                                        ; implicit-def: $vgpr42
.LBB44_1006:
	s_delay_alu instid0(SALU_CYCLE_1)
	s_and_not1_b32 vcc_lo, exec_lo, s0
	s_cbranch_vccnz .LBB44_1008
; %bb.1007:
	global_load_b32 v42, v[0:1], off
.LBB44_1008:
	s_mov_b32 s0, 0
.LBB44_1009:
	s_delay_alu instid0(SALU_CYCLE_1)
	s_and_not1_b32 vcc_lo, exec_lo, s0
	s_cbranch_vccnz .LBB44_1011
; %bb.1010:
	global_load_b32 v2, v[0:1], off
	s_waitcnt vmcnt(0)
	v_cvt_f32_f16_e32 v42, v2
.LBB44_1011:
	s_mov_b32 s0, 0
.LBB44_1012:
	s_delay_alu instid0(SALU_CYCLE_1)
	s_and_not1_b32 vcc_lo, exec_lo, s0
	s_cbranch_vccnz .LBB44_1023
; %bb.1013:
	v_cmp_lt_i16_e64 s0, s46, 6
	s_delay_alu instid0(VALU_DEP_1)
	s_and_b32 vcc_lo, exec_lo, s0
	s_cbranch_vccnz .LBB44_1016
; %bb.1014:
	v_cmp_gt_i16_e64 s0, s46, 6
	s_delay_alu instid0(VALU_DEP_1)
	s_and_b32 vcc_lo, exec_lo, s0
	s_cbranch_vccz .LBB44_1017
; %bb.1015:
	global_load_b64 v[2:3], v[0:1], off
	s_mov_b32 s0, 0
	s_waitcnt vmcnt(0)
	v_cvt_f32_f64_e32 v42, v[2:3]
	s_branch .LBB44_1018
.LBB44_1016:
	s_mov_b32 s0, -1
                                        ; implicit-def: $vgpr42
	s_branch .LBB44_1021
.LBB44_1017:
	s_mov_b32 s0, -1
                                        ; implicit-def: $vgpr42
.LBB44_1018:
	s_delay_alu instid0(SALU_CYCLE_1)
	s_and_not1_b32 vcc_lo, exec_lo, s0
	s_cbranch_vccnz .LBB44_1020
; %bb.1019:
	global_load_b32 v42, v[0:1], off
.LBB44_1020:
	s_mov_b32 s0, 0
.LBB44_1021:
	s_delay_alu instid0(SALU_CYCLE_1)
	s_and_not1_b32 vcc_lo, exec_lo, s0
	s_cbranch_vccnz .LBB44_1023
; %bb.1022:
	global_load_u16 v2, v[0:1], off
	s_waitcnt vmcnt(0)
	v_cvt_f32_f16_e32 v42, v2
.LBB44_1023:
	s_mov_b32 s0, 0
.LBB44_1024:
	s_delay_alu instid0(SALU_CYCLE_1)
	s_and_not1_b32 vcc_lo, exec_lo, s0
	s_cbranch_vccnz .LBB44_1044
; %bb.1025:
	v_cmp_lt_i16_e64 s0, s46, 2
	s_delay_alu instid0(VALU_DEP_1)
	s_and_b32 vcc_lo, exec_lo, s0
	s_cbranch_vccnz .LBB44_1029
; %bb.1026:
	v_cmp_lt_i16_e64 s0, s46, 3
	s_delay_alu instid0(VALU_DEP_1)
	s_and_b32 vcc_lo, exec_lo, s0
	s_cbranch_vccnz .LBB44_1030
; %bb.1027:
	v_cmp_gt_i16_e64 s0, s46, 3
	s_delay_alu instid0(VALU_DEP_1)
	s_and_b32 vcc_lo, exec_lo, s0
	s_cbranch_vccz .LBB44_1031
; %bb.1028:
	global_load_b64 v[2:3], v[0:1], off
	s_mov_b32 s0, 0
	s_waitcnt vmcnt(0)
	v_xor_b32_e32 v4, v2, v3
	v_cls_i32_e32 v5, v3
	s_delay_alu instid0(VALU_DEP_2) | instskip(NEXT) | instid1(VALU_DEP_2)
	v_ashrrev_i32_e32 v4, 31, v4
	v_add_nc_u32_e32 v5, -1, v5
	s_delay_alu instid0(VALU_DEP_2) | instskip(NEXT) | instid1(VALU_DEP_1)
	v_add_nc_u32_e32 v4, 32, v4
	v_min_u32_e32 v4, v5, v4
	s_delay_alu instid0(VALU_DEP_1) | instskip(NEXT) | instid1(VALU_DEP_1)
	v_lshlrev_b64 v[2:3], v4, v[2:3]
	v_min_u32_e32 v2, 1, v2
	s_delay_alu instid0(VALU_DEP_1) | instskip(SKIP_1) | instid1(VALU_DEP_2)
	v_or_b32_e32 v2, v3, v2
	v_sub_nc_u32_e32 v3, 32, v4
	v_cvt_f32_i32_e32 v2, v2
	s_delay_alu instid0(VALU_DEP_1)
	v_ldexp_f32 v42, v2, v3
	s_branch .LBB44_1032
.LBB44_1029:
	s_mov_b32 s0, -1
                                        ; implicit-def: $vgpr42
	s_branch .LBB44_1038
.LBB44_1030:
	s_mov_b32 s0, -1
                                        ; implicit-def: $vgpr42
	s_branch .LBB44_1035
.LBB44_1031:
	s_mov_b32 s0, -1
                                        ; implicit-def: $vgpr42
.LBB44_1032:
	s_delay_alu instid0(SALU_CYCLE_1)
	s_and_not1_b32 vcc_lo, exec_lo, s0
	s_cbranch_vccnz .LBB44_1034
; %bb.1033:
	global_load_b32 v2, v[0:1], off
	s_waitcnt vmcnt(0)
	v_cvt_f32_i32_e32 v42, v2
.LBB44_1034:
	s_mov_b32 s0, 0
.LBB44_1035:
	s_delay_alu instid0(SALU_CYCLE_1)
	s_and_not1_b32 vcc_lo, exec_lo, s0
	s_cbranch_vccnz .LBB44_1037
; %bb.1036:
	global_load_i16 v2, v[0:1], off
	s_waitcnt vmcnt(0)
	v_cvt_f32_i32_e32 v42, v2
.LBB44_1037:
	s_mov_b32 s0, 0
.LBB44_1038:
	s_delay_alu instid0(SALU_CYCLE_1)
	s_and_not1_b32 vcc_lo, exec_lo, s0
	s_cbranch_vccnz .LBB44_1044
; %bb.1039:
	v_cmp_gt_i16_e64 s0, s46, 0
	s_delay_alu instid0(VALU_DEP_1)
	s_and_b32 vcc_lo, exec_lo, s0
	s_mov_b32 s0, 0
	s_cbranch_vccz .LBB44_1041
; %bb.1040:
	global_load_i8 v2, v[0:1], off
	s_waitcnt vmcnt(0)
	v_cvt_f32_i32_e32 v42, v2
	s_branch .LBB44_1042
.LBB44_1041:
	s_mov_b32 s0, -1
                                        ; implicit-def: $vgpr42
.LBB44_1042:
	s_delay_alu instid0(SALU_CYCLE_1)
	s_and_not1_b32 vcc_lo, exec_lo, s0
	s_cbranch_vccnz .LBB44_1044
; %bb.1043:
	global_load_u8 v0, v[0:1], off
	s_waitcnt vmcnt(0)
	v_cvt_f32_ubyte0_e32 v42, v0
.LBB44_1044:
	s_mov_b32 s0, -1
.LBB44_1045:
	s_delay_alu instid0(SALU_CYCLE_1)
	s_and_not1_b32 vcc_lo, exec_lo, s0
	s_cbranch_vccnz .LBB44_1048
; %bb.1046:
	s_and_not1_b32 vcc_lo, exec_lo, s51
	s_cbranch_vccnz .LBB44_1049
; %bb.1047:
	s_waitcnt vmcnt(0)
	s_delay_alu instid0(VALU_DEP_1) | instskip(SKIP_3) | instid1(SALU_CYCLE_1)
	v_dual_mov_b32 v0, v40 :: v_dual_mov_b32 v1, v42
	s_getpc_b64 s[0:1]
	s_add_u32 s0, s0, _ZN12_GLOBAL__N_111calc_igammaIfEET_S1_S1_@rel32@lo+4
	s_addc_u32 s1, s1, _ZN12_GLOBAL__N_111calc_igammaIfEET_S1_S1_@rel32@hi+12
	s_swappc_b64 s[30:31], s[0:1]
	s_mov_b32 s0, 0
	s_branch .LBB44_1050
.LBB44_1048:
	s_mov_b32 s4, 0
	s_mov_b32 s0, s58
	s_branch .LBB44_1175
.LBB44_1049:
	s_mov_b32 s0, -1
                                        ; implicit-def: $vgpr0
.LBB44_1050:
	s_delay_alu instid0(SALU_CYCLE_1)
	s_and_not1_b32 vcc_lo, exec_lo, s0
	s_cbranch_vccnz .LBB44_1052
; %bb.1051:
	s_waitcnt vmcnt(0)
	s_delay_alu instid0(VALU_DEP_1) | instskip(SKIP_3) | instid1(SALU_CYCLE_1)
	v_dual_mov_b32 v0, v40 :: v_dual_mov_b32 v1, v42
	s_getpc_b64 s[0:1]
	s_add_u32 s0, s0, _ZN12_GLOBAL__N_112calc_igammacIfEET_S1_S1_@rel32@lo+4
	s_addc_u32 s1, s1, _ZN12_GLOBAL__N_112calc_igammacIfEET_S1_S1_@rel32@hi+12
	s_swappc_b64 s[30:31], s[0:1]
.LBB44_1052:
	v_mul_lo_u32 v1, v45, s40
	v_and_b32_e64 v4, 0xff, s43
	s_delay_alu instid0(VALU_DEP_1) | instskip(NEXT) | instid1(VALU_DEP_3)
	v_cmp_gt_i16_e32 vcc_lo, 11, v4
	v_ashrrev_i32_e32 v3, 31, v1
	v_add_co_u32 v2, s0, s36, v1
	s_delay_alu instid0(VALU_DEP_1)
	v_add_co_ci_u32_e64 v3, s0, s37, v3, s0
	s_cbranch_vccnz .LBB44_1059
; %bb.1053:
	v_cmp_lt_i16_e32 vcc_lo, 25, v4
	s_cbranch_vccz .LBB44_1060
; %bb.1054:
	v_cmp_lt_i16_e32 vcc_lo, 28, v4
	s_cbranch_vccz .LBB44_1061
	;; [unrolled: 3-line block ×4, first 2 shown]
; %bb.1057:
	v_cmp_eq_u16_e32 vcc_lo, 46, v4
	s_mov_b32 s2, 0
	s_mov_b32 s0, -1
	s_mov_b32 s1, 0
	s_cbranch_vccz .LBB44_1064
; %bb.1058:
	v_bfe_u32 v1, v0, 16, 1
	v_cmp_o_f32_e32 vcc_lo, v0, v0
	s_mov_b32 s1, -1
	s_mov_b32 s0, 0
	s_delay_alu instid0(VALU_DEP_2) | instskip(NEXT) | instid1(VALU_DEP_1)
	v_add3_u32 v1, v0, v1, 0x7fff
	v_lshrrev_b32_e32 v1, 16, v1
	s_delay_alu instid0(VALU_DEP_1)
	v_cndmask_b32_e32 v1, 0x7fc0, v1, vcc_lo
	global_store_b32 v[2:3], v1, off
	s_branch .LBB44_1064
.LBB44_1059:
	s_mov_b32 s2, -1
	s_mov_b32 s1, 0
	s_mov_b32 s0, s58
	s_branch .LBB44_1133
.LBB44_1060:
	s_mov_b32 s2, -1
	s_mov_b32 s1, 0
	s_mov_b32 s0, s58
	s_branch .LBB44_1091
.LBB44_1061:
	s_mov_b32 s2, -1
	s_mov_b32 s1, 0
	s_mov_b32 s0, s58
	s_branch .LBB44_1074
.LBB44_1062:
	s_mov_b32 s2, -1
	s_mov_b32 s1, 0
	s_mov_b32 s0, s58
	s_branch .LBB44_1070
.LBB44_1063:
	s_mov_b32 s2, -1
	s_mov_b32 s1, 0
	s_mov_b32 s0, s58
.LBB44_1064:
	s_and_b32 vcc_lo, exec_lo, s2
	s_cbranch_vccz .LBB44_1069
; %bb.1065:
	v_cmp_eq_u16_e32 vcc_lo, 44, v4
	s_mov_b32 s0, -1
	s_cbranch_vccz .LBB44_1069
; %bb.1066:
	v_bfe_u32 v5, v0, 23, 8
	v_mov_b32_e32 v1, 0xff
	s_mov_b32 s1, exec_lo
	s_delay_alu instid0(VALU_DEP_2)
	v_cmpx_ne_u32_e32 0xff, v5
; %bb.1067:
	v_and_b32_e32 v1, 0x400000, v0
	v_and_or_b32 v5, 0x3fffff, v0, v5
	s_delay_alu instid0(VALU_DEP_2) | instskip(NEXT) | instid1(VALU_DEP_2)
	v_cmp_ne_u32_e32 vcc_lo, 0, v1
	v_cmp_ne_u32_e64 s0, 0, v5
	v_lshrrev_b32_e32 v1, 23, v0
	s_delay_alu instid0(VALU_DEP_2) | instskip(NEXT) | instid1(SALU_CYCLE_1)
	s_and_b32 s0, vcc_lo, s0
	v_cndmask_b32_e64 v5, 0, 1, s0
	s_delay_alu instid0(VALU_DEP_1)
	v_add_nc_u32_e32 v1, v1, v5
; %bb.1068:
	s_or_b32 exec_lo, exec_lo, s1
	s_mov_b32 s1, -1
	s_mov_b32 s0, 0
	global_store_b8 v[2:3], v1, off
.LBB44_1069:
	s_mov_b32 s2, 0
.LBB44_1070:
	s_delay_alu instid0(SALU_CYCLE_1)
	s_and_b32 vcc_lo, exec_lo, s2
	s_cbranch_vccz .LBB44_1073
; %bb.1071:
	v_cmp_eq_u16_e32 vcc_lo, 29, v4
	s_mov_b32 s0, -1
	s_cbranch_vccz .LBB44_1073
; %bb.1072:
	v_trunc_f32_e32 v1, v0
	s_mov_b32 s1, -1
	s_mov_b32 s0, 0
	s_mov_b32 s2, 0
	s_delay_alu instid0(VALU_DEP_1) | instskip(NEXT) | instid1(VALU_DEP_1)
	v_mul_f32_e32 v5, 0x2f800000, v1
	v_floor_f32_e32 v5, v5
	s_delay_alu instid0(VALU_DEP_1) | instskip(SKIP_1) | instid1(VALU_DEP_2)
	v_fmamk_f32 v1, v5, 0xcf800000, v1
	v_cvt_u32_f32_e32 v6, v5
	v_cvt_u32_f32_e32 v5, v1
	global_store_b64 v[2:3], v[5:6], off
	s_branch .LBB44_1074
.LBB44_1073:
	s_mov_b32 s2, 0
.LBB44_1074:
	s_delay_alu instid0(SALU_CYCLE_1)
	s_and_b32 vcc_lo, exec_lo, s2
	s_cbranch_vccz .LBB44_1090
; %bb.1075:
	v_cmp_gt_i16_e32 vcc_lo, 27, v4
	s_mov_b32 s1, -1
	s_cbranch_vccnz .LBB44_1081
; %bb.1076:
	v_cmp_lt_i16_e32 vcc_lo, 27, v4
	v_cvt_u32_f32_e32 v1, v0
	s_cbranch_vccz .LBB44_1078
; %bb.1077:
	s_mov_b32 s1, 0
	global_store_b32 v[2:3], v1, off
.LBB44_1078:
	s_and_not1_b32 vcc_lo, exec_lo, s1
	s_cbranch_vccnz .LBB44_1080
; %bb.1079:
	global_store_b16 v[2:3], v1, off
.LBB44_1080:
	s_mov_b32 s1, 0
.LBB44_1081:
	s_delay_alu instid0(SALU_CYCLE_1)
	s_and_not1_b32 vcc_lo, exec_lo, s1
	s_cbranch_vccnz .LBB44_1089
; %bb.1082:
	v_and_b32_e32 v1, 0x7fffffff, v0
	v_mov_b32_e32 v5, 0x80
	s_mov_b32 s1, exec_lo
	s_delay_alu instid0(VALU_DEP_2)
	v_cmpx_gt_u32_e32 0x43800000, v1
	s_cbranch_execz .LBB44_1088
; %bb.1083:
	v_cmp_lt_u32_e32 vcc_lo, 0x3bffffff, v1
	s_mov_b32 s2, 0
                                        ; implicit-def: $vgpr1
	s_and_saveexec_b32 s3, vcc_lo
	s_delay_alu instid0(SALU_CYCLE_1)
	s_xor_b32 s3, exec_lo, s3
	s_cbranch_execz .LBB44_1191
; %bb.1084:
	v_bfe_u32 v1, v0, 20, 1
	s_mov_b32 s2, exec_lo
	s_delay_alu instid0(VALU_DEP_1) | instskip(NEXT) | instid1(VALU_DEP_1)
	v_add3_u32 v1, v0, v1, 0x487ffff
	v_lshrrev_b32_e32 v1, 20, v1
	s_or_saveexec_b32 s3, s3
                                        ; implicit-def: $sgpr4
	s_delay_alu instid0(SALU_CYCLE_1)
	s_xor_b32 exec_lo, exec_lo, s3
	s_cbranch_execnz .LBB44_1192
.LBB44_1085:
	s_or_b32 exec_lo, exec_lo, s3
	v_mov_b32_e32 v5, s4
	s_and_saveexec_b32 s3, s2
.LBB44_1086:
	v_lshrrev_b32_e32 v5, 24, v0
	s_delay_alu instid0(VALU_DEP_1)
	v_and_or_b32 v5, 0x80, v5, v1
.LBB44_1087:
	s_or_b32 exec_lo, exec_lo, s3
.LBB44_1088:
	s_delay_alu instid0(SALU_CYCLE_1)
	s_or_b32 exec_lo, exec_lo, s1
	global_store_b8 v[2:3], v5, off
.LBB44_1089:
	s_mov_b32 s1, -1
.LBB44_1090:
	s_mov_b32 s2, 0
.LBB44_1091:
	s_delay_alu instid0(SALU_CYCLE_1)
	s_and_b32 vcc_lo, exec_lo, s2
	s_cbranch_vccz .LBB44_1132
; %bb.1092:
	v_cmp_lt_i16_e32 vcc_lo, 22, v4
	s_mov_b32 s2, -1
	s_cbranch_vccz .LBB44_1124
; %bb.1093:
	v_cmp_gt_i16_e32 vcc_lo, 24, v4
	s_mov_b32 s1, -1
	s_cbranch_vccnz .LBB44_1113
; %bb.1094:
	v_cmp_lt_i16_e32 vcc_lo, 24, v4
	s_cbranch_vccz .LBB44_1102
; %bb.1095:
	v_and_b32_e32 v1, 0x7fffffff, v0
	v_mov_b32_e32 v5, 0x80
	s_mov_b32 s1, exec_lo
	s_delay_alu instid0(VALU_DEP_2)
	v_cmpx_gt_u32_e32 0x47800000, v1
	s_cbranch_execz .LBB44_1101
; %bb.1096:
	v_cmp_lt_u32_e32 vcc_lo, 0x37ffffff, v1
	s_mov_b32 s2, 0
                                        ; implicit-def: $vgpr1
	s_and_saveexec_b32 s3, vcc_lo
	s_delay_alu instid0(SALU_CYCLE_1)
	s_xor_b32 s3, exec_lo, s3
	s_cbranch_execz .LBB44_2259
; %bb.1097:
	v_bfe_u32 v1, v0, 21, 1
	s_mov_b32 s2, exec_lo
	s_delay_alu instid0(VALU_DEP_1) | instskip(NEXT) | instid1(VALU_DEP_1)
	v_add3_u32 v1, v0, v1, 0x88fffff
	v_lshrrev_b32_e32 v1, 21, v1
	s_or_saveexec_b32 s3, s3
                                        ; implicit-def: $sgpr4
	s_delay_alu instid0(SALU_CYCLE_1)
	s_xor_b32 exec_lo, exec_lo, s3
	s_cbranch_execnz .LBB44_2260
.LBB44_1098:
	s_or_b32 exec_lo, exec_lo, s3
	v_mov_b32_e32 v5, s4
	s_and_saveexec_b32 s3, s2
.LBB44_1099:
	v_lshrrev_b32_e32 v5, 24, v0
	s_delay_alu instid0(VALU_DEP_1)
	v_and_or_b32 v5, 0x80, v5, v1
.LBB44_1100:
	s_or_b32 exec_lo, exec_lo, s3
.LBB44_1101:
	s_delay_alu instid0(SALU_CYCLE_1)
	s_or_b32 exec_lo, exec_lo, s1
	s_mov_b32 s1, 0
	global_store_b8 v[2:3], v5, off
.LBB44_1102:
	s_and_b32 vcc_lo, exec_lo, s1
	s_cbranch_vccz .LBB44_1112
; %bb.1103:
	v_and_b32_e32 v5, 0x7fffffff, v0
	s_mov_b32 s1, exec_lo
                                        ; implicit-def: $vgpr1
	s_delay_alu instid0(VALU_DEP_1)
	v_cmpx_gt_u32_e32 0x43f00000, v5
	s_xor_b32 s1, exec_lo, s1
	s_cbranch_execz .LBB44_1109
; %bb.1104:
	s_mov_b32 s2, exec_lo
                                        ; implicit-def: $vgpr1
	v_cmpx_lt_u32_e32 0x3c7fffff, v5
	s_xor_b32 s2, exec_lo, s2
; %bb.1105:
	v_bfe_u32 v1, v0, 20, 1
	s_delay_alu instid0(VALU_DEP_1) | instskip(NEXT) | instid1(VALU_DEP_1)
	v_add3_u32 v1, v0, v1, 0x407ffff
	v_and_b32_e32 v5, 0xff00000, v1
	v_lshrrev_b32_e32 v1, 20, v1
	s_delay_alu instid0(VALU_DEP_2) | instskip(NEXT) | instid1(VALU_DEP_2)
	v_cmp_ne_u32_e32 vcc_lo, 0x7f00000, v5
	v_cndmask_b32_e32 v1, 0x7e, v1, vcc_lo
; %bb.1106:
	s_and_not1_saveexec_b32 s2, s2
; %bb.1107:
	v_add_f32_e64 v1, 0x46800000, |v0|
; %bb.1108:
	s_or_b32 exec_lo, exec_lo, s2
                                        ; implicit-def: $vgpr5
.LBB44_1109:
	s_and_not1_saveexec_b32 s1, s1
; %bb.1110:
	v_mov_b32_e32 v1, 0x7f
	v_cmp_lt_u32_e32 vcc_lo, 0x7f800000, v5
	s_delay_alu instid0(VALU_DEP_2)
	v_cndmask_b32_e32 v1, 0x7e, v1, vcc_lo
; %bb.1111:
	s_or_b32 exec_lo, exec_lo, s1
	v_lshrrev_b32_e32 v5, 24, v0
	s_delay_alu instid0(VALU_DEP_1)
	v_and_or_b32 v1, 0x80, v5, v1
	global_store_b8 v[2:3], v1, off
.LBB44_1112:
	s_mov_b32 s1, 0
.LBB44_1113:
	s_delay_alu instid0(SALU_CYCLE_1)
	s_and_not1_b32 vcc_lo, exec_lo, s1
	s_cbranch_vccnz .LBB44_1123
; %bb.1114:
	v_and_b32_e32 v5, 0x7fffffff, v0
	s_mov_b32 s1, exec_lo
                                        ; implicit-def: $vgpr1
	s_delay_alu instid0(VALU_DEP_1)
	v_cmpx_gt_u32_e32 0x47800000, v5
	s_xor_b32 s1, exec_lo, s1
	s_cbranch_execz .LBB44_1120
; %bb.1115:
	s_mov_b32 s2, exec_lo
                                        ; implicit-def: $vgpr1
	v_cmpx_lt_u32_e32 0x387fffff, v5
	s_xor_b32 s2, exec_lo, s2
; %bb.1116:
	v_bfe_u32 v1, v0, 21, 1
	s_delay_alu instid0(VALU_DEP_1) | instskip(NEXT) | instid1(VALU_DEP_1)
	v_add3_u32 v1, v0, v1, 0x80fffff
	v_lshrrev_b32_e32 v1, 21, v1
; %bb.1117:
	s_and_not1_saveexec_b32 s2, s2
; %bb.1118:
	v_add_f32_e64 v1, 0x43000000, |v0|
; %bb.1119:
	s_or_b32 exec_lo, exec_lo, s2
                                        ; implicit-def: $vgpr5
.LBB44_1120:
	s_and_not1_saveexec_b32 s1, s1
; %bb.1121:
	v_mov_b32_e32 v1, 0x7f
	v_cmp_lt_u32_e32 vcc_lo, 0x7f800000, v5
	s_delay_alu instid0(VALU_DEP_2)
	v_cndmask_b32_e32 v1, 0x7c, v1, vcc_lo
; %bb.1122:
	s_or_b32 exec_lo, exec_lo, s1
	v_lshrrev_b32_e32 v5, 24, v0
	s_delay_alu instid0(VALU_DEP_1)
	v_and_or_b32 v1, 0x80, v5, v1
	global_store_b8 v[2:3], v1, off
.LBB44_1123:
	s_mov_b32 s2, 0
	s_mov_b32 s1, -1
.LBB44_1124:
	s_and_not1_b32 vcc_lo, exec_lo, s2
	s_cbranch_vccnz .LBB44_1132
; %bb.1125:
	v_cmp_lt_i16_e32 vcc_lo, 14, v4
	s_mov_b32 s2, -1
	s_cbranch_vccz .LBB44_1129
; %bb.1126:
	v_cmp_eq_u16_e32 vcc_lo, 15, v4
	s_mov_b32 s0, -1
	s_cbranch_vccz .LBB44_1128
; %bb.1127:
	v_bfe_u32 v1, v0, 16, 1
	v_cmp_o_f32_e32 vcc_lo, v0, v0
	s_mov_b32 s1, -1
	s_mov_b32 s0, 0
	s_delay_alu instid0(VALU_DEP_2) | instskip(NEXT) | instid1(VALU_DEP_1)
	v_add3_u32 v1, v0, v1, 0x7fff
	v_lshrrev_b32_e32 v1, 16, v1
	s_delay_alu instid0(VALU_DEP_1)
	v_cndmask_b32_e32 v1, 0x7fc0, v1, vcc_lo
	global_store_b16 v[2:3], v1, off
.LBB44_1128:
	s_mov_b32 s2, 0
.LBB44_1129:
	s_delay_alu instid0(SALU_CYCLE_1)
	s_and_b32 vcc_lo, exec_lo, s2
	s_cbranch_vccz .LBB44_1132
; %bb.1130:
	v_cmp_eq_u16_e32 vcc_lo, 11, v4
	s_mov_b32 s0, -1
	s_cbranch_vccz .LBB44_1132
; %bb.1131:
	v_cmp_neq_f32_e32 vcc_lo, 0, v0
	s_mov_b32 s0, 0
	s_mov_b32 s1, -1
	v_cndmask_b32_e64 v1, 0, 1, vcc_lo
	global_store_b8 v[2:3], v1, off
.LBB44_1132:
	s_mov_b32 s2, 0
.LBB44_1133:
	s_delay_alu instid0(SALU_CYCLE_1)
	s_and_b32 vcc_lo, exec_lo, s2
	s_cbranch_vccz .LBB44_1172
; %bb.1134:
	v_cmp_gt_i16_e32 vcc_lo, 5, v4
	s_mov_b32 s1, -1
	s_cbranch_vccnz .LBB44_1155
; %bb.1135:
	v_cmp_gt_i16_e32 vcc_lo, 8, v4
	s_cbranch_vccnz .LBB44_1145
; %bb.1136:
	v_cmp_gt_i16_e32 vcc_lo, 9, v4
	s_cbranch_vccnz .LBB44_1142
; %bb.1137:
	v_cmp_lt_i16_e32 vcc_lo, 9, v4
	s_cbranch_vccz .LBB44_1139
; %bb.1138:
	v_cvt_f64_f32_e32 v[5:6], v0
	v_mov_b32_e32 v7, 0
	s_mov_b32 s1, 0
	s_delay_alu instid0(VALU_DEP_1)
	v_mov_b32_e32 v8, v7
	global_store_b128 v[2:3], v[5:8], off
.LBB44_1139:
	s_and_not1_b32 vcc_lo, exec_lo, s1
	s_cbranch_vccnz .LBB44_1141
; %bb.1140:
	v_mov_b32_e32 v1, 0
	global_store_b64 v[2:3], v[0:1], off
.LBB44_1141:
	s_mov_b32 s1, 0
.LBB44_1142:
	s_delay_alu instid0(SALU_CYCLE_1)
	s_and_not1_b32 vcc_lo, exec_lo, s1
	s_cbranch_vccnz .LBB44_1144
; %bb.1143:
	v_cvt_f16_f32_e32 v1, v0
	s_delay_alu instid0(VALU_DEP_1)
	v_and_b32_e32 v1, 0xffff, v1
	global_store_b32 v[2:3], v1, off
.LBB44_1144:
	s_mov_b32 s1, 0
.LBB44_1145:
	s_delay_alu instid0(SALU_CYCLE_1)
	s_and_not1_b32 vcc_lo, exec_lo, s1
	s_cbranch_vccnz .LBB44_1154
; %bb.1146:
	v_cmp_gt_i16_e32 vcc_lo, 6, v4
	s_mov_b32 s1, -1
	s_cbranch_vccnz .LBB44_1152
; %bb.1147:
	v_cmp_lt_i16_e32 vcc_lo, 6, v4
	s_cbranch_vccz .LBB44_1149
; %bb.1148:
	v_cvt_f64_f32_e32 v[5:6], v0
	s_mov_b32 s1, 0
	global_store_b64 v[2:3], v[5:6], off
.LBB44_1149:
	s_and_not1_b32 vcc_lo, exec_lo, s1
	s_cbranch_vccnz .LBB44_1151
; %bb.1150:
	global_store_b32 v[2:3], v0, off
.LBB44_1151:
	s_mov_b32 s1, 0
.LBB44_1152:
	s_delay_alu instid0(SALU_CYCLE_1)
	s_and_not1_b32 vcc_lo, exec_lo, s1
	s_cbranch_vccnz .LBB44_1154
; %bb.1153:
	v_cvt_f16_f32_e32 v1, v0
	global_store_b16 v[2:3], v1, off
.LBB44_1154:
	s_mov_b32 s1, 0
.LBB44_1155:
	s_delay_alu instid0(SALU_CYCLE_1)
	s_and_not1_b32 vcc_lo, exec_lo, s1
	s_cbranch_vccnz .LBB44_1171
; %bb.1156:
	v_cmp_gt_i16_e32 vcc_lo, 2, v4
	s_mov_b32 s1, -1
	s_cbranch_vccnz .LBB44_1166
; %bb.1157:
	v_cmp_gt_i16_e32 vcc_lo, 3, v4
	s_cbranch_vccnz .LBB44_1163
; %bb.1158:
	v_cmp_lt_i16_e32 vcc_lo, 3, v4
	s_cbranch_vccz .LBB44_1160
; %bb.1159:
	v_trunc_f32_e32 v1, v0
	s_mov_b32 s1, 0
	s_delay_alu instid0(VALU_DEP_1) | instskip(NEXT) | instid1(VALU_DEP_1)
	v_mul_f32_e64 v5, 0x2f800000, |v1|
	v_floor_f32_e32 v5, v5
	s_delay_alu instid0(VALU_DEP_1) | instskip(SKIP_2) | instid1(VALU_DEP_3)
	v_fma_f32 v6, 0xcf800000, v5, |v1|
	v_ashrrev_i32_e32 v1, 31, v1
	v_cvt_u32_f32_e32 v5, v5
	v_cvt_u32_f32_e32 v6, v6
	s_delay_alu instid0(VALU_DEP_2) | instskip(NEXT) | instid1(VALU_DEP_2)
	v_xor_b32_e32 v7, v5, v1
	v_xor_b32_e32 v6, v6, v1
	s_delay_alu instid0(VALU_DEP_1) | instskip(NEXT) | instid1(VALU_DEP_3)
	v_sub_co_u32 v5, vcc_lo, v6, v1
	v_sub_co_ci_u32_e32 v6, vcc_lo, v7, v1, vcc_lo
	global_store_b64 v[2:3], v[5:6], off
.LBB44_1160:
	s_and_not1_b32 vcc_lo, exec_lo, s1
	s_cbranch_vccnz .LBB44_1162
; %bb.1161:
	v_cvt_i32_f32_e32 v1, v0
	global_store_b32 v[2:3], v1, off
.LBB44_1162:
	s_mov_b32 s1, 0
.LBB44_1163:
	s_delay_alu instid0(SALU_CYCLE_1)
	s_and_not1_b32 vcc_lo, exec_lo, s1
	s_cbranch_vccnz .LBB44_1165
; %bb.1164:
	v_cvt_i32_f32_e32 v1, v0
	global_store_b16 v[2:3], v1, off
.LBB44_1165:
	s_mov_b32 s1, 0
.LBB44_1166:
	s_delay_alu instid0(SALU_CYCLE_1)
	s_and_not1_b32 vcc_lo, exec_lo, s1
	s_cbranch_vccnz .LBB44_1171
; %bb.1167:
	v_cmp_lt_i16_e32 vcc_lo, 0, v4
	s_mov_b32 s1, -1
	s_cbranch_vccz .LBB44_1169
; %bb.1168:
	v_cvt_i32_f32_e32 v1, v0
	s_mov_b32 s1, 0
	global_store_b8 v[2:3], v1, off
.LBB44_1169:
	s_and_not1_b32 vcc_lo, exec_lo, s1
	s_cbranch_vccnz .LBB44_1171
; %bb.1170:
	v_trunc_f32_e32 v0, v0
	s_delay_alu instid0(VALU_DEP_1) | instskip(NEXT) | instid1(VALU_DEP_1)
	v_mul_f32_e64 v1, 0x2f800000, |v0|
	v_floor_f32_e32 v1, v1
	s_delay_alu instid0(VALU_DEP_1) | instskip(SKIP_1) | instid1(VALU_DEP_2)
	v_fma_f32 v1, 0xcf800000, v1, |v0|
	v_ashrrev_i32_e32 v0, 31, v0
	v_cvt_u32_f32_e32 v1, v1
	s_delay_alu instid0(VALU_DEP_1) | instskip(NEXT) | instid1(VALU_DEP_1)
	v_xor_b32_e32 v1, v1, v0
	v_sub_nc_u32_e32 v0, v1, v0
	global_store_b8 v[2:3], v0, off
.LBB44_1171:
	s_mov_b32 s1, -1
.LBB44_1172:
	s_delay_alu instid0(SALU_CYCLE_1)
	s_and_not1_b32 vcc_lo, exec_lo, s1
	s_cbranch_vccnz .LBB44_1174
; %bb.1173:
	v_add_nc_u32_e32 v45, 0x80, v45
	s_mov_b32 s4, -1
	s_branch .LBB44_1176
.LBB44_1174:
	s_mov_b32 s4, 0
.LBB44_1175:
                                        ; implicit-def: $vgpr45
.LBB44_1176:
	s_and_not1_b32 s1, s58, exec_lo
	s_and_b32 s0, s0, exec_lo
	s_and_not1_b32 s5, s57, exec_lo
	s_or_b32 s2, s1, s0
	s_and_not1_b32 s0, s59, exec_lo
	s_and_b32 s1, s63, exec_lo
	s_and_b32 s6, s62, exec_lo
	s_or_b32 s3, s0, s1
	s_or_b32 s1, s5, s6
	s_or_not1_b32 s7, s4, exec_lo
.LBB44_1177:
	s_or_b32 exec_lo, exec_lo, s61
	s_mov_b32 s0, 0
	s_mov_b32 s5, 0
	;; [unrolled: 1-line block ×3, first 2 shown]
                                        ; implicit-def: $vgpr2
                                        ; implicit-def: $vgpr0_vgpr1
                                        ; implicit-def: $vgpr40
	s_and_saveexec_b32 s4, s7
	s_cbranch_execz .LBB44_1260
; %bb.1178:
	s_mov_b32 s8, s1
	s_mov_b32 s7, 0
	;; [unrolled: 1-line block ×3, first 2 shown]
	s_mov_b32 s5, exec_lo
                                        ; implicit-def: $vgpr2
                                        ; implicit-def: $vgpr0_vgpr1
                                        ; implicit-def: $vgpr40
	v_cmpx_gt_i32_e64 s52, v45
	s_cbranch_execz .LBB44_1259
; %bb.1179:
	v_mul_lo_u32 v0, v45, s41
	v_and_b32_e64 v2, 0xff, s49
	s_delay_alu instid0(VALU_DEP_1) | instskip(NEXT) | instid1(VALU_DEP_3)
	v_cmp_gt_i16_e32 vcc_lo, 11, v2
	v_ashrrev_i32_e32 v1, 31, v0
	v_add_co_u32 v0, s0, s38, v0
	s_delay_alu instid0(VALU_DEP_1)
	v_add_co_ci_u32_e64 v1, s0, s39, v1, s0
	s_cbranch_vccnz .LBB44_1186
; %bb.1180:
	v_cmp_lt_i16_e32 vcc_lo, 25, v2
	s_cbranch_vccz .LBB44_1187
; %bb.1181:
	v_cmp_lt_i16_e32 vcc_lo, 28, v2
	s_cbranch_vccz .LBB44_1188
	;; [unrolled: 3-line block ×4, first 2 shown]
; %bb.1184:
	v_cmp_eq_u16_e32 vcc_lo, 46, v2
	s_mov_b32 s8, 0
	s_cbranch_vccz .LBB44_1193
; %bb.1185:
	global_load_b32 v3, v[0:1], off
	s_mov_b32 s0, 0
	s_mov_b32 s7, -1
	s_waitcnt vmcnt(0)
	v_lshlrev_b32_e32 v40, 16, v3
	s_branch .LBB44_1195
.LBB44_1186:
	s_mov_b32 s8, -1
	s_mov_b32 s0, s1
                                        ; implicit-def: $vgpr40
	s_branch .LBB44_1258
.LBB44_1187:
	s_mov_b32 s8, -1
	s_mov_b32 s0, s1
                                        ; implicit-def: $vgpr40
	s_branch .LBB44_1224
.LBB44_1188:
	s_mov_b32 s8, -1
	s_mov_b32 s0, s1
                                        ; implicit-def: $vgpr40
	s_branch .LBB44_1205
.LBB44_1189:
	s_mov_b32 s8, -1
	s_mov_b32 s0, s1
                                        ; implicit-def: $vgpr40
	s_branch .LBB44_1200
.LBB44_1190:
	s_mov_b32 s8, -1
	s_mov_b32 s0, s1
	s_branch .LBB44_1194
.LBB44_1191:
	s_or_saveexec_b32 s3, s3
                                        ; implicit-def: $sgpr4
	s_delay_alu instid0(SALU_CYCLE_1)
	s_xor_b32 exec_lo, exec_lo, s3
	s_cbranch_execz .LBB44_1085
.LBB44_1192:
	v_add_f32_e64 v1, 0x46000000, |v0|
	s_and_not1_b32 s2, s2, exec_lo
	s_mov_b32 s4, 0
	s_delay_alu instid0(VALU_DEP_1) | instskip(NEXT) | instid1(VALU_DEP_1)
	v_and_b32_e32 v1, 0xff, v1
	v_cmp_ne_u32_e32 vcc_lo, 0, v1
	s_and_b32 s5, vcc_lo, exec_lo
	s_delay_alu instid0(SALU_CYCLE_1)
	s_or_b32 s2, s2, s5
	s_or_b32 exec_lo, exec_lo, s3
	v_mov_b32_e32 v5, s4
	s_and_saveexec_b32 s3, s2
	s_cbranch_execnz .LBB44_1086
	s_branch .LBB44_1087
.LBB44_1193:
	s_mov_b32 s0, -1
.LBB44_1194:
                                        ; implicit-def: $vgpr40
.LBB44_1195:
	s_and_b32 vcc_lo, exec_lo, s8
	s_cbranch_vccz .LBB44_1199
; %bb.1196:
	v_cmp_eq_u16_e32 vcc_lo, 44, v2
	s_cbranch_vccz .LBB44_1198
; %bb.1197:
	global_load_u8 v3, v[0:1], off
	s_mov_b32 s0, 0
	s_mov_b32 s7, -1
	s_waitcnt vmcnt(0)
	v_lshlrev_b32_e32 v4, 23, v3
	v_cmp_ne_u32_e32 vcc_lo, 0xff, v3
	s_delay_alu instid0(VALU_DEP_2) | instskip(SKIP_1) | instid1(VALU_DEP_2)
	v_cndmask_b32_e32 v4, 0x7f800001, v4, vcc_lo
	v_cmp_ne_u32_e32 vcc_lo, 0, v3
	v_cndmask_b32_e32 v40, 0x400000, v4, vcc_lo
	s_branch .LBB44_1199
.LBB44_1198:
	s_mov_b32 s0, -1
                                        ; implicit-def: $vgpr40
.LBB44_1199:
	s_mov_b32 s8, 0
.LBB44_1200:
	s_delay_alu instid0(SALU_CYCLE_1)
	s_and_b32 vcc_lo, exec_lo, s8
	s_cbranch_vccz .LBB44_1204
; %bb.1201:
	v_cmp_eq_u16_e32 vcc_lo, 29, v2
	s_cbranch_vccz .LBB44_1203
; %bb.1202:
	global_load_b64 v[3:4], v[0:1], off
	s_mov_b32 s0, 0
	s_mov_b32 s7, -1
	s_mov_b32 s8, 0
	s_waitcnt vmcnt(0)
	v_clz_i32_u32_e32 v5, v4
	s_delay_alu instid0(VALU_DEP_1) | instskip(NEXT) | instid1(VALU_DEP_1)
	v_min_u32_e32 v5, 32, v5
	v_lshlrev_b64 v[3:4], v5, v[3:4]
	s_delay_alu instid0(VALU_DEP_1) | instskip(NEXT) | instid1(VALU_DEP_1)
	v_min_u32_e32 v3, 1, v3
	v_or_b32_e32 v3, v4, v3
	v_sub_nc_u32_e32 v4, 32, v5
	s_delay_alu instid0(VALU_DEP_2) | instskip(NEXT) | instid1(VALU_DEP_1)
	v_cvt_f32_u32_e32 v3, v3
	v_ldexp_f32 v40, v3, v4
	s_branch .LBB44_1205
.LBB44_1203:
	s_mov_b32 s0, -1
                                        ; implicit-def: $vgpr40
.LBB44_1204:
	s_mov_b32 s8, 0
.LBB44_1205:
	s_delay_alu instid0(SALU_CYCLE_1)
	s_and_b32 vcc_lo, exec_lo, s8
	s_cbranch_vccz .LBB44_1223
; %bb.1206:
	v_cmp_gt_i16_e32 vcc_lo, 27, v2
	s_cbranch_vccnz .LBB44_1209
; %bb.1207:
	v_cmp_lt_i16_e32 vcc_lo, 27, v2
	s_cbranch_vccz .LBB44_1210
; %bb.1208:
	global_load_b32 v3, v[0:1], off
	s_mov_b32 s7, 0
	s_waitcnt vmcnt(0)
	v_cvt_f32_u32_e32 v40, v3
	s_branch .LBB44_1211
.LBB44_1209:
	s_mov_b32 s7, -1
                                        ; implicit-def: $vgpr40
	s_branch .LBB44_1214
.LBB44_1210:
	s_mov_b32 s7, -1
                                        ; implicit-def: $vgpr40
.LBB44_1211:
	s_delay_alu instid0(SALU_CYCLE_1)
	s_and_not1_b32 vcc_lo, exec_lo, s7
	s_cbranch_vccnz .LBB44_1213
; %bb.1212:
	global_load_u16 v3, v[0:1], off
	s_waitcnt vmcnt(0)
	v_cvt_f32_u32_e32 v40, v3
.LBB44_1213:
	s_mov_b32 s7, 0
.LBB44_1214:
	s_delay_alu instid0(SALU_CYCLE_1)
	s_and_not1_b32 vcc_lo, exec_lo, s7
	s_cbranch_vccnz .LBB44_1222
; %bb.1215:
	global_load_u8 v3, v[0:1], off
	s_mov_b32 s7, 0
	s_mov_b32 s9, exec_lo
                                        ; implicit-def: $sgpr8
	s_waitcnt vmcnt(0)
	v_cmpx_lt_i16_e32 0x7f, v3
	s_xor_b32 s9, exec_lo, s9
	s_cbranch_execz .LBB44_1236
; %bb.1216:
	s_mov_b32 s7, -1
	s_mov_b32 s10, exec_lo
                                        ; implicit-def: $sgpr8
	v_cmpx_eq_u16_e32 0x80, v3
; %bb.1217:
	s_mov_b32 s8, 0x7f800001
	s_xor_b32 s7, exec_lo, -1
; %bb.1218:
	s_or_b32 exec_lo, exec_lo, s10
	s_delay_alu instid0(SALU_CYCLE_1)
	s_and_b32 s7, s7, exec_lo
	s_or_saveexec_b32 s9, s9
	v_mov_b32_e32 v40, s8
	s_xor_b32 exec_lo, exec_lo, s9
	s_cbranch_execnz .LBB44_1237
.LBB44_1219:
	s_or_b32 exec_lo, exec_lo, s9
	s_and_saveexec_b32 s8, s7
	s_cbranch_execz .LBB44_1221
.LBB44_1220:
	v_and_b32_e32 v4, 0xffff, v3
	v_lshlrev_b32_e32 v3, 24, v3
	s_delay_alu instid0(VALU_DEP_2) | instskip(NEXT) | instid1(VALU_DEP_2)
	v_and_b32_e32 v5, 7, v4
	v_and_b32_e32 v3, 0x80000000, v3
	s_delay_alu instid0(VALU_DEP_2) | instskip(NEXT) | instid1(VALU_DEP_1)
	v_clz_i32_u32_e32 v6, v5
	v_min_u32_e32 v6, 32, v6
	s_delay_alu instid0(VALU_DEP_1) | instskip(SKIP_1) | instid1(VALU_DEP_2)
	v_subrev_nc_u32_e32 v7, 28, v6
	v_sub_nc_u32_e32 v6, 29, v6
	v_lshlrev_b32_e32 v7, v7, v4
	v_bfe_u32 v4, v4, 3, 4
	s_delay_alu instid0(VALU_DEP_2) | instskip(NEXT) | instid1(VALU_DEP_2)
	v_and_b32_e32 v7, 7, v7
	v_cmp_eq_u32_e32 vcc_lo, 0, v4
	s_delay_alu instid0(VALU_DEP_2) | instskip(NEXT) | instid1(VALU_DEP_1)
	v_dual_cndmask_b32 v4, v4, v6 :: v_dual_cndmask_b32 v5, v5, v7
	v_lshl_add_u32 v4, v4, 23, 0x3b800000
	s_delay_alu instid0(VALU_DEP_2) | instskip(NEXT) | instid1(VALU_DEP_1)
	v_lshlrev_b32_e32 v5, 20, v5
	v_or3_b32 v40, v3, v4, v5
.LBB44_1221:
	s_or_b32 exec_lo, exec_lo, s8
.LBB44_1222:
	s_mov_b32 s7, -1
.LBB44_1223:
	s_mov_b32 s8, 0
.LBB44_1224:
	s_delay_alu instid0(SALU_CYCLE_1)
	s_and_b32 vcc_lo, exec_lo, s8
	s_cbranch_vccz .LBB44_1257
; %bb.1225:
	v_cmp_lt_i16_e32 vcc_lo, 22, v2
	s_cbranch_vccz .LBB44_1235
; %bb.1226:
	v_cmp_gt_i16_e32 vcc_lo, 24, v2
	s_cbranch_vccnz .LBB44_1238
; %bb.1227:
	v_cmp_lt_i16_e32 vcc_lo, 24, v2
	s_cbranch_vccz .LBB44_1239
; %bb.1228:
	global_load_u8 v3, v[0:1], off
	s_mov_b32 s8, exec_lo
                                        ; implicit-def: $sgpr7
	s_waitcnt vmcnt(0)
	v_cmpx_lt_i16_e32 0x7f, v3
	s_xor_b32 s8, exec_lo, s8
	s_cbranch_execz .LBB44_1251
; %bb.1229:
	s_mov_b32 s6, -1
	s_mov_b32 s9, exec_lo
                                        ; implicit-def: $sgpr7
	v_cmpx_eq_u16_e32 0x80, v3
; %bb.1230:
	s_mov_b32 s7, 0x7f800001
	s_xor_b32 s6, exec_lo, -1
; %bb.1231:
	s_or_b32 exec_lo, exec_lo, s9
	s_delay_alu instid0(SALU_CYCLE_1)
	s_and_b32 s6, s6, exec_lo
	s_or_saveexec_b32 s8, s8
	v_mov_b32_e32 v40, s7
	s_xor_b32 exec_lo, exec_lo, s8
	s_cbranch_execnz .LBB44_1252
.LBB44_1232:
	s_or_b32 exec_lo, exec_lo, s8
	s_and_saveexec_b32 s7, s6
	s_cbranch_execz .LBB44_1234
.LBB44_1233:
	v_and_b32_e32 v4, 0xffff, v3
	v_lshlrev_b32_e32 v3, 24, v3
	s_delay_alu instid0(VALU_DEP_2) | instskip(NEXT) | instid1(VALU_DEP_2)
	v_and_b32_e32 v5, 3, v4
	v_and_b32_e32 v3, 0x80000000, v3
	s_delay_alu instid0(VALU_DEP_2) | instskip(NEXT) | instid1(VALU_DEP_1)
	v_clz_i32_u32_e32 v6, v5
	v_min_u32_e32 v6, 32, v6
	s_delay_alu instid0(VALU_DEP_1) | instskip(SKIP_1) | instid1(VALU_DEP_2)
	v_subrev_nc_u32_e32 v7, 29, v6
	v_sub_nc_u32_e32 v6, 30, v6
	v_lshlrev_b32_e32 v7, v7, v4
	v_bfe_u32 v4, v4, 2, 5
	s_delay_alu instid0(VALU_DEP_2) | instskip(NEXT) | instid1(VALU_DEP_2)
	v_and_b32_e32 v7, 3, v7
	v_cmp_eq_u32_e32 vcc_lo, 0, v4
	s_delay_alu instid0(VALU_DEP_2) | instskip(NEXT) | instid1(VALU_DEP_1)
	v_dual_cndmask_b32 v4, v4, v6 :: v_dual_cndmask_b32 v5, v5, v7
	v_lshl_add_u32 v4, v4, 23, 0x37800000
	s_delay_alu instid0(VALU_DEP_2) | instskip(NEXT) | instid1(VALU_DEP_1)
	v_lshlrev_b32_e32 v5, 21, v5
	v_or3_b32 v40, v3, v4, v5
.LBB44_1234:
	s_or_b32 exec_lo, exec_lo, s7
	s_mov_b32 s6, 0
	s_branch .LBB44_1240
.LBB44_1235:
	s_mov_b32 s6, -1
                                        ; implicit-def: $vgpr40
	s_branch .LBB44_1246
.LBB44_1236:
	s_or_saveexec_b32 s9, s9
	v_mov_b32_e32 v40, s8
	s_xor_b32 exec_lo, exec_lo, s9
	s_cbranch_execz .LBB44_1219
.LBB44_1237:
	v_cmp_ne_u16_e32 vcc_lo, 0, v3
	v_mov_b32_e32 v40, 0
	s_and_not1_b32 s7, s7, exec_lo
	s_and_b32 s8, vcc_lo, exec_lo
	s_delay_alu instid0(SALU_CYCLE_1)
	s_or_b32 s7, s7, s8
	s_or_b32 exec_lo, exec_lo, s9
	s_and_saveexec_b32 s8, s7
	s_cbranch_execnz .LBB44_1220
	s_branch .LBB44_1221
.LBB44_1238:
	s_mov_b32 s6, -1
                                        ; implicit-def: $vgpr40
	s_branch .LBB44_1243
.LBB44_1239:
	s_mov_b32 s6, -1
                                        ; implicit-def: $vgpr40
.LBB44_1240:
	s_delay_alu instid0(SALU_CYCLE_1)
	s_and_b32 vcc_lo, exec_lo, s6
	s_cbranch_vccz .LBB44_1242
; %bb.1241:
	global_load_u8 v3, v[0:1], off
	s_waitcnt vmcnt(0)
	v_lshlrev_b32_e32 v3, 24, v3
	s_delay_alu instid0(VALU_DEP_1) | instskip(NEXT) | instid1(VALU_DEP_1)
	v_and_b32_e32 v4, 0x7f000000, v3
	v_clz_i32_u32_e32 v5, v4
	v_add_nc_u32_e32 v7, 0x1000000, v4
	v_cmp_ne_u32_e32 vcc_lo, 0, v4
	s_delay_alu instid0(VALU_DEP_3) | instskip(NEXT) | instid1(VALU_DEP_1)
	v_min_u32_e32 v5, 32, v5
	v_sub_nc_u32_e64 v5, v5, 4 clamp
	s_delay_alu instid0(VALU_DEP_1) | instskip(SKIP_1) | instid1(VALU_DEP_2)
	v_lshlrev_b32_e32 v6, v5, v4
	v_lshlrev_b32_e32 v5, 23, v5
	v_lshrrev_b32_e32 v6, 4, v6
	s_delay_alu instid0(VALU_DEP_1) | instskip(SKIP_1) | instid1(VALU_DEP_2)
	v_sub_nc_u32_e32 v5, v6, v5
	v_ashrrev_i32_e32 v6, 8, v7
	v_add_nc_u32_e32 v5, 0x3c000000, v5
	s_delay_alu instid0(VALU_DEP_1) | instskip(NEXT) | instid1(VALU_DEP_1)
	v_and_or_b32 v5, 0x7f800000, v6, v5
	v_cndmask_b32_e32 v4, 0, v5, vcc_lo
	s_delay_alu instid0(VALU_DEP_1)
	v_and_or_b32 v40, 0x80000000, v3, v4
.LBB44_1242:
	s_mov_b32 s6, 0
.LBB44_1243:
	s_delay_alu instid0(SALU_CYCLE_1)
	s_and_not1_b32 vcc_lo, exec_lo, s6
	s_cbranch_vccnz .LBB44_1245
; %bb.1244:
	global_load_u8 v3, v[0:1], off
	s_waitcnt vmcnt(0)
	v_lshlrev_b32_e32 v4, 25, v3
	v_lshlrev_b16 v3, 8, v3
	s_delay_alu instid0(VALU_DEP_2) | instskip(NEXT) | instid1(VALU_DEP_2)
	v_lshrrev_b32_e32 v5, 4, v4
	v_and_or_b32 v6, 0x7f00, v3, 0.5
	v_bfe_i32 v3, v3, 0, 16
	s_delay_alu instid0(VALU_DEP_3) | instskip(NEXT) | instid1(VALU_DEP_1)
	v_or_b32_e32 v5, 0x70000000, v5
	v_dual_add_f32 v6, -0.5, v6 :: v_dual_mul_f32 v5, 0x7800000, v5
	v_cmp_gt_u32_e32 vcc_lo, 0x8000000, v4
	s_delay_alu instid0(VALU_DEP_2) | instskip(NEXT) | instid1(VALU_DEP_1)
	v_cndmask_b32_e32 v4, v5, v6, vcc_lo
	v_and_or_b32 v40, 0x80000000, v3, v4
.LBB44_1245:
	s_mov_b32 s6, 0
	s_mov_b32 s7, -1
.LBB44_1246:
	s_and_not1_b32 vcc_lo, exec_lo, s6
	s_mov_b32 s6, 0
	s_cbranch_vccnz .LBB44_1257
; %bb.1247:
	v_cmp_lt_i16_e32 vcc_lo, 14, v2
	s_cbranch_vccz .LBB44_1250
; %bb.1248:
	v_cmp_eq_u16_e32 vcc_lo, 15, v2
	s_cbranch_vccz .LBB44_1253
; %bb.1249:
	global_load_u16 v3, v[0:1], off
	s_mov_b32 s0, 0
	s_mov_b32 s7, -1
	s_waitcnt vmcnt(0)
	v_lshlrev_b32_e32 v40, 16, v3
	s_branch .LBB44_1255
.LBB44_1250:
	s_mov_b32 s6, -1
	s_branch .LBB44_1254
.LBB44_1251:
	s_or_saveexec_b32 s8, s8
	v_mov_b32_e32 v40, s7
	s_xor_b32 exec_lo, exec_lo, s8
	s_cbranch_execz .LBB44_1232
.LBB44_1252:
	v_cmp_ne_u16_e32 vcc_lo, 0, v3
	v_mov_b32_e32 v40, 0
	s_and_not1_b32 s6, s6, exec_lo
	s_and_b32 s7, vcc_lo, exec_lo
	s_delay_alu instid0(SALU_CYCLE_1)
	s_or_b32 s6, s6, s7
	s_or_b32 exec_lo, exec_lo, s8
	s_and_saveexec_b32 s7, s6
	s_cbranch_execnz .LBB44_1233
	s_branch .LBB44_1234
.LBB44_1253:
	s_mov_b32 s0, -1
.LBB44_1254:
                                        ; implicit-def: $vgpr40
.LBB44_1255:
	s_and_b32 vcc_lo, exec_lo, s6
	s_mov_b32 s6, 0
	s_cbranch_vccz .LBB44_1257
; %bb.1256:
	v_cmp_ne_u16_e32 vcc_lo, 11, v2
	s_and_not1_b32 s0, s0, exec_lo
	s_mov_b32 s6, -1
                                        ; implicit-def: $vgpr40
	s_and_b32 s8, vcc_lo, exec_lo
	s_delay_alu instid0(SALU_CYCLE_1)
	s_or_b32 s0, s0, s8
.LBB44_1257:
	s_mov_b32 s8, 0
.LBB44_1258:
	s_and_b32 s9, s7, exec_lo
	s_and_b32 s7, s8, exec_lo
	s_and_not1_b32 s8, s1, exec_lo
	s_and_b32 s10, s0, exec_lo
	s_and_b32 s0, s6, exec_lo
	s_or_b32 s8, s8, s10
.LBB44_1259:
	s_or_b32 exec_lo, exec_lo, s5
	s_delay_alu instid0(SALU_CYCLE_1)
	s_and_b32 s5, s7, exec_lo
	s_and_not1_b32 s1, s1, exec_lo
	s_and_b32 s7, s8, exec_lo
	s_and_b32 s6, s9, exec_lo
	;; [unrolled: 1-line block ×3, first 2 shown]
	s_or_b32 s1, s1, s7
.LBB44_1260:
	s_or_b32 exec_lo, exec_lo, s4
	s_delay_alu instid0(SALU_CYCLE_1)
	s_and_not1_b32 s4, s58, exec_lo
	s_and_b32 s2, s2, exec_lo
	s_and_not1_b32 s7, s59, exec_lo
	s_and_b32 s3, s3, exec_lo
	s_or_b32 s58, s4, s2
	s_and_not1_b32 s4, s57, exec_lo
	s_and_b32 s1, s1, exec_lo
	s_or_b32 s59, s7, s3
	s_and_b32 s3, s6, exec_lo
	s_and_b32 s2, s5, exec_lo
	;; [unrolled: 1-line block ×3, first 2 shown]
	s_or_b32 s57, s4, s1
.LBB44_1261:
	s_or_b32 exec_lo, exec_lo, s60
	s_delay_alu instid0(SALU_CYCLE_1)
	s_and_not1_b32 s1, s53, exec_lo
	s_and_b32 s4, s58, exec_lo
	s_and_not1_b32 s5, s54, exec_lo
	s_and_b32 s6, s59, exec_lo
	s_or_b32 s53, s1, s4
	s_and_b32 s1, s3, exec_lo
	s_and_not1_b32 s3, s55, exec_lo
	s_and_b32 s4, s57, exec_lo
	s_or_b32 s54, s5, s6
	s_and_b32 s2, s2, exec_lo
	s_and_b32 s57, s0, exec_lo
	s_or_b32 s55, s3, s4
.LBB44_1262:
	s_or_b32 exec_lo, exec_lo, s56
	s_mov_b32 s52, 0
	s_and_saveexec_b32 s0, s55
	s_cbranch_execnz .LBB44_1274
; %bb.1263:
	s_or_b32 exec_lo, exec_lo, s0
	s_and_saveexec_b32 s0, s57
	s_delay_alu instid0(SALU_CYCLE_1)
	s_xor_b32 s0, exec_lo, s0
	s_cbranch_execz .LBB44_1265
.LBB44_1264:
	global_load_u8 v3, v[0:1], off
	s_or_b32 s1, s1, exec_lo
	s_waitcnt vmcnt(0)
	v_cmp_ne_u16_e32 vcc_lo, 0, v3
	v_cndmask_b32_e64 v40, 0, 1.0, vcc_lo
.LBB44_1265:
	s_or_b32 exec_lo, exec_lo, s0
	s_and_saveexec_b32 s0, s2
	s_cbranch_execz .LBB44_1313
; %bb.1266:
	v_cmp_gt_i16_e32 vcc_lo, 5, v2
	s_cbranch_vccnz .LBB44_1271
; %bb.1267:
	v_cmp_gt_i16_e32 vcc_lo, 8, v2
	s_cbranch_vccnz .LBB44_1272
	;; [unrolled: 3-line block ×3, first 2 shown]
; %bb.1269:
	v_cmp_lt_i16_e32 vcc_lo, 9, v2
	s_cbranch_vccz .LBB44_1276
; %bb.1270:
	global_load_b64 v[3:4], v[0:1], off
	s_mov_b32 s2, 0
	s_waitcnt vmcnt(0)
	v_cvt_f32_f64_e32 v40, v[3:4]
	s_branch .LBB44_1277
.LBB44_1271:
                                        ; implicit-def: $vgpr40
	s_branch .LBB44_1294
.LBB44_1272:
                                        ; implicit-def: $vgpr40
	s_branch .LBB44_1283
.LBB44_1273:
	s_mov_b32 s2, -1
                                        ; implicit-def: $vgpr40
	s_branch .LBB44_1280
.LBB44_1274:
	s_cbranch_execnz .LBB44_1325
; %bb.1275:
	s_mov_b32 s52, exec_lo
	s_and_not1_b32 s57, s57, exec_lo
                                        ; implicit-def: $vgpr40
	s_or_b32 exec_lo, exec_lo, s0
	s_and_saveexec_b32 s0, s57
	s_delay_alu instid0(SALU_CYCLE_1)
	s_xor_b32 s0, exec_lo, s0
	s_cbranch_execnz .LBB44_1264
	s_branch .LBB44_1265
.LBB44_1276:
	s_mov_b32 s2, -1
                                        ; implicit-def: $vgpr40
.LBB44_1277:
	s_delay_alu instid0(SALU_CYCLE_1)
	s_and_not1_b32 vcc_lo, exec_lo, s2
	s_cbranch_vccnz .LBB44_1279
; %bb.1278:
	global_load_b32 v40, v[0:1], off
.LBB44_1279:
	s_mov_b32 s2, 0
.LBB44_1280:
	s_delay_alu instid0(SALU_CYCLE_1)
	s_and_not1_b32 vcc_lo, exec_lo, s2
	s_cbranch_vccnz .LBB44_1282
; %bb.1281:
	global_load_b32 v3, v[0:1], off
	s_waitcnt vmcnt(0)
	v_cvt_f32_f16_e32 v40, v3
.LBB44_1282:
	s_cbranch_execnz .LBB44_1293
.LBB44_1283:
	v_cmp_gt_i16_e32 vcc_lo, 6, v2
	s_cbranch_vccnz .LBB44_1286
; %bb.1284:
	v_cmp_lt_i16_e32 vcc_lo, 6, v2
	s_cbranch_vccz .LBB44_1287
; %bb.1285:
	global_load_b64 v[3:4], v[0:1], off
	s_mov_b32 s2, 0
	s_waitcnt vmcnt(0)
	v_cvt_f32_f64_e32 v40, v[3:4]
	s_branch .LBB44_1288
.LBB44_1286:
	s_mov_b32 s2, -1
                                        ; implicit-def: $vgpr40
	s_branch .LBB44_1291
.LBB44_1287:
	s_mov_b32 s2, -1
                                        ; implicit-def: $vgpr40
.LBB44_1288:
	s_delay_alu instid0(SALU_CYCLE_1)
	s_and_not1_b32 vcc_lo, exec_lo, s2
	s_cbranch_vccnz .LBB44_1290
; %bb.1289:
	global_load_b32 v40, v[0:1], off
.LBB44_1290:
	s_mov_b32 s2, 0
.LBB44_1291:
	s_delay_alu instid0(SALU_CYCLE_1)
	s_and_not1_b32 vcc_lo, exec_lo, s2
	s_cbranch_vccnz .LBB44_1293
; %bb.1292:
	global_load_u16 v3, v[0:1], off
	s_waitcnt vmcnt(0)
	v_cvt_f32_f16_e32 v40, v3
.LBB44_1293:
	s_cbranch_execnz .LBB44_1312
.LBB44_1294:
	v_cmp_gt_i16_e32 vcc_lo, 2, v2
	s_cbranch_vccnz .LBB44_1298
; %bb.1295:
	v_cmp_gt_i16_e32 vcc_lo, 3, v2
	s_cbranch_vccnz .LBB44_1299
; %bb.1296:
	v_cmp_lt_i16_e32 vcc_lo, 3, v2
	s_cbranch_vccz .LBB44_1300
; %bb.1297:
	global_load_b64 v[3:4], v[0:1], off
	s_mov_b32 s2, 0
	s_waitcnt vmcnt(0)
	v_xor_b32_e32 v5, v3, v4
	v_cls_i32_e32 v6, v4
	s_delay_alu instid0(VALU_DEP_2) | instskip(NEXT) | instid1(VALU_DEP_2)
	v_ashrrev_i32_e32 v5, 31, v5
	v_add_nc_u32_e32 v6, -1, v6
	s_delay_alu instid0(VALU_DEP_2) | instskip(NEXT) | instid1(VALU_DEP_1)
	v_add_nc_u32_e32 v5, 32, v5
	v_min_u32_e32 v5, v6, v5
	s_delay_alu instid0(VALU_DEP_1) | instskip(NEXT) | instid1(VALU_DEP_1)
	v_lshlrev_b64 v[3:4], v5, v[3:4]
	v_min_u32_e32 v3, 1, v3
	s_delay_alu instid0(VALU_DEP_1) | instskip(SKIP_1) | instid1(VALU_DEP_2)
	v_or_b32_e32 v3, v4, v3
	v_sub_nc_u32_e32 v4, 32, v5
	v_cvt_f32_i32_e32 v3, v3
	s_delay_alu instid0(VALU_DEP_1)
	v_ldexp_f32 v40, v3, v4
	s_branch .LBB44_1301
.LBB44_1298:
                                        ; implicit-def: $vgpr40
	s_branch .LBB44_1307
.LBB44_1299:
	s_mov_b32 s2, -1
                                        ; implicit-def: $vgpr40
	s_branch .LBB44_1304
.LBB44_1300:
	s_mov_b32 s2, -1
                                        ; implicit-def: $vgpr40
.LBB44_1301:
	s_delay_alu instid0(SALU_CYCLE_1)
	s_and_not1_b32 vcc_lo, exec_lo, s2
	s_cbranch_vccnz .LBB44_1303
; %bb.1302:
	global_load_b32 v3, v[0:1], off
	s_waitcnt vmcnt(0)
	v_cvt_f32_i32_e32 v40, v3
.LBB44_1303:
	s_mov_b32 s2, 0
.LBB44_1304:
	s_delay_alu instid0(SALU_CYCLE_1)
	s_and_not1_b32 vcc_lo, exec_lo, s2
	s_cbranch_vccnz .LBB44_1306
; %bb.1305:
	global_load_i16 v3, v[0:1], off
	s_waitcnt vmcnt(0)
	v_cvt_f32_i32_e32 v40, v3
.LBB44_1306:
	s_cbranch_execnz .LBB44_1312
.LBB44_1307:
	v_cmp_lt_i16_e32 vcc_lo, 0, v2
	s_mov_b32 s2, 0
	s_cbranch_vccz .LBB44_1309
; %bb.1308:
	global_load_i8 v2, v[0:1], off
	s_waitcnt vmcnt(0)
	v_cvt_f32_i32_e32 v40, v2
	s_branch .LBB44_1310
.LBB44_1309:
	s_mov_b32 s2, -1
                                        ; implicit-def: $vgpr40
.LBB44_1310:
	s_delay_alu instid0(SALU_CYCLE_1)
	s_and_not1_b32 vcc_lo, exec_lo, s2
	s_cbranch_vccnz .LBB44_1312
; %bb.1311:
	global_load_u8 v0, v[0:1], off
	s_waitcnt vmcnt(0)
	v_cvt_f32_ubyte0_e32 v40, v0
.LBB44_1312:
	s_or_b32 s1, s1, exec_lo
.LBB44_1313:
	s_or_b32 exec_lo, exec_lo, s0
	s_mov_b32 s2, 0
	s_mov_b32 s4, 0
	;; [unrolled: 1-line block ×3, first 2 shown]
                                        ; implicit-def: $vgpr0_vgpr1
                                        ; implicit-def: $vgpr42
	s_and_saveexec_b32 s0, s1
	s_cbranch_execz .LBB44_1393
; %bb.1314:
	v_mul_lo_u32 v0, v45, s42
	v_cmp_lt_i16_e64 s1, s46, 11
	s_delay_alu instid0(VALU_DEP_2) | instskip(SKIP_1) | instid1(VALU_DEP_2)
	v_ashrrev_i32_e32 v1, 31, v0
	v_add_co_u32 v0, vcc_lo, s44, v0
	v_add_co_ci_u32_e32 v1, vcc_lo, s45, v1, vcc_lo
	s_delay_alu instid0(VALU_DEP_4)
	s_and_b32 vcc_lo, exec_lo, s1
	s_cbranch_vccnz .LBB44_1321
; %bb.1315:
	v_cmp_gt_i16_e64 s1, s46, 25
	s_delay_alu instid0(VALU_DEP_1)
	s_and_b32 vcc_lo, exec_lo, s1
	s_cbranch_vccz .LBB44_1322
; %bb.1316:
	v_cmp_gt_i16_e64 s1, s46, 28
	s_delay_alu instid0(VALU_DEP_1)
	s_and_b32 vcc_lo, exec_lo, s1
	s_cbranch_vccz .LBB44_1323
	;; [unrolled: 5-line block ×4, first 2 shown]
; %bb.1319:
	v_cmp_eq_u16_e64 s1, s46, 46
	s_delay_alu instid0(VALU_DEP_1)
	s_and_b32 vcc_lo, exec_lo, s1
	s_cbranch_vccz .LBB44_1328
; %bb.1320:
	global_load_b32 v2, v[0:1], off
	s_mov_b32 s1, 0
	s_mov_b32 s3, -1
	s_waitcnt vmcnt(0)
	v_lshlrev_b32_e32 v42, 16, v2
	s_branch .LBB44_1330
.LBB44_1321:
	s_mov_b32 s4, -1
	s_mov_b32 s1, s54
                                        ; implicit-def: $vgpr42
	s_branch .LBB44_1392
.LBB44_1322:
	s_mov_b32 s1, s54
                                        ; implicit-def: $vgpr42
	s_cbranch_execnz .LBB44_1359
	s_branch .LBB44_1391
.LBB44_1323:
	s_mov_b32 s4, -1
	s_mov_b32 s1, s54
                                        ; implicit-def: $vgpr42
	s_branch .LBB44_1340
.LBB44_1324:
	s_mov_b32 s4, -1
	s_mov_b32 s1, s54
                                        ; implicit-def: $vgpr42
	s_branch .LBB44_1335
.LBB44_1325:
	s_trap 2
	s_sendmsg_rtn_b32 s0, sendmsg(MSG_RTN_GET_DOORBELL)
	s_mov_b32 ttmp2, m0
	s_waitcnt lgkmcnt(0)
	s_and_b32 s0, s0, 0x3ff
	s_delay_alu instid0(SALU_CYCLE_1) | instskip(NEXT) | instid1(SALU_CYCLE_1)
	s_bitset1_b32 s0, 10
	s_mov_b32 m0, s0
	s_sendmsg sendmsg(MSG_INTERRUPT)
	s_mov_b32 m0, ttmp2
.LBB44_1326:                            ; =>This Inner Loop Header: Depth=1
	s_sethalt 5
	s_branch .LBB44_1326
.LBB44_1327:
	s_mov_b32 s4, -1
	s_mov_b32 s1, s54
	s_branch .LBB44_1329
.LBB44_1328:
	s_mov_b32 s1, -1
.LBB44_1329:
                                        ; implicit-def: $vgpr42
.LBB44_1330:
	s_and_b32 vcc_lo, exec_lo, s4
	s_cbranch_vccz .LBB44_1334
; %bb.1331:
	v_cmp_eq_u16_e64 s1, s46, 44
	s_delay_alu instid0(VALU_DEP_1)
	s_and_b32 vcc_lo, exec_lo, s1
	s_cbranch_vccz .LBB44_1333
; %bb.1332:
	global_load_u8 v2, v[0:1], off
	s_mov_b32 s1, 0
	s_mov_b32 s3, -1
	s_waitcnt vmcnt(0)
	v_lshlrev_b32_e32 v3, 23, v2
	v_cmp_ne_u32_e32 vcc_lo, 0xff, v2
	s_delay_alu instid0(VALU_DEP_2) | instskip(SKIP_1) | instid1(VALU_DEP_2)
	v_cndmask_b32_e32 v3, 0x7f800001, v3, vcc_lo
	v_cmp_ne_u32_e32 vcc_lo, 0, v2
	v_cndmask_b32_e32 v42, 0x400000, v3, vcc_lo
	s_branch .LBB44_1334
.LBB44_1333:
	s_mov_b32 s1, -1
                                        ; implicit-def: $vgpr42
.LBB44_1334:
	s_mov_b32 s4, 0
.LBB44_1335:
	s_delay_alu instid0(SALU_CYCLE_1)
	s_and_b32 vcc_lo, exec_lo, s4
	s_cbranch_vccz .LBB44_1339
; %bb.1336:
	v_cmp_eq_u16_e64 s1, s46, 29
	s_delay_alu instid0(VALU_DEP_1)
	s_and_b32 vcc_lo, exec_lo, s1
	s_cbranch_vccz .LBB44_1338
; %bb.1337:
	global_load_b64 v[2:3], v[0:1], off
	s_mov_b32 s1, 0
	s_mov_b32 s3, -1
	s_mov_b32 s4, 0
	s_waitcnt vmcnt(0)
	v_clz_i32_u32_e32 v4, v3
	s_delay_alu instid0(VALU_DEP_1) | instskip(NEXT) | instid1(VALU_DEP_1)
	v_min_u32_e32 v4, 32, v4
	v_lshlrev_b64 v[2:3], v4, v[2:3]
	s_delay_alu instid0(VALU_DEP_1) | instskip(NEXT) | instid1(VALU_DEP_1)
	v_min_u32_e32 v2, 1, v2
	v_or_b32_e32 v2, v3, v2
	v_sub_nc_u32_e32 v3, 32, v4
	s_delay_alu instid0(VALU_DEP_2) | instskip(NEXT) | instid1(VALU_DEP_1)
	v_cvt_f32_u32_e32 v2, v2
	v_ldexp_f32 v42, v2, v3
	s_branch .LBB44_1340
.LBB44_1338:
	s_mov_b32 s1, -1
                                        ; implicit-def: $vgpr42
.LBB44_1339:
	s_mov_b32 s4, 0
.LBB44_1340:
	s_delay_alu instid0(SALU_CYCLE_1)
	s_and_b32 vcc_lo, exec_lo, s4
	s_cbranch_vccz .LBB44_1358
; %bb.1341:
	v_cmp_lt_i16_e64 s3, s46, 27
	s_delay_alu instid0(VALU_DEP_1)
	s_and_b32 vcc_lo, exec_lo, s3
	s_cbranch_vccnz .LBB44_1344
; %bb.1342:
	v_cmp_gt_i16_e64 s3, s46, 27
	s_delay_alu instid0(VALU_DEP_1)
	s_and_b32 vcc_lo, exec_lo, s3
	s_cbranch_vccz .LBB44_1345
; %bb.1343:
	global_load_b32 v2, v[0:1], off
	s_mov_b32 s3, 0
	s_waitcnt vmcnt(0)
	v_cvt_f32_u32_e32 v42, v2
	s_branch .LBB44_1346
.LBB44_1344:
	s_mov_b32 s3, -1
                                        ; implicit-def: $vgpr42
	s_branch .LBB44_1349
.LBB44_1345:
	s_mov_b32 s3, -1
                                        ; implicit-def: $vgpr42
.LBB44_1346:
	s_delay_alu instid0(SALU_CYCLE_1)
	s_and_not1_b32 vcc_lo, exec_lo, s3
	s_cbranch_vccnz .LBB44_1348
; %bb.1347:
	global_load_u16 v2, v[0:1], off
	s_waitcnt vmcnt(0)
	v_cvt_f32_u32_e32 v42, v2
.LBB44_1348:
	s_mov_b32 s3, 0
.LBB44_1349:
	s_delay_alu instid0(SALU_CYCLE_1)
	s_and_not1_b32 vcc_lo, exec_lo, s3
	s_cbranch_vccnz .LBB44_1357
; %bb.1350:
	global_load_u8 v2, v[0:1], off
	s_mov_b32 s3, 0
	s_mov_b32 s5, exec_lo
                                        ; implicit-def: $sgpr4
	s_waitcnt vmcnt(0)
	v_cmpx_lt_i16_e32 0x7f, v2
	s_xor_b32 s5, exec_lo, s5
	s_cbranch_execz .LBB44_1370
; %bb.1351:
	s_mov_b32 s3, -1
	s_mov_b32 s6, exec_lo
                                        ; implicit-def: $sgpr4
	v_cmpx_eq_u16_e32 0x80, v2
; %bb.1352:
	s_mov_b32 s4, 0x7f800001
	s_xor_b32 s3, exec_lo, -1
; %bb.1353:
	s_or_b32 exec_lo, exec_lo, s6
	s_delay_alu instid0(SALU_CYCLE_1)
	s_and_b32 s3, s3, exec_lo
	s_or_saveexec_b32 s5, s5
	v_mov_b32_e32 v42, s4
	s_xor_b32 exec_lo, exec_lo, s5
	s_cbranch_execnz .LBB44_1371
.LBB44_1354:
	s_or_b32 exec_lo, exec_lo, s5
	s_and_saveexec_b32 s4, s3
	s_cbranch_execz .LBB44_1356
.LBB44_1355:
	v_and_b32_e32 v3, 0xffff, v2
	v_lshlrev_b32_e32 v2, 24, v2
	s_delay_alu instid0(VALU_DEP_2) | instskip(NEXT) | instid1(VALU_DEP_2)
	v_and_b32_e32 v4, 7, v3
	v_and_b32_e32 v2, 0x80000000, v2
	s_delay_alu instid0(VALU_DEP_2) | instskip(NEXT) | instid1(VALU_DEP_1)
	v_clz_i32_u32_e32 v5, v4
	v_min_u32_e32 v5, 32, v5
	s_delay_alu instid0(VALU_DEP_1) | instskip(SKIP_1) | instid1(VALU_DEP_2)
	v_subrev_nc_u32_e32 v6, 28, v5
	v_sub_nc_u32_e32 v5, 29, v5
	v_lshlrev_b32_e32 v6, v6, v3
	v_bfe_u32 v3, v3, 3, 4
	s_delay_alu instid0(VALU_DEP_2) | instskip(NEXT) | instid1(VALU_DEP_2)
	v_and_b32_e32 v6, 7, v6
	v_cmp_eq_u32_e32 vcc_lo, 0, v3
	s_delay_alu instid0(VALU_DEP_2) | instskip(NEXT) | instid1(VALU_DEP_1)
	v_dual_cndmask_b32 v3, v3, v5 :: v_dual_cndmask_b32 v4, v4, v6
	v_lshl_add_u32 v3, v3, 23, 0x3b800000
	s_delay_alu instid0(VALU_DEP_2) | instskip(NEXT) | instid1(VALU_DEP_1)
	v_lshlrev_b32_e32 v4, 20, v4
	v_or3_b32 v42, v2, v3, v4
.LBB44_1356:
	s_or_b32 exec_lo, exec_lo, s4
.LBB44_1357:
	s_mov_b32 s3, -1
.LBB44_1358:
	s_branch .LBB44_1391
.LBB44_1359:
	v_cmp_gt_i16_e64 s2, s46, 22
	s_delay_alu instid0(VALU_DEP_1)
	s_and_b32 vcc_lo, exec_lo, s2
	s_cbranch_vccz .LBB44_1369
; %bb.1360:
	v_cmp_lt_i16_e64 s2, s46, 24
	s_delay_alu instid0(VALU_DEP_1)
	s_and_b32 vcc_lo, exec_lo, s2
	s_cbranch_vccnz .LBB44_1372
; %bb.1361:
	v_cmp_gt_i16_e64 s2, s46, 24
	s_delay_alu instid0(VALU_DEP_1)
	s_and_b32 vcc_lo, exec_lo, s2
	s_cbranch_vccz .LBB44_1373
; %bb.1362:
	global_load_u8 v2, v[0:1], off
	s_mov_b32 s2, 0
	s_mov_b32 s4, exec_lo
                                        ; implicit-def: $sgpr3
	s_waitcnt vmcnt(0)
	v_cmpx_lt_i16_e32 0x7f, v2
	s_xor_b32 s4, exec_lo, s4
	s_cbranch_execz .LBB44_1385
; %bb.1363:
	s_mov_b32 s2, -1
	s_mov_b32 s5, exec_lo
                                        ; implicit-def: $sgpr3
	v_cmpx_eq_u16_e32 0x80, v2
; %bb.1364:
	s_mov_b32 s3, 0x7f800001
	s_xor_b32 s2, exec_lo, -1
; %bb.1365:
	s_or_b32 exec_lo, exec_lo, s5
	s_delay_alu instid0(SALU_CYCLE_1)
	s_and_b32 s2, s2, exec_lo
	s_or_saveexec_b32 s4, s4
	v_mov_b32_e32 v42, s3
	s_xor_b32 exec_lo, exec_lo, s4
	s_cbranch_execnz .LBB44_1386
.LBB44_1366:
	s_or_b32 exec_lo, exec_lo, s4
	s_and_saveexec_b32 s3, s2
	s_cbranch_execz .LBB44_1368
.LBB44_1367:
	v_and_b32_e32 v3, 0xffff, v2
	v_lshlrev_b32_e32 v2, 24, v2
	s_delay_alu instid0(VALU_DEP_2) | instskip(NEXT) | instid1(VALU_DEP_2)
	v_and_b32_e32 v4, 3, v3
	v_and_b32_e32 v2, 0x80000000, v2
	s_delay_alu instid0(VALU_DEP_2) | instskip(NEXT) | instid1(VALU_DEP_1)
	v_clz_i32_u32_e32 v5, v4
	v_min_u32_e32 v5, 32, v5
	s_delay_alu instid0(VALU_DEP_1) | instskip(SKIP_1) | instid1(VALU_DEP_2)
	v_subrev_nc_u32_e32 v6, 29, v5
	v_sub_nc_u32_e32 v5, 30, v5
	v_lshlrev_b32_e32 v6, v6, v3
	v_bfe_u32 v3, v3, 2, 5
	s_delay_alu instid0(VALU_DEP_2) | instskip(NEXT) | instid1(VALU_DEP_2)
	v_and_b32_e32 v6, 3, v6
	v_cmp_eq_u32_e32 vcc_lo, 0, v3
	s_delay_alu instid0(VALU_DEP_2) | instskip(NEXT) | instid1(VALU_DEP_1)
	v_dual_cndmask_b32 v3, v3, v5 :: v_dual_cndmask_b32 v4, v4, v6
	v_lshl_add_u32 v3, v3, 23, 0x37800000
	s_delay_alu instid0(VALU_DEP_2) | instskip(NEXT) | instid1(VALU_DEP_1)
	v_lshlrev_b32_e32 v4, 21, v4
	v_or3_b32 v42, v2, v3, v4
.LBB44_1368:
	s_or_b32 exec_lo, exec_lo, s3
	s_mov_b32 s2, 0
	s_branch .LBB44_1374
.LBB44_1369:
	s_mov_b32 s2, -1
                                        ; implicit-def: $vgpr42
	s_branch .LBB44_1380
.LBB44_1370:
	s_or_saveexec_b32 s5, s5
	v_mov_b32_e32 v42, s4
	s_xor_b32 exec_lo, exec_lo, s5
	s_cbranch_execz .LBB44_1354
.LBB44_1371:
	v_cmp_ne_u16_e32 vcc_lo, 0, v2
	v_mov_b32_e32 v42, 0
	s_and_not1_b32 s3, s3, exec_lo
	s_and_b32 s4, vcc_lo, exec_lo
	s_delay_alu instid0(SALU_CYCLE_1)
	s_or_b32 s3, s3, s4
	s_or_b32 exec_lo, exec_lo, s5
	s_and_saveexec_b32 s4, s3
	s_cbranch_execnz .LBB44_1355
	s_branch .LBB44_1356
.LBB44_1372:
	s_mov_b32 s2, -1
                                        ; implicit-def: $vgpr42
	s_branch .LBB44_1377
.LBB44_1373:
	s_mov_b32 s2, -1
                                        ; implicit-def: $vgpr42
.LBB44_1374:
	s_delay_alu instid0(SALU_CYCLE_1)
	s_and_b32 vcc_lo, exec_lo, s2
	s_cbranch_vccz .LBB44_1376
; %bb.1375:
	global_load_u8 v2, v[0:1], off
	s_waitcnt vmcnt(0)
	v_lshlrev_b32_e32 v2, 24, v2
	s_delay_alu instid0(VALU_DEP_1) | instskip(NEXT) | instid1(VALU_DEP_1)
	v_and_b32_e32 v3, 0x7f000000, v2
	v_clz_i32_u32_e32 v4, v3
	v_add_nc_u32_e32 v6, 0x1000000, v3
	v_cmp_ne_u32_e32 vcc_lo, 0, v3
	s_delay_alu instid0(VALU_DEP_3) | instskip(NEXT) | instid1(VALU_DEP_1)
	v_min_u32_e32 v4, 32, v4
	v_sub_nc_u32_e64 v4, v4, 4 clamp
	s_delay_alu instid0(VALU_DEP_1) | instskip(SKIP_1) | instid1(VALU_DEP_2)
	v_lshlrev_b32_e32 v5, v4, v3
	v_lshlrev_b32_e32 v4, 23, v4
	v_lshrrev_b32_e32 v5, 4, v5
	s_delay_alu instid0(VALU_DEP_1) | instskip(SKIP_1) | instid1(VALU_DEP_2)
	v_sub_nc_u32_e32 v4, v5, v4
	v_ashrrev_i32_e32 v5, 8, v6
	v_add_nc_u32_e32 v4, 0x3c000000, v4
	s_delay_alu instid0(VALU_DEP_1) | instskip(NEXT) | instid1(VALU_DEP_1)
	v_and_or_b32 v4, 0x7f800000, v5, v4
	v_cndmask_b32_e32 v3, 0, v4, vcc_lo
	s_delay_alu instid0(VALU_DEP_1)
	v_and_or_b32 v42, 0x80000000, v2, v3
.LBB44_1376:
	s_mov_b32 s2, 0
.LBB44_1377:
	s_delay_alu instid0(SALU_CYCLE_1)
	s_and_not1_b32 vcc_lo, exec_lo, s2
	s_cbranch_vccnz .LBB44_1379
; %bb.1378:
	global_load_u8 v2, v[0:1], off
	s_waitcnt vmcnt(0)
	v_lshlrev_b32_e32 v3, 25, v2
	v_lshlrev_b16 v2, 8, v2
	s_delay_alu instid0(VALU_DEP_2) | instskip(NEXT) | instid1(VALU_DEP_2)
	v_lshrrev_b32_e32 v4, 4, v3
	v_and_or_b32 v5, 0x7f00, v2, 0.5
	v_bfe_i32 v2, v2, 0, 16
	s_delay_alu instid0(VALU_DEP_3) | instskip(NEXT) | instid1(VALU_DEP_1)
	v_or_b32_e32 v4, 0x70000000, v4
	v_dual_add_f32 v5, -0.5, v5 :: v_dual_mul_f32 v4, 0x7800000, v4
	v_cmp_gt_u32_e32 vcc_lo, 0x8000000, v3
	s_delay_alu instid0(VALU_DEP_2) | instskip(NEXT) | instid1(VALU_DEP_1)
	v_cndmask_b32_e32 v3, v4, v5, vcc_lo
	v_and_or_b32 v42, 0x80000000, v2, v3
.LBB44_1379:
	s_mov_b32 s2, 0
	s_mov_b32 s3, -1
.LBB44_1380:
	s_and_not1_b32 vcc_lo, exec_lo, s2
	s_mov_b32 s2, 0
	s_cbranch_vccnz .LBB44_1391
; %bb.1381:
	v_cmp_gt_i16_e64 s2, s46, 14
	s_delay_alu instid0(VALU_DEP_1)
	s_and_b32 vcc_lo, exec_lo, s2
	s_cbranch_vccz .LBB44_1384
; %bb.1382:
	v_cmp_eq_u16_e64 s1, s46, 15
	s_delay_alu instid0(VALU_DEP_1)
	s_and_b32 vcc_lo, exec_lo, s1
	s_cbranch_vccz .LBB44_1387
; %bb.1383:
	global_load_u16 v2, v[0:1], off
	s_mov_b32 s1, 0
	s_mov_b32 s3, -1
	s_waitcnt vmcnt(0)
	v_lshlrev_b32_e32 v42, 16, v2
	s_branch .LBB44_1388
.LBB44_1384:
	s_mov_b32 s2, -1
                                        ; implicit-def: $vgpr42
	s_branch .LBB44_1389
.LBB44_1385:
	s_or_saveexec_b32 s4, s4
	v_mov_b32_e32 v42, s3
	s_xor_b32 exec_lo, exec_lo, s4
	s_cbranch_execz .LBB44_1366
.LBB44_1386:
	v_cmp_ne_u16_e32 vcc_lo, 0, v2
	v_mov_b32_e32 v42, 0
	s_and_not1_b32 s2, s2, exec_lo
	s_and_b32 s3, vcc_lo, exec_lo
	s_delay_alu instid0(SALU_CYCLE_1)
	s_or_b32 s2, s2, s3
	s_or_b32 exec_lo, exec_lo, s4
	s_and_saveexec_b32 s3, s2
	s_cbranch_execnz .LBB44_1367
	s_branch .LBB44_1368
.LBB44_1387:
	s_mov_b32 s1, -1
                                        ; implicit-def: $vgpr42
.LBB44_1388:
	s_mov_b32 s2, 0
.LBB44_1389:
	s_delay_alu instid0(SALU_CYCLE_1)
	s_and_b32 vcc_lo, exec_lo, s2
	s_mov_b32 s2, 0
	s_cbranch_vccz .LBB44_1391
; %bb.1390:
	v_cmp_ne_u16_e64 s2, s46, 11
	s_and_not1_b32 s1, s1, exec_lo
                                        ; implicit-def: $vgpr42
	s_delay_alu instid0(VALU_DEP_1)
	s_and_b32 s4, s2, exec_lo
	s_mov_b32 s2, -1
	s_or_b32 s1, s1, s4
.LBB44_1391:
	s_mov_b32 s4, 0
.LBB44_1392:
	s_and_not1_b32 s5, s54, exec_lo
	s_and_b32 s1, s1, exec_lo
	s_and_b32 s3, s3, exec_lo
	;; [unrolled: 1-line block ×4, first 2 shown]
	s_or_b32 s54, s5, s1
.LBB44_1393:
	s_or_b32 exec_lo, exec_lo, s0
	s_and_saveexec_b32 s0, s54
	s_cbranch_execnz .LBB44_1405
; %bb.1394:
	s_or_b32 exec_lo, exec_lo, s0
	s_and_saveexec_b32 s0, s2
	s_delay_alu instid0(SALU_CYCLE_1)
	s_xor_b32 s0, exec_lo, s0
	s_cbranch_execz .LBB44_1396
.LBB44_1395:
	global_load_u8 v2, v[0:1], off
	s_or_b32 s3, s3, exec_lo
	s_waitcnt vmcnt(0)
	v_cmp_ne_u16_e32 vcc_lo, 0, v2
	v_cndmask_b32_e64 v42, 0, 1.0, vcc_lo
.LBB44_1396:
	s_or_b32 exec_lo, exec_lo, s0
	s_and_saveexec_b32 s0, s4
	s_cbranch_execz .LBB44_1444
; %bb.1397:
	v_cmp_lt_i16_e64 s1, s46, 5
	s_delay_alu instid0(VALU_DEP_1)
	s_and_b32 vcc_lo, exec_lo, s1
	s_cbranch_vccnz .LBB44_1402
; %bb.1398:
	v_cmp_lt_i16_e64 s1, s46, 8
	s_delay_alu instid0(VALU_DEP_1)
	s_and_b32 vcc_lo, exec_lo, s1
	s_cbranch_vccnz .LBB44_1403
	;; [unrolled: 5-line block ×3, first 2 shown]
; %bb.1400:
	v_cmp_gt_i16_e64 s1, s46, 9
	s_delay_alu instid0(VALU_DEP_1)
	s_and_b32 vcc_lo, exec_lo, s1
	s_cbranch_vccz .LBB44_1407
; %bb.1401:
	global_load_b64 v[2:3], v[0:1], off
	s_mov_b32 s1, 0
	s_waitcnt vmcnt(0)
	v_cvt_f32_f64_e32 v42, v[2:3]
	s_branch .LBB44_1408
.LBB44_1402:
                                        ; implicit-def: $vgpr42
	s_branch .LBB44_1425
.LBB44_1403:
                                        ; implicit-def: $vgpr42
	s_branch .LBB44_1414
.LBB44_1404:
	s_mov_b32 s1, -1
                                        ; implicit-def: $vgpr42
	s_branch .LBB44_1411
.LBB44_1405:
	s_cbranch_execnz .LBB44_1457
; %bb.1406:
	s_or_b32 s52, s52, exec_lo
	s_and_not1_b32 s2, s2, exec_lo
                                        ; implicit-def: $vgpr42
	s_or_b32 exec_lo, exec_lo, s0
	s_and_saveexec_b32 s0, s2
	s_delay_alu instid0(SALU_CYCLE_1)
	s_xor_b32 s0, exec_lo, s0
	s_cbranch_execnz .LBB44_1395
	s_branch .LBB44_1396
.LBB44_1407:
	s_mov_b32 s1, -1
                                        ; implicit-def: $vgpr42
.LBB44_1408:
	s_delay_alu instid0(SALU_CYCLE_1)
	s_and_not1_b32 vcc_lo, exec_lo, s1
	s_cbranch_vccnz .LBB44_1410
; %bb.1409:
	global_load_b32 v42, v[0:1], off
.LBB44_1410:
	s_mov_b32 s1, 0
.LBB44_1411:
	s_delay_alu instid0(SALU_CYCLE_1)
	s_and_not1_b32 vcc_lo, exec_lo, s1
	s_cbranch_vccnz .LBB44_1413
; %bb.1412:
	global_load_b32 v2, v[0:1], off
	s_waitcnt vmcnt(0)
	v_cvt_f32_f16_e32 v42, v2
.LBB44_1413:
	s_cbranch_execnz .LBB44_1424
.LBB44_1414:
	v_cmp_lt_i16_e64 s1, s46, 6
	s_delay_alu instid0(VALU_DEP_1)
	s_and_b32 vcc_lo, exec_lo, s1
	s_cbranch_vccnz .LBB44_1417
; %bb.1415:
	v_cmp_gt_i16_e64 s1, s46, 6
	s_delay_alu instid0(VALU_DEP_1)
	s_and_b32 vcc_lo, exec_lo, s1
	s_cbranch_vccz .LBB44_1418
; %bb.1416:
	global_load_b64 v[2:3], v[0:1], off
	s_mov_b32 s1, 0
	s_waitcnt vmcnt(0)
	v_cvt_f32_f64_e32 v42, v[2:3]
	s_branch .LBB44_1419
.LBB44_1417:
	s_mov_b32 s1, -1
                                        ; implicit-def: $vgpr42
	s_branch .LBB44_1422
.LBB44_1418:
	s_mov_b32 s1, -1
                                        ; implicit-def: $vgpr42
.LBB44_1419:
	s_delay_alu instid0(SALU_CYCLE_1)
	s_and_not1_b32 vcc_lo, exec_lo, s1
	s_cbranch_vccnz .LBB44_1421
; %bb.1420:
	global_load_b32 v42, v[0:1], off
.LBB44_1421:
	s_mov_b32 s1, 0
.LBB44_1422:
	s_delay_alu instid0(SALU_CYCLE_1)
	s_and_not1_b32 vcc_lo, exec_lo, s1
	s_cbranch_vccnz .LBB44_1424
; %bb.1423:
	global_load_u16 v2, v[0:1], off
	s_waitcnt vmcnt(0)
	v_cvt_f32_f16_e32 v42, v2
.LBB44_1424:
	s_cbranch_execnz .LBB44_1443
.LBB44_1425:
	v_cmp_lt_i16_e64 s1, s46, 2
	s_delay_alu instid0(VALU_DEP_1)
	s_and_b32 vcc_lo, exec_lo, s1
	s_cbranch_vccnz .LBB44_1429
; %bb.1426:
	v_cmp_lt_i16_e64 s1, s46, 3
	s_delay_alu instid0(VALU_DEP_1)
	s_and_b32 vcc_lo, exec_lo, s1
	s_cbranch_vccnz .LBB44_1430
; %bb.1427:
	v_cmp_gt_i16_e64 s1, s46, 3
	s_delay_alu instid0(VALU_DEP_1)
	s_and_b32 vcc_lo, exec_lo, s1
	s_cbranch_vccz .LBB44_1431
; %bb.1428:
	global_load_b64 v[2:3], v[0:1], off
	s_mov_b32 s1, 0
	s_waitcnt vmcnt(0)
	v_xor_b32_e32 v4, v2, v3
	v_cls_i32_e32 v5, v3
	s_delay_alu instid0(VALU_DEP_2) | instskip(NEXT) | instid1(VALU_DEP_2)
	v_ashrrev_i32_e32 v4, 31, v4
	v_add_nc_u32_e32 v5, -1, v5
	s_delay_alu instid0(VALU_DEP_2) | instskip(NEXT) | instid1(VALU_DEP_1)
	v_add_nc_u32_e32 v4, 32, v4
	v_min_u32_e32 v4, v5, v4
	s_delay_alu instid0(VALU_DEP_1) | instskip(NEXT) | instid1(VALU_DEP_1)
	v_lshlrev_b64 v[2:3], v4, v[2:3]
	v_min_u32_e32 v2, 1, v2
	s_delay_alu instid0(VALU_DEP_1) | instskip(SKIP_1) | instid1(VALU_DEP_2)
	v_or_b32_e32 v2, v3, v2
	v_sub_nc_u32_e32 v3, 32, v4
	v_cvt_f32_i32_e32 v2, v2
	s_delay_alu instid0(VALU_DEP_1)
	v_ldexp_f32 v42, v2, v3
	s_branch .LBB44_1432
.LBB44_1429:
                                        ; implicit-def: $vgpr42
	s_branch .LBB44_1438
.LBB44_1430:
	s_mov_b32 s1, -1
                                        ; implicit-def: $vgpr42
	s_branch .LBB44_1435
.LBB44_1431:
	s_mov_b32 s1, -1
                                        ; implicit-def: $vgpr42
.LBB44_1432:
	s_delay_alu instid0(SALU_CYCLE_1)
	s_and_not1_b32 vcc_lo, exec_lo, s1
	s_cbranch_vccnz .LBB44_1434
; %bb.1433:
	global_load_b32 v2, v[0:1], off
	s_waitcnt vmcnt(0)
	v_cvt_f32_i32_e32 v42, v2
.LBB44_1434:
	s_mov_b32 s1, 0
.LBB44_1435:
	s_delay_alu instid0(SALU_CYCLE_1)
	s_and_not1_b32 vcc_lo, exec_lo, s1
	s_cbranch_vccnz .LBB44_1437
; %bb.1436:
	global_load_i16 v2, v[0:1], off
	s_waitcnt vmcnt(0)
	v_cvt_f32_i32_e32 v42, v2
.LBB44_1437:
	s_cbranch_execnz .LBB44_1443
.LBB44_1438:
	v_cmp_gt_i16_e64 s1, s46, 0
	s_delay_alu instid0(VALU_DEP_1)
	s_and_b32 vcc_lo, exec_lo, s1
	s_mov_b32 s1, 0
	s_cbranch_vccz .LBB44_1440
; %bb.1439:
	global_load_i8 v2, v[0:1], off
	s_waitcnt vmcnt(0)
	v_cvt_f32_i32_e32 v42, v2
	s_branch .LBB44_1441
.LBB44_1440:
	s_mov_b32 s1, -1
                                        ; implicit-def: $vgpr42
.LBB44_1441:
	s_delay_alu instid0(SALU_CYCLE_1)
	s_and_not1_b32 vcc_lo, exec_lo, s1
	s_cbranch_vccnz .LBB44_1443
; %bb.1442:
	global_load_u8 v0, v[0:1], off
	s_waitcnt vmcnt(0)
	v_cvt_f32_ubyte0_e32 v42, v0
.LBB44_1443:
	s_or_b32 s3, s3, exec_lo
.LBB44_1444:
	s_or_b32 exec_lo, exec_lo, s0
	s_mov_b32 s0, 0
	s_mov_b32 s1, 0
                                        ; implicit-def: $vgpr4
                                        ; implicit-def: $vgpr2_vgpr3
                                        ; implicit-def: $vgpr0
	s_and_saveexec_b32 s54, s3
	s_cbranch_execz .LBB44_1528
; %bb.1445:
	s_and_not1_b32 vcc_lo, exec_lo, s51
	s_cbranch_vccnz .LBB44_1447
; %bb.1446:
	s_waitcnt vmcnt(0)
	s_delay_alu instid0(VALU_DEP_1) | instskip(SKIP_3) | instid1(SALU_CYCLE_1)
	v_dual_mov_b32 v0, v40 :: v_dual_mov_b32 v1, v42
	s_getpc_b64 s[0:1]
	s_add_u32 s0, s0, _ZN12_GLOBAL__N_111calc_igammaIfEET_S1_S1_@rel32@lo+4
	s_addc_u32 s1, s1, _ZN12_GLOBAL__N_111calc_igammaIfEET_S1_S1_@rel32@hi+12
	s_swappc_b64 s[30:31], s[0:1]
	s_cbranch_execz .LBB44_1448
	s_branch .LBB44_1449
.LBB44_1447:
                                        ; implicit-def: $vgpr0
.LBB44_1448:
	s_waitcnt vmcnt(0)
	s_delay_alu instid0(VALU_DEP_1) | instskip(SKIP_3) | instid1(SALU_CYCLE_1)
	v_dual_mov_b32 v0, v40 :: v_dual_mov_b32 v1, v42
	s_getpc_b64 s[0:1]
	s_add_u32 s0, s0, _ZN12_GLOBAL__N_112calc_igammacIfEET_S1_S1_@rel32@lo+4
	s_addc_u32 s1, s1, _ZN12_GLOBAL__N_112calc_igammacIfEET_S1_S1_@rel32@hi+12
	s_swappc_b64 s[30:31], s[0:1]
.LBB44_1449:
	v_mul_lo_u32 v1, v45, s40
	v_and_b32_e64 v4, 0xff, s43
	s_delay_alu instid0(VALU_DEP_1) | instskip(NEXT) | instid1(VALU_DEP_3)
	v_cmp_gt_i16_e32 vcc_lo, 11, v4
	v_ashrrev_i32_e32 v3, 31, v1
	v_add_co_u32 v2, s0, s36, v1
	s_delay_alu instid0(VALU_DEP_1)
	v_add_co_ci_u32_e64 v3, s0, s37, v3, s0
	s_cbranch_vccnz .LBB44_1456
; %bb.1450:
	v_cmp_lt_i16_e32 vcc_lo, 25, v4
	s_mov_b32 s1, -1
	s_mov_b32 s0, s53
	s_cbranch_vccz .LBB44_1486
; %bb.1451:
	v_cmp_lt_i16_e32 vcc_lo, 28, v4
	s_mov_b32 s0, s53
	s_cbranch_vccz .LBB44_1470
; %bb.1452:
	v_cmp_lt_i16_e32 vcc_lo, 43, v4
	;; [unrolled: 4-line block ×3, first 2 shown]
	s_mov_b32 s0, s53
	s_cbranch_vccz .LBB44_1460
; %bb.1454:
	v_cmp_eq_u16_e32 vcc_lo, 46, v4
	s_mov_b32 s0, -1
	s_cbranch_vccz .LBB44_1459
; %bb.1455:
	v_bfe_u32 v1, v0, 16, 1
	v_cmp_o_f32_e32 vcc_lo, v0, v0
	s_mov_b32 s0, 0
	s_mov_b32 s1, 0
	s_delay_alu instid0(VALU_DEP_2) | instskip(NEXT) | instid1(VALU_DEP_1)
	v_add3_u32 v1, v0, v1, 0x7fff
	v_lshrrev_b32_e32 v1, 16, v1
	s_delay_alu instid0(VALU_DEP_1)
	v_cndmask_b32_e32 v1, 0x7fc0, v1, vcc_lo
	global_store_b32 v[2:3], v1, off
	s_branch .LBB44_1460
.LBB44_1456:
	s_mov_b32 s2, 0
	s_mov_b32 s1, -1
	s_mov_b32 s0, s53
	s_branch .LBB44_1527
.LBB44_1457:
	s_trap 2
	s_sendmsg_rtn_b32 s0, sendmsg(MSG_RTN_GET_DOORBELL)
	s_mov_b32 ttmp2, m0
	s_waitcnt lgkmcnt(0)
	s_and_b32 s0, s0, 0x3ff
	s_delay_alu instid0(SALU_CYCLE_1) | instskip(NEXT) | instid1(SALU_CYCLE_1)
	s_bitset1_b32 s0, 10
	s_mov_b32 m0, s0
	s_sendmsg sendmsg(MSG_INTERRUPT)
	s_mov_b32 m0, ttmp2
.LBB44_1458:                            ; =>This Inner Loop Header: Depth=1
	s_sethalt 5
	s_branch .LBB44_1458
.LBB44_1459:
	s_mov_b32 s1, 0
.LBB44_1460:
	s_delay_alu instid0(SALU_CYCLE_1)
	s_and_b32 vcc_lo, exec_lo, s1
	s_cbranch_vccz .LBB44_1465
; %bb.1461:
	v_cmp_eq_u16_e32 vcc_lo, 44, v4
	s_mov_b32 s0, -1
	s_cbranch_vccz .LBB44_1465
; %bb.1462:
	v_bfe_u32 v5, v0, 23, 8
	v_mov_b32_e32 v1, 0xff
	s_mov_b32 s1, exec_lo
	s_delay_alu instid0(VALU_DEP_2)
	v_cmpx_ne_u32_e32 0xff, v5
; %bb.1463:
	v_and_b32_e32 v1, 0x400000, v0
	v_and_or_b32 v5, 0x3fffff, v0, v5
	s_delay_alu instid0(VALU_DEP_2) | instskip(NEXT) | instid1(VALU_DEP_2)
	v_cmp_ne_u32_e32 vcc_lo, 0, v1
	v_cmp_ne_u32_e64 s0, 0, v5
	v_lshrrev_b32_e32 v1, 23, v0
	s_delay_alu instid0(VALU_DEP_2) | instskip(NEXT) | instid1(SALU_CYCLE_1)
	s_and_b32 s0, vcc_lo, s0
	v_cndmask_b32_e64 v5, 0, 1, s0
	s_delay_alu instid0(VALU_DEP_1)
	v_add_nc_u32_e32 v1, v1, v5
; %bb.1464:
	s_or_b32 exec_lo, exec_lo, s1
	s_mov_b32 s0, 0
	global_store_b8 v[2:3], v1, off
.LBB44_1465:
	s_mov_b32 s1, 0
.LBB44_1466:
	s_delay_alu instid0(SALU_CYCLE_1)
	s_and_b32 vcc_lo, exec_lo, s1
	s_cbranch_vccz .LBB44_1469
; %bb.1467:
	v_cmp_eq_u16_e32 vcc_lo, 29, v4
	s_mov_b32 s0, -1
	s_cbranch_vccz .LBB44_1469
; %bb.1468:
	v_trunc_f32_e32 v1, v0
	s_mov_b32 s0, 0
	s_mov_b32 s1, 0
	s_delay_alu instid0(VALU_DEP_1) | instskip(NEXT) | instid1(VALU_DEP_1)
	v_mul_f32_e32 v5, 0x2f800000, v1
	v_floor_f32_e32 v5, v5
	s_delay_alu instid0(VALU_DEP_1) | instskip(SKIP_1) | instid1(VALU_DEP_2)
	v_fmamk_f32 v1, v5, 0xcf800000, v1
	v_cvt_u32_f32_e32 v6, v5
	v_cvt_u32_f32_e32 v5, v1
	global_store_b64 v[2:3], v[5:6], off
	s_branch .LBB44_1470
.LBB44_1469:
	s_mov_b32 s1, 0
.LBB44_1470:
	s_delay_alu instid0(SALU_CYCLE_1)
	s_and_b32 vcc_lo, exec_lo, s1
	s_cbranch_vccz .LBB44_1485
; %bb.1471:
	v_cmp_gt_i16_e32 vcc_lo, 27, v4
	s_mov_b32 s1, -1
	s_cbranch_vccnz .LBB44_1477
; %bb.1472:
	v_cmp_lt_i16_e32 vcc_lo, 27, v4
	v_cvt_u32_f32_e32 v1, v0
	s_cbranch_vccz .LBB44_1474
; %bb.1473:
	s_mov_b32 s1, 0
	global_store_b32 v[2:3], v1, off
.LBB44_1474:
	s_and_not1_b32 vcc_lo, exec_lo, s1
	s_cbranch_vccnz .LBB44_1476
; %bb.1475:
	global_store_b16 v[2:3], v1, off
.LBB44_1476:
	s_mov_b32 s1, 0
.LBB44_1477:
	s_delay_alu instid0(SALU_CYCLE_1)
	s_and_not1_b32 vcc_lo, exec_lo, s1
	s_cbranch_vccnz .LBB44_1485
; %bb.1478:
	v_and_b32_e32 v1, 0x7fffffff, v0
	v_mov_b32_e32 v5, 0x80
	s_mov_b32 s1, exec_lo
	s_delay_alu instid0(VALU_DEP_2)
	v_cmpx_gt_u32_e32 0x43800000, v1
	s_cbranch_execz .LBB44_1484
; %bb.1479:
	v_cmp_lt_u32_e32 vcc_lo, 0x3bffffff, v1
	s_mov_b32 s2, 0
                                        ; implicit-def: $vgpr1
	s_and_saveexec_b32 s3, vcc_lo
	s_delay_alu instid0(SALU_CYCLE_1)
	s_xor_b32 s3, exec_lo, s3
	s_cbranch_execz .LBB44_1720
; %bb.1480:
	v_bfe_u32 v1, v0, 20, 1
	s_mov_b32 s2, exec_lo
	s_delay_alu instid0(VALU_DEP_1) | instskip(NEXT) | instid1(VALU_DEP_1)
	v_add3_u32 v1, v0, v1, 0x487ffff
	v_lshrrev_b32_e32 v1, 20, v1
	s_or_saveexec_b32 s3, s3
                                        ; implicit-def: $sgpr4
	s_delay_alu instid0(SALU_CYCLE_1)
	s_xor_b32 exec_lo, exec_lo, s3
	s_cbranch_execnz .LBB44_1721
.LBB44_1481:
	s_or_b32 exec_lo, exec_lo, s3
	v_mov_b32_e32 v5, s4
	s_and_saveexec_b32 s3, s2
.LBB44_1482:
	v_lshrrev_b32_e32 v5, 24, v0
	s_delay_alu instid0(VALU_DEP_1)
	v_and_or_b32 v5, 0x80, v5, v1
.LBB44_1483:
	s_or_b32 exec_lo, exec_lo, s3
.LBB44_1484:
	s_delay_alu instid0(SALU_CYCLE_1)
	s_or_b32 exec_lo, exec_lo, s1
	global_store_b8 v[2:3], v5, off
.LBB44_1485:
	s_mov_b32 s1, 0
.LBB44_1486:
	s_delay_alu instid0(SALU_CYCLE_1)
	s_and_b32 vcc_lo, exec_lo, s1
	s_mov_b32 s1, 0
	s_cbranch_vccz .LBB44_1526
; %bb.1487:
	v_cmp_lt_i16_e32 vcc_lo, 22, v4
	s_mov_b32 s2, -1
	s_cbranch_vccz .LBB44_1519
; %bb.1488:
	v_cmp_gt_i16_e32 vcc_lo, 24, v4
	s_cbranch_vccnz .LBB44_1508
; %bb.1489:
	v_cmp_lt_i16_e32 vcc_lo, 24, v4
	s_cbranch_vccz .LBB44_1497
; %bb.1490:
	v_and_b32_e32 v1, 0x7fffffff, v0
	v_mov_b32_e32 v5, 0x80
	s_mov_b32 s2, exec_lo
	s_delay_alu instid0(VALU_DEP_2)
	v_cmpx_gt_u32_e32 0x47800000, v1
	s_cbranch_execz .LBB44_1496
; %bb.1491:
	v_cmp_lt_u32_e32 vcc_lo, 0x37ffffff, v1
	s_mov_b32 s3, 0
                                        ; implicit-def: $vgpr1
	s_and_saveexec_b32 s4, vcc_lo
	s_delay_alu instid0(SALU_CYCLE_1)
	s_xor_b32 s4, exec_lo, s4
	s_cbranch_execz .LBB44_1856
; %bb.1492:
	v_bfe_u32 v1, v0, 21, 1
	s_mov_b32 s3, exec_lo
	s_delay_alu instid0(VALU_DEP_1) | instskip(NEXT) | instid1(VALU_DEP_1)
	v_add3_u32 v1, v0, v1, 0x88fffff
	v_lshrrev_b32_e32 v1, 21, v1
	s_or_saveexec_b32 s4, s4
                                        ; implicit-def: $sgpr5
	s_delay_alu instid0(SALU_CYCLE_1)
	s_xor_b32 exec_lo, exec_lo, s4
	s_cbranch_execnz .LBB44_1857
.LBB44_1493:
	s_or_b32 exec_lo, exec_lo, s4
	v_mov_b32_e32 v5, s5
	s_and_saveexec_b32 s4, s3
.LBB44_1494:
	v_lshrrev_b32_e32 v5, 24, v0
	s_delay_alu instid0(VALU_DEP_1)
	v_and_or_b32 v5, 0x80, v5, v1
.LBB44_1495:
	s_or_b32 exec_lo, exec_lo, s4
.LBB44_1496:
	s_delay_alu instid0(SALU_CYCLE_1)
	s_or_b32 exec_lo, exec_lo, s2
	s_mov_b32 s2, 0
	global_store_b8 v[2:3], v5, off
.LBB44_1497:
	s_and_b32 vcc_lo, exec_lo, s2
	s_cbranch_vccz .LBB44_1507
; %bb.1498:
	v_and_b32_e32 v5, 0x7fffffff, v0
	s_mov_b32 s2, exec_lo
                                        ; implicit-def: $vgpr1
	s_delay_alu instid0(VALU_DEP_1)
	v_cmpx_gt_u32_e32 0x43f00000, v5
	s_xor_b32 s2, exec_lo, s2
	s_cbranch_execz .LBB44_1504
; %bb.1499:
	s_mov_b32 s3, exec_lo
                                        ; implicit-def: $vgpr1
	v_cmpx_lt_u32_e32 0x3c7fffff, v5
	s_xor_b32 s3, exec_lo, s3
; %bb.1500:
	v_bfe_u32 v1, v0, 20, 1
	s_delay_alu instid0(VALU_DEP_1) | instskip(NEXT) | instid1(VALU_DEP_1)
	v_add3_u32 v1, v0, v1, 0x407ffff
	v_and_b32_e32 v5, 0xff00000, v1
	v_lshrrev_b32_e32 v1, 20, v1
	s_delay_alu instid0(VALU_DEP_2) | instskip(NEXT) | instid1(VALU_DEP_2)
	v_cmp_ne_u32_e32 vcc_lo, 0x7f00000, v5
	v_cndmask_b32_e32 v1, 0x7e, v1, vcc_lo
; %bb.1501:
	s_and_not1_saveexec_b32 s3, s3
; %bb.1502:
	v_add_f32_e64 v1, 0x46800000, |v0|
; %bb.1503:
	s_or_b32 exec_lo, exec_lo, s3
                                        ; implicit-def: $vgpr5
.LBB44_1504:
	s_and_not1_saveexec_b32 s2, s2
; %bb.1505:
	v_mov_b32_e32 v1, 0x7f
	v_cmp_lt_u32_e32 vcc_lo, 0x7f800000, v5
	s_delay_alu instid0(VALU_DEP_2)
	v_cndmask_b32_e32 v1, 0x7e, v1, vcc_lo
; %bb.1506:
	s_or_b32 exec_lo, exec_lo, s2
	v_lshrrev_b32_e32 v5, 24, v0
	s_delay_alu instid0(VALU_DEP_1)
	v_and_or_b32 v1, 0x80, v5, v1
	global_store_b8 v[2:3], v1, off
.LBB44_1507:
	s_mov_b32 s2, 0
.LBB44_1508:
	s_delay_alu instid0(SALU_CYCLE_1)
	s_and_not1_b32 vcc_lo, exec_lo, s2
	s_cbranch_vccnz .LBB44_1518
; %bb.1509:
	v_and_b32_e32 v5, 0x7fffffff, v0
	s_mov_b32 s2, exec_lo
                                        ; implicit-def: $vgpr1
	s_delay_alu instid0(VALU_DEP_1)
	v_cmpx_gt_u32_e32 0x47800000, v5
	s_xor_b32 s2, exec_lo, s2
	s_cbranch_execz .LBB44_1515
; %bb.1510:
	s_mov_b32 s3, exec_lo
                                        ; implicit-def: $vgpr1
	v_cmpx_lt_u32_e32 0x387fffff, v5
	s_xor_b32 s3, exec_lo, s3
; %bb.1511:
	v_bfe_u32 v1, v0, 21, 1
	s_delay_alu instid0(VALU_DEP_1) | instskip(NEXT) | instid1(VALU_DEP_1)
	v_add3_u32 v1, v0, v1, 0x80fffff
	v_lshrrev_b32_e32 v1, 21, v1
; %bb.1512:
	s_and_not1_saveexec_b32 s3, s3
; %bb.1513:
	v_add_f32_e64 v1, 0x43000000, |v0|
; %bb.1514:
	s_or_b32 exec_lo, exec_lo, s3
                                        ; implicit-def: $vgpr5
.LBB44_1515:
	s_and_not1_saveexec_b32 s2, s2
; %bb.1516:
	v_mov_b32_e32 v1, 0x7f
	v_cmp_lt_u32_e32 vcc_lo, 0x7f800000, v5
	s_delay_alu instid0(VALU_DEP_2)
	v_cndmask_b32_e32 v1, 0x7c, v1, vcc_lo
; %bb.1517:
	s_or_b32 exec_lo, exec_lo, s2
	v_lshrrev_b32_e32 v5, 24, v0
	s_delay_alu instid0(VALU_DEP_1)
	v_and_or_b32 v1, 0x80, v5, v1
	global_store_b8 v[2:3], v1, off
.LBB44_1518:
	s_mov_b32 s2, 0
.LBB44_1519:
	s_delay_alu instid0(SALU_CYCLE_1)
	s_and_not1_b32 vcc_lo, exec_lo, s2
	s_mov_b32 s2, 0
	s_cbranch_vccnz .LBB44_1527
; %bb.1520:
	v_cmp_lt_i16_e32 vcc_lo, 14, v4
	s_mov_b32 s2, -1
	s_cbranch_vccz .LBB44_1524
; %bb.1521:
	v_cmp_eq_u16_e32 vcc_lo, 15, v4
	s_mov_b32 s0, -1
	s_cbranch_vccz .LBB44_1523
; %bb.1522:
	v_bfe_u32 v1, v0, 16, 1
	v_cmp_o_f32_e32 vcc_lo, v0, v0
	s_mov_b32 s0, 0
	s_delay_alu instid0(VALU_DEP_2) | instskip(NEXT) | instid1(VALU_DEP_1)
	v_add3_u32 v1, v0, v1, 0x7fff
	v_lshrrev_b32_e32 v1, 16, v1
	s_delay_alu instid0(VALU_DEP_1)
	v_cndmask_b32_e32 v1, 0x7fc0, v1, vcc_lo
	global_store_b16 v[2:3], v1, off
.LBB44_1523:
	s_mov_b32 s2, 0
.LBB44_1524:
	s_delay_alu instid0(SALU_CYCLE_1)
	s_and_b32 vcc_lo, exec_lo, s2
	s_mov_b32 s2, 0
	s_cbranch_vccz .LBB44_1527
; %bb.1525:
	v_cmp_ne_u16_e32 vcc_lo, 11, v4
	s_and_not1_b32 s0, s0, exec_lo
	s_mov_b32 s2, -1
	s_and_b32 s3, vcc_lo, exec_lo
	s_delay_alu instid0(SALU_CYCLE_1)
	s_or_b32 s0, s0, s3
	s_branch .LBB44_1527
.LBB44_1526:
	s_mov_b32 s2, 0
.LBB44_1527:
	s_and_not1_b32 s3, s53, exec_lo
	s_and_b32 s4, s0, exec_lo
	s_and_b32 s1, s1, exec_lo
	;; [unrolled: 1-line block ×3, first 2 shown]
	s_or_b32 s53, s3, s4
.LBB44_1528:
	s_or_b32 exec_lo, exec_lo, s54
	s_and_saveexec_b32 s2, s53
	s_cbranch_execnz .LBB44_1590
; %bb.1529:
	s_or_b32 exec_lo, exec_lo, s2
	s_and_saveexec_b32 s2, s0
	s_delay_alu instid0(SALU_CYCLE_1)
	s_xor_b32 s0, exec_lo, s2
	s_cbranch_execz .LBB44_1531
.LBB44_1530:
	v_cmp_neq_f32_e32 vcc_lo, 0, v0
	v_cndmask_b32_e64 v1, 0, 1, vcc_lo
	global_store_b8 v[2:3], v1, off
.LBB44_1531:
	s_or_b32 exec_lo, exec_lo, s0
	s_and_saveexec_b32 s0, s1
	s_delay_alu instid0(SALU_CYCLE_1)
	s_xor_b32 s0, exec_lo, s0
	s_cbranch_execz .LBB44_1569
; %bb.1532:
	v_cmp_gt_i16_e32 vcc_lo, 5, v4
	s_mov_b32 s1, -1
	s_cbranch_vccnz .LBB44_1553
; %bb.1533:
	v_cmp_gt_i16_e32 vcc_lo, 8, v4
	s_cbranch_vccnz .LBB44_1543
; %bb.1534:
	v_cmp_gt_i16_e32 vcc_lo, 9, v4
	s_cbranch_vccnz .LBB44_1540
; %bb.1535:
	v_cmp_lt_i16_e32 vcc_lo, 9, v4
	s_cbranch_vccz .LBB44_1537
; %bb.1536:
	v_cvt_f64_f32_e32 v[5:6], v0
	v_mov_b32_e32 v7, 0
	s_mov_b32 s1, 0
	s_delay_alu instid0(VALU_DEP_1)
	v_mov_b32_e32 v8, v7
	global_store_b128 v[2:3], v[5:8], off
.LBB44_1537:
	s_and_not1_b32 vcc_lo, exec_lo, s1
	s_cbranch_vccnz .LBB44_1539
; %bb.1538:
	v_mov_b32_e32 v1, 0
	global_store_b64 v[2:3], v[0:1], off
.LBB44_1539:
	s_mov_b32 s1, 0
.LBB44_1540:
	s_delay_alu instid0(SALU_CYCLE_1)
	s_and_not1_b32 vcc_lo, exec_lo, s1
	s_cbranch_vccnz .LBB44_1542
; %bb.1541:
	v_cvt_f16_f32_e32 v1, v0
	s_delay_alu instid0(VALU_DEP_1)
	v_and_b32_e32 v1, 0xffff, v1
	global_store_b32 v[2:3], v1, off
.LBB44_1542:
	s_mov_b32 s1, 0
.LBB44_1543:
	s_delay_alu instid0(SALU_CYCLE_1)
	s_and_not1_b32 vcc_lo, exec_lo, s1
	s_cbranch_vccnz .LBB44_1552
; %bb.1544:
	v_cmp_gt_i16_e32 vcc_lo, 6, v4
	s_mov_b32 s1, -1
	s_cbranch_vccnz .LBB44_1550
; %bb.1545:
	v_cmp_lt_i16_e32 vcc_lo, 6, v4
	s_cbranch_vccz .LBB44_1547
; %bb.1546:
	v_cvt_f64_f32_e32 v[5:6], v0
	s_mov_b32 s1, 0
	global_store_b64 v[2:3], v[5:6], off
.LBB44_1547:
	s_and_not1_b32 vcc_lo, exec_lo, s1
	s_cbranch_vccnz .LBB44_1549
; %bb.1548:
	global_store_b32 v[2:3], v0, off
.LBB44_1549:
	s_mov_b32 s1, 0
.LBB44_1550:
	s_delay_alu instid0(SALU_CYCLE_1)
	s_and_not1_b32 vcc_lo, exec_lo, s1
	s_cbranch_vccnz .LBB44_1552
; %bb.1551:
	v_cvt_f16_f32_e32 v1, v0
	global_store_b16 v[2:3], v1, off
.LBB44_1552:
	s_mov_b32 s1, 0
.LBB44_1553:
	s_delay_alu instid0(SALU_CYCLE_1)
	s_and_not1_b32 vcc_lo, exec_lo, s1
	s_cbranch_vccnz .LBB44_1569
; %bb.1554:
	v_cmp_gt_i16_e32 vcc_lo, 2, v4
	s_mov_b32 s1, -1
	s_cbranch_vccnz .LBB44_1564
; %bb.1555:
	v_cmp_gt_i16_e32 vcc_lo, 3, v4
	s_cbranch_vccnz .LBB44_1561
; %bb.1556:
	v_cmp_lt_i16_e32 vcc_lo, 3, v4
	s_cbranch_vccz .LBB44_1558
; %bb.1557:
	v_trunc_f32_e32 v1, v0
	s_mov_b32 s1, 0
	s_delay_alu instid0(VALU_DEP_1) | instskip(NEXT) | instid1(VALU_DEP_1)
	v_mul_f32_e64 v5, 0x2f800000, |v1|
	v_floor_f32_e32 v5, v5
	s_delay_alu instid0(VALU_DEP_1) | instskip(SKIP_2) | instid1(VALU_DEP_3)
	v_fma_f32 v6, 0xcf800000, v5, |v1|
	v_ashrrev_i32_e32 v1, 31, v1
	v_cvt_u32_f32_e32 v5, v5
	v_cvt_u32_f32_e32 v6, v6
	s_delay_alu instid0(VALU_DEP_2) | instskip(NEXT) | instid1(VALU_DEP_2)
	v_xor_b32_e32 v7, v5, v1
	v_xor_b32_e32 v6, v6, v1
	s_delay_alu instid0(VALU_DEP_1) | instskip(NEXT) | instid1(VALU_DEP_3)
	v_sub_co_u32 v5, vcc_lo, v6, v1
	v_sub_co_ci_u32_e32 v6, vcc_lo, v7, v1, vcc_lo
	global_store_b64 v[2:3], v[5:6], off
.LBB44_1558:
	s_and_not1_b32 vcc_lo, exec_lo, s1
	s_cbranch_vccnz .LBB44_1560
; %bb.1559:
	v_cvt_i32_f32_e32 v1, v0
	global_store_b32 v[2:3], v1, off
.LBB44_1560:
	s_mov_b32 s1, 0
.LBB44_1561:
	s_delay_alu instid0(SALU_CYCLE_1)
	s_and_not1_b32 vcc_lo, exec_lo, s1
	s_cbranch_vccnz .LBB44_1563
; %bb.1562:
	v_cvt_i32_f32_e32 v1, v0
	global_store_b16 v[2:3], v1, off
.LBB44_1563:
	s_mov_b32 s1, 0
.LBB44_1564:
	s_delay_alu instid0(SALU_CYCLE_1)
	s_and_not1_b32 vcc_lo, exec_lo, s1
	s_cbranch_vccnz .LBB44_1569
; %bb.1565:
	v_cmp_lt_i16_e32 vcc_lo, 0, v4
	s_mov_b32 s1, -1
	s_cbranch_vccz .LBB44_1567
; %bb.1566:
	v_cvt_i32_f32_e32 v1, v0
	s_mov_b32 s1, 0
	global_store_b8 v[2:3], v1, off
.LBB44_1567:
	s_and_not1_b32 vcc_lo, exec_lo, s1
	s_cbranch_vccnz .LBB44_1569
; %bb.1568:
	v_trunc_f32_e32 v0, v0
	s_delay_alu instid0(VALU_DEP_1) | instskip(NEXT) | instid1(VALU_DEP_1)
	v_mul_f32_e64 v1, 0x2f800000, |v0|
	v_floor_f32_e32 v1, v1
	s_delay_alu instid0(VALU_DEP_1) | instskip(SKIP_1) | instid1(VALU_DEP_2)
	v_fma_f32 v1, 0xcf800000, v1, |v0|
	v_ashrrev_i32_e32 v0, 31, v0
	v_cvt_u32_f32_e32 v1, v1
	s_delay_alu instid0(VALU_DEP_1) | instskip(NEXT) | instid1(VALU_DEP_1)
	v_xor_b32_e32 v1, v1, v0
	v_sub_nc_u32_e32 v0, v1, v0
	global_store_b8 v[2:3], v0, off
.LBB44_1569:
	s_or_b32 exec_lo, exec_lo, s0
	s_delay_alu instid0(SALU_CYCLE_1)
	s_and_b32 s51, s52, exec_lo
                                        ; implicit-def: $vgpr45
.LBB44_1570:
	s_or_saveexec_b32 s50, s50
	s_mov_b32 s0, 0
                                        ; implicit-def: $vgpr4
                                        ; implicit-def: $vgpr2_vgpr3
                                        ; implicit-def: $vgpr0
	s_xor_b32 exec_lo, exec_lo, s50
	s_cbranch_execz .LBB44_2656
; %bb.1571:
	v_mul_lo_u32 v44, s41, v45
	v_and_b32_e64 v47, 0xff, s49
	s_delay_alu instid0(VALU_DEP_1) | instskip(NEXT) | instid1(VALU_DEP_3)
	v_cmp_gt_i16_e32 vcc_lo, 11, v47
	v_ashrrev_i32_e32 v1, 31, v44
	v_add_co_u32 v0, s0, s38, v44
	s_delay_alu instid0(VALU_DEP_1)
	v_add_co_ci_u32_e64 v1, s0, s39, v1, s0
	s_cbranch_vccnz .LBB44_1578
; %bb.1572:
	v_cmp_lt_i16_e32 vcc_lo, 25, v47
	s_mov_b32 s1, 0
	s_cbranch_vccz .LBB44_1584
; %bb.1573:
	v_cmp_lt_i16_e32 vcc_lo, 28, v47
	s_cbranch_vccz .LBB44_1586
; %bb.1574:
	v_cmp_lt_i16_e32 vcc_lo, 43, v47
	;; [unrolled: 3-line block ×3, first 2 shown]
	s_cbranch_vccz .LBB44_1592
; %bb.1576:
	v_cmp_eq_u16_e32 vcc_lo, 46, v47
	s_mov_b32 s3, 0
	s_cbranch_vccz .LBB44_1632
; %bb.1577:
	global_load_b32 v2, v[0:1], off
	s_mov_b32 s0, 0
	s_mov_b32 s2, -1
	s_waitcnt vmcnt(0)
	v_lshlrev_b32_e32 v40, 16, v2
	s_branch .LBB44_1634
.LBB44_1578:
	s_mov_b32 s2, 0
	s_mov_b32 s48, s51
                                        ; implicit-def: $vgpr40
	s_cbranch_execz .LBB44_1697
; %bb.1579:
	v_cmp_gt_i16_e32 vcc_lo, 5, v47
	s_cbranch_vccnz .LBB44_1585
; %bb.1580:
	v_cmp_gt_i16_e32 vcc_lo, 8, v47
	s_cbranch_vccnz .LBB44_1587
	;; [unrolled: 3-line block ×3, first 2 shown]
; %bb.1582:
	v_cmp_lt_i16_e32 vcc_lo, 9, v47
	s_cbranch_vccz .LBB44_1593
; %bb.1583:
	global_load_b64 v[2:3], v[0:1], off
	s_mov_b32 s0, 0
	s_waitcnt vmcnt(0)
	v_cvt_f32_f64_e32 v40, v[2:3]
	s_branch .LBB44_1594
.LBB44_1584:
	s_mov_b32 s2, 0
	s_mov_b32 s0, 0
                                        ; implicit-def: $vgpr40
	s_cbranch_execnz .LBB44_1662
	s_branch .LBB44_1693
.LBB44_1585:
                                        ; implicit-def: $vgpr40
	s_branch .LBB44_1611
.LBB44_1586:
	s_mov_b32 s3, -1
	s_mov_b32 s2, 0
	s_mov_b32 s0, 0
                                        ; implicit-def: $vgpr40
	s_branch .LBB44_1643
.LBB44_1587:
                                        ; implicit-def: $vgpr40
	s_branch .LBB44_1600
.LBB44_1588:
	s_mov_b32 s2, 0
	s_mov_b32 s0, 0
                                        ; implicit-def: $vgpr40
	s_cbranch_execnz .LBB44_1639
	s_branch .LBB44_1642
.LBB44_1589:
	s_mov_b32 s0, -1
                                        ; implicit-def: $vgpr40
	s_branch .LBB44_1597
.LBB44_1590:
	s_cbranch_execnz .LBB44_1630
; %bb.1591:
	s_or_b32 s52, s52, exec_lo
	s_and_not1_b32 s0, s0, exec_lo
	s_or_b32 exec_lo, exec_lo, s2
	s_and_saveexec_b32 s2, s0
	s_delay_alu instid0(SALU_CYCLE_1)
	s_xor_b32 s0, exec_lo, s2
	s_cbranch_execnz .LBB44_1530
	s_branch .LBB44_1531
.LBB44_1592:
	s_mov_b32 s3, -1
	s_mov_b32 s2, 0
	s_mov_b32 s0, 0
	s_branch .LBB44_1633
.LBB44_1593:
	s_mov_b32 s0, -1
                                        ; implicit-def: $vgpr40
.LBB44_1594:
	s_delay_alu instid0(SALU_CYCLE_1)
	s_and_not1_b32 vcc_lo, exec_lo, s0
	s_cbranch_vccnz .LBB44_1596
; %bb.1595:
	global_load_b32 v40, v[0:1], off
.LBB44_1596:
	s_mov_b32 s0, 0
.LBB44_1597:
	s_delay_alu instid0(SALU_CYCLE_1)
	s_and_not1_b32 vcc_lo, exec_lo, s0
	s_cbranch_vccnz .LBB44_1599
; %bb.1598:
	global_load_b32 v2, v[0:1], off
	s_waitcnt vmcnt(0)
	v_cvt_f32_f16_e32 v40, v2
.LBB44_1599:
	s_cbranch_execnz .LBB44_1610
.LBB44_1600:
	v_cmp_gt_i16_e32 vcc_lo, 6, v47
	s_cbranch_vccnz .LBB44_1603
; %bb.1601:
	v_cmp_lt_i16_e32 vcc_lo, 6, v47
	s_cbranch_vccz .LBB44_1604
; %bb.1602:
	global_load_b64 v[2:3], v[0:1], off
	s_mov_b32 s0, 0
	s_waitcnt vmcnt(0)
	v_cvt_f32_f64_e32 v40, v[2:3]
	s_branch .LBB44_1605
.LBB44_1603:
	s_mov_b32 s0, -1
                                        ; implicit-def: $vgpr40
	s_branch .LBB44_1608
.LBB44_1604:
	s_mov_b32 s0, -1
                                        ; implicit-def: $vgpr40
.LBB44_1605:
	s_delay_alu instid0(SALU_CYCLE_1)
	s_and_not1_b32 vcc_lo, exec_lo, s0
	s_cbranch_vccnz .LBB44_1607
; %bb.1606:
	global_load_b32 v40, v[0:1], off
.LBB44_1607:
	s_mov_b32 s0, 0
.LBB44_1608:
	s_delay_alu instid0(SALU_CYCLE_1)
	s_and_not1_b32 vcc_lo, exec_lo, s0
	s_cbranch_vccnz .LBB44_1610
; %bb.1609:
	global_load_u16 v2, v[0:1], off
	s_waitcnt vmcnt(0)
	v_cvt_f32_f16_e32 v40, v2
.LBB44_1610:
	s_cbranch_execnz .LBB44_1629
.LBB44_1611:
	v_cmp_gt_i16_e32 vcc_lo, 2, v47
	s_cbranch_vccnz .LBB44_1615
; %bb.1612:
	v_cmp_gt_i16_e32 vcc_lo, 3, v47
	s_cbranch_vccnz .LBB44_1616
; %bb.1613:
	v_cmp_lt_i16_e32 vcc_lo, 3, v47
	s_cbranch_vccz .LBB44_1617
; %bb.1614:
	global_load_b64 v[2:3], v[0:1], off
	s_mov_b32 s0, 0
	s_waitcnt vmcnt(0)
	v_xor_b32_e32 v4, v2, v3
	v_cls_i32_e32 v5, v3
	s_delay_alu instid0(VALU_DEP_2) | instskip(NEXT) | instid1(VALU_DEP_2)
	v_ashrrev_i32_e32 v4, 31, v4
	v_add_nc_u32_e32 v5, -1, v5
	s_delay_alu instid0(VALU_DEP_2) | instskip(NEXT) | instid1(VALU_DEP_1)
	v_add_nc_u32_e32 v4, 32, v4
	v_min_u32_e32 v4, v5, v4
	s_delay_alu instid0(VALU_DEP_1) | instskip(NEXT) | instid1(VALU_DEP_1)
	v_lshlrev_b64 v[2:3], v4, v[2:3]
	v_min_u32_e32 v2, 1, v2
	s_delay_alu instid0(VALU_DEP_1) | instskip(SKIP_1) | instid1(VALU_DEP_2)
	v_or_b32_e32 v2, v3, v2
	v_sub_nc_u32_e32 v3, 32, v4
	v_cvt_f32_i32_e32 v2, v2
	s_delay_alu instid0(VALU_DEP_1)
	v_ldexp_f32 v40, v2, v3
	s_branch .LBB44_1618
.LBB44_1615:
                                        ; implicit-def: $vgpr40
	s_branch .LBB44_1624
.LBB44_1616:
	s_mov_b32 s0, -1
                                        ; implicit-def: $vgpr40
	s_branch .LBB44_1621
.LBB44_1617:
	s_mov_b32 s0, -1
                                        ; implicit-def: $vgpr40
.LBB44_1618:
	s_delay_alu instid0(SALU_CYCLE_1)
	s_and_not1_b32 vcc_lo, exec_lo, s0
	s_cbranch_vccnz .LBB44_1620
; %bb.1619:
	global_load_b32 v2, v[0:1], off
	s_waitcnt vmcnt(0)
	v_cvt_f32_i32_e32 v40, v2
.LBB44_1620:
	s_mov_b32 s0, 0
.LBB44_1621:
	s_delay_alu instid0(SALU_CYCLE_1)
	s_and_not1_b32 vcc_lo, exec_lo, s0
	s_cbranch_vccnz .LBB44_1623
; %bb.1622:
	global_load_i16 v2, v[0:1], off
	s_waitcnt vmcnt(0)
	v_cvt_f32_i32_e32 v40, v2
.LBB44_1623:
	s_cbranch_execnz .LBB44_1629
.LBB44_1624:
	v_cmp_lt_i16_e32 vcc_lo, 0, v47
	s_mov_b32 s0, 0
	s_cbranch_vccz .LBB44_1626
; %bb.1625:
	global_load_i8 v2, v[0:1], off
	s_waitcnt vmcnt(0)
	v_cvt_f32_i32_e32 v40, v2
	s_branch .LBB44_1627
.LBB44_1626:
	s_mov_b32 s0, -1
                                        ; implicit-def: $vgpr40
.LBB44_1627:
	s_delay_alu instid0(SALU_CYCLE_1)
	s_and_not1_b32 vcc_lo, exec_lo, s0
	s_cbranch_vccnz .LBB44_1629
; %bb.1628:
	global_load_u8 v0, v[0:1], off
	s_waitcnt vmcnt(0)
	v_cvt_f32_ubyte0_e32 v40, v0
.LBB44_1629:
	s_branch .LBB44_1698
.LBB44_1630:
	s_trap 2
	s_sendmsg_rtn_b32 s0, sendmsg(MSG_RTN_GET_DOORBELL)
	s_mov_b32 ttmp2, m0
	s_waitcnt lgkmcnt(0)
	s_and_b32 s0, s0, 0x3ff
	s_delay_alu instid0(SALU_CYCLE_1) | instskip(NEXT) | instid1(SALU_CYCLE_1)
	s_bitset1_b32 s0, 10
	s_mov_b32 m0, s0
	s_sendmsg sendmsg(MSG_INTERRUPT)
	s_mov_b32 m0, ttmp2
.LBB44_1631:                            ; =>This Inner Loop Header: Depth=1
	s_sethalt 5
	s_branch .LBB44_1631
.LBB44_1632:
	s_mov_b32 s0, -1
	s_mov_b32 s2, 0
.LBB44_1633:
                                        ; implicit-def: $vgpr40
.LBB44_1634:
	s_and_b32 vcc_lo, exec_lo, s3
	s_cbranch_vccz .LBB44_1637
; %bb.1635:
	v_cmp_eq_u16_e32 vcc_lo, 44, v47
	s_cbranch_vccz .LBB44_1638
; %bb.1636:
	global_load_u8 v2, v[0:1], off
	s_mov_b32 s0, 0
	s_mov_b32 s2, -1
	s_waitcnt vmcnt(0)
	v_lshlrev_b32_e32 v3, 23, v2
	v_cmp_ne_u32_e32 vcc_lo, 0xff, v2
	s_delay_alu instid0(VALU_DEP_2) | instskip(SKIP_1) | instid1(VALU_DEP_2)
	v_cndmask_b32_e32 v3, 0x7f800001, v3, vcc_lo
	v_cmp_ne_u32_e32 vcc_lo, 0, v2
	v_cndmask_b32_e32 v40, 0x400000, v3, vcc_lo
.LBB44_1637:
	s_branch .LBB44_1642
.LBB44_1638:
	s_mov_b32 s0, -1
                                        ; implicit-def: $vgpr40
	s_branch .LBB44_1642
.LBB44_1639:
	v_cmp_eq_u16_e32 vcc_lo, 29, v47
	s_cbranch_vccz .LBB44_1641
; %bb.1640:
	global_load_b64 v[2:3], v[0:1], off
	s_mov_b32 s0, 0
	s_mov_b32 s2, -1
	s_mov_b32 s3, 0
	s_waitcnt vmcnt(0)
	v_clz_i32_u32_e32 v4, v3
	s_delay_alu instid0(VALU_DEP_1) | instskip(NEXT) | instid1(VALU_DEP_1)
	v_min_u32_e32 v4, 32, v4
	v_lshlrev_b64 v[2:3], v4, v[2:3]
	s_delay_alu instid0(VALU_DEP_1) | instskip(NEXT) | instid1(VALU_DEP_1)
	v_min_u32_e32 v2, 1, v2
	v_or_b32_e32 v2, v3, v2
	v_sub_nc_u32_e32 v3, 32, v4
	s_delay_alu instid0(VALU_DEP_2) | instskip(NEXT) | instid1(VALU_DEP_1)
	v_cvt_f32_u32_e32 v2, v2
	v_ldexp_f32 v40, v2, v3
	s_branch .LBB44_1643
.LBB44_1641:
	s_mov_b32 s0, -1
                                        ; implicit-def: $vgpr40
.LBB44_1642:
	s_mov_b32 s3, 0
.LBB44_1643:
	s_delay_alu instid0(SALU_CYCLE_1)
	s_and_b32 vcc_lo, exec_lo, s3
	s_cbranch_vccz .LBB44_1661
; %bb.1644:
	v_cmp_gt_i16_e32 vcc_lo, 27, v47
	s_cbranch_vccnz .LBB44_1647
; %bb.1645:
	v_cmp_lt_i16_e32 vcc_lo, 27, v47
	s_cbranch_vccz .LBB44_1648
; %bb.1646:
	global_load_b32 v2, v[0:1], off
	s_mov_b32 s2, 0
	s_waitcnt vmcnt(0)
	v_cvt_f32_u32_e32 v40, v2
	s_branch .LBB44_1649
.LBB44_1647:
	s_mov_b32 s2, -1
                                        ; implicit-def: $vgpr40
	s_branch .LBB44_1652
.LBB44_1648:
	s_mov_b32 s2, -1
                                        ; implicit-def: $vgpr40
.LBB44_1649:
	s_delay_alu instid0(SALU_CYCLE_1)
	s_and_not1_b32 vcc_lo, exec_lo, s2
	s_cbranch_vccnz .LBB44_1651
; %bb.1650:
	global_load_u16 v2, v[0:1], off
	s_waitcnt vmcnt(0)
	v_cvt_f32_u32_e32 v40, v2
.LBB44_1651:
	s_mov_b32 s2, 0
.LBB44_1652:
	s_delay_alu instid0(SALU_CYCLE_1)
	s_and_not1_b32 vcc_lo, exec_lo, s2
	s_cbranch_vccnz .LBB44_1660
; %bb.1653:
	global_load_u8 v2, v[0:1], off
	s_mov_b32 s2, 0
	s_mov_b32 s4, exec_lo
                                        ; implicit-def: $sgpr3
	s_waitcnt vmcnt(0)
	v_cmpx_lt_i16_e32 0x7f, v2
	s_xor_b32 s4, exec_lo, s4
	s_cbranch_execz .LBB44_1673
; %bb.1654:
	s_mov_b32 s2, -1
	s_mov_b32 s5, exec_lo
                                        ; implicit-def: $sgpr3
	v_cmpx_eq_u16_e32 0x80, v2
; %bb.1655:
	s_mov_b32 s3, 0x7f800001
	s_xor_b32 s2, exec_lo, -1
; %bb.1656:
	s_or_b32 exec_lo, exec_lo, s5
	s_delay_alu instid0(SALU_CYCLE_1)
	s_and_b32 s2, s2, exec_lo
	s_or_saveexec_b32 s4, s4
	v_mov_b32_e32 v40, s3
	s_xor_b32 exec_lo, exec_lo, s4
	s_cbranch_execnz .LBB44_1674
.LBB44_1657:
	s_or_b32 exec_lo, exec_lo, s4
	s_and_saveexec_b32 s3, s2
	s_cbranch_execz .LBB44_1659
.LBB44_1658:
	v_and_b32_e32 v3, 0xffff, v2
	v_lshlrev_b32_e32 v2, 24, v2
	s_delay_alu instid0(VALU_DEP_2) | instskip(NEXT) | instid1(VALU_DEP_2)
	v_and_b32_e32 v4, 7, v3
	v_and_b32_e32 v2, 0x80000000, v2
	s_delay_alu instid0(VALU_DEP_2) | instskip(NEXT) | instid1(VALU_DEP_1)
	v_clz_i32_u32_e32 v5, v4
	v_min_u32_e32 v5, 32, v5
	s_delay_alu instid0(VALU_DEP_1) | instskip(SKIP_1) | instid1(VALU_DEP_2)
	v_subrev_nc_u32_e32 v6, 28, v5
	v_sub_nc_u32_e32 v5, 29, v5
	v_lshlrev_b32_e32 v6, v6, v3
	v_bfe_u32 v3, v3, 3, 4
	s_delay_alu instid0(VALU_DEP_2) | instskip(NEXT) | instid1(VALU_DEP_2)
	v_and_b32_e32 v6, 7, v6
	v_cmp_eq_u32_e32 vcc_lo, 0, v3
	s_delay_alu instid0(VALU_DEP_2) | instskip(NEXT) | instid1(VALU_DEP_1)
	v_dual_cndmask_b32 v3, v3, v5 :: v_dual_cndmask_b32 v4, v4, v6
	v_lshl_add_u32 v3, v3, 23, 0x3b800000
	s_delay_alu instid0(VALU_DEP_2) | instskip(NEXT) | instid1(VALU_DEP_1)
	v_lshlrev_b32_e32 v4, 20, v4
	v_or3_b32 v40, v2, v3, v4
.LBB44_1659:
	s_or_b32 exec_lo, exec_lo, s3
.LBB44_1660:
	s_mov_b32 s2, -1
.LBB44_1661:
	s_branch .LBB44_1693
.LBB44_1662:
	v_cmp_lt_i16_e32 vcc_lo, 22, v47
	s_cbranch_vccz .LBB44_1672
; %bb.1663:
	v_cmp_gt_i16_e32 vcc_lo, 24, v47
	s_cbranch_vccnz .LBB44_1675
; %bb.1664:
	v_cmp_lt_i16_e32 vcc_lo, 24, v47
	s_cbranch_vccz .LBB44_1676
; %bb.1665:
	global_load_u8 v2, v[0:1], off
	s_mov_b32 s3, exec_lo
                                        ; implicit-def: $sgpr2
	s_waitcnt vmcnt(0)
	v_cmpx_lt_i16_e32 0x7f, v2
	s_xor_b32 s3, exec_lo, s3
	s_cbranch_execz .LBB44_1687
; %bb.1666:
	s_mov_b32 s1, -1
	s_mov_b32 s4, exec_lo
                                        ; implicit-def: $sgpr2
	v_cmpx_eq_u16_e32 0x80, v2
; %bb.1667:
	s_mov_b32 s2, 0x7f800001
	s_xor_b32 s1, exec_lo, -1
; %bb.1668:
	s_or_b32 exec_lo, exec_lo, s4
	s_delay_alu instid0(SALU_CYCLE_1)
	s_and_b32 s1, s1, exec_lo
	s_or_saveexec_b32 s3, s3
	v_mov_b32_e32 v40, s2
	s_xor_b32 exec_lo, exec_lo, s3
	s_cbranch_execnz .LBB44_1688
.LBB44_1669:
	s_or_b32 exec_lo, exec_lo, s3
	s_and_saveexec_b32 s2, s1
	s_cbranch_execz .LBB44_1671
.LBB44_1670:
	v_and_b32_e32 v3, 0xffff, v2
	v_lshlrev_b32_e32 v2, 24, v2
	s_delay_alu instid0(VALU_DEP_2) | instskip(NEXT) | instid1(VALU_DEP_2)
	v_and_b32_e32 v4, 3, v3
	v_and_b32_e32 v2, 0x80000000, v2
	s_delay_alu instid0(VALU_DEP_2) | instskip(NEXT) | instid1(VALU_DEP_1)
	v_clz_i32_u32_e32 v5, v4
	v_min_u32_e32 v5, 32, v5
	s_delay_alu instid0(VALU_DEP_1) | instskip(SKIP_1) | instid1(VALU_DEP_2)
	v_subrev_nc_u32_e32 v6, 29, v5
	v_sub_nc_u32_e32 v5, 30, v5
	v_lshlrev_b32_e32 v6, v6, v3
	v_bfe_u32 v3, v3, 2, 5
	s_delay_alu instid0(VALU_DEP_2) | instskip(NEXT) | instid1(VALU_DEP_2)
	v_and_b32_e32 v6, 3, v6
	v_cmp_eq_u32_e32 vcc_lo, 0, v3
	s_delay_alu instid0(VALU_DEP_2) | instskip(NEXT) | instid1(VALU_DEP_1)
	v_dual_cndmask_b32 v3, v3, v5 :: v_dual_cndmask_b32 v4, v4, v6
	v_lshl_add_u32 v3, v3, 23, 0x37800000
	s_delay_alu instid0(VALU_DEP_2) | instskip(NEXT) | instid1(VALU_DEP_1)
	v_lshlrev_b32_e32 v4, 21, v4
	v_or3_b32 v40, v2, v3, v4
.LBB44_1671:
	s_or_b32 exec_lo, exec_lo, s2
	s_mov_b32 s1, 0
	s_branch .LBB44_1677
.LBB44_1672:
                                        ; implicit-def: $vgpr40
	s_mov_b32 s1, 0
	s_branch .LBB44_1683
.LBB44_1673:
	s_or_saveexec_b32 s4, s4
	v_mov_b32_e32 v40, s3
	s_xor_b32 exec_lo, exec_lo, s4
	s_cbranch_execz .LBB44_1657
.LBB44_1674:
	v_cmp_ne_u16_e32 vcc_lo, 0, v2
	v_mov_b32_e32 v40, 0
	s_and_not1_b32 s2, s2, exec_lo
	s_and_b32 s3, vcc_lo, exec_lo
	s_delay_alu instid0(SALU_CYCLE_1)
	s_or_b32 s2, s2, s3
	s_or_b32 exec_lo, exec_lo, s4
	s_and_saveexec_b32 s3, s2
	s_cbranch_execnz .LBB44_1658
	s_branch .LBB44_1659
.LBB44_1675:
	s_mov_b32 s1, -1
                                        ; implicit-def: $vgpr40
	s_branch .LBB44_1680
.LBB44_1676:
	s_mov_b32 s1, -1
                                        ; implicit-def: $vgpr40
.LBB44_1677:
	s_delay_alu instid0(SALU_CYCLE_1)
	s_and_b32 vcc_lo, exec_lo, s1
	s_cbranch_vccz .LBB44_1679
; %bb.1678:
	global_load_u8 v2, v[0:1], off
	s_waitcnt vmcnt(0)
	v_lshlrev_b32_e32 v2, 24, v2
	s_delay_alu instid0(VALU_DEP_1) | instskip(NEXT) | instid1(VALU_DEP_1)
	v_and_b32_e32 v3, 0x7f000000, v2
	v_clz_i32_u32_e32 v4, v3
	v_add_nc_u32_e32 v6, 0x1000000, v3
	v_cmp_ne_u32_e32 vcc_lo, 0, v3
	s_delay_alu instid0(VALU_DEP_3) | instskip(NEXT) | instid1(VALU_DEP_1)
	v_min_u32_e32 v4, 32, v4
	v_sub_nc_u32_e64 v4, v4, 4 clamp
	s_delay_alu instid0(VALU_DEP_1) | instskip(SKIP_1) | instid1(VALU_DEP_2)
	v_lshlrev_b32_e32 v5, v4, v3
	v_lshlrev_b32_e32 v4, 23, v4
	v_lshrrev_b32_e32 v5, 4, v5
	s_delay_alu instid0(VALU_DEP_1) | instskip(SKIP_1) | instid1(VALU_DEP_2)
	v_sub_nc_u32_e32 v4, v5, v4
	v_ashrrev_i32_e32 v5, 8, v6
	v_add_nc_u32_e32 v4, 0x3c000000, v4
	s_delay_alu instid0(VALU_DEP_1) | instskip(NEXT) | instid1(VALU_DEP_1)
	v_and_or_b32 v4, 0x7f800000, v5, v4
	v_cndmask_b32_e32 v3, 0, v4, vcc_lo
	s_delay_alu instid0(VALU_DEP_1)
	v_and_or_b32 v40, 0x80000000, v2, v3
.LBB44_1679:
	s_mov_b32 s1, 0
.LBB44_1680:
	s_delay_alu instid0(SALU_CYCLE_1)
	s_and_not1_b32 vcc_lo, exec_lo, s1
	s_cbranch_vccnz .LBB44_1682
; %bb.1681:
	global_load_u8 v2, v[0:1], off
	s_waitcnt vmcnt(0)
	v_lshlrev_b32_e32 v3, 25, v2
	v_lshlrev_b16 v2, 8, v2
	s_delay_alu instid0(VALU_DEP_2) | instskip(NEXT) | instid1(VALU_DEP_2)
	v_lshrrev_b32_e32 v4, 4, v3
	v_and_or_b32 v5, 0x7f00, v2, 0.5
	v_bfe_i32 v2, v2, 0, 16
	s_delay_alu instid0(VALU_DEP_3) | instskip(NEXT) | instid1(VALU_DEP_1)
	v_or_b32_e32 v4, 0x70000000, v4
	v_dual_add_f32 v5, -0.5, v5 :: v_dual_mul_f32 v4, 0x7800000, v4
	v_cmp_gt_u32_e32 vcc_lo, 0x8000000, v3
	s_delay_alu instid0(VALU_DEP_2) | instskip(NEXT) | instid1(VALU_DEP_1)
	v_cndmask_b32_e32 v3, v4, v5, vcc_lo
	v_and_or_b32 v40, 0x80000000, v2, v3
.LBB44_1682:
	s_mov_b32 s2, -1
	s_mov_b32 s1, 0
	s_cbranch_execnz .LBB44_1693
.LBB44_1683:
	v_cmp_lt_i16_e32 vcc_lo, 14, v47
	s_cbranch_vccz .LBB44_1686
; %bb.1684:
	v_cmp_eq_u16_e32 vcc_lo, 15, v47
	s_cbranch_vccz .LBB44_1689
; %bb.1685:
	global_load_u16 v2, v[0:1], off
	s_mov_b32 s0, 0
	s_mov_b32 s2, -1
	s_waitcnt vmcnt(0)
	v_lshlrev_b32_e32 v40, 16, v2
	s_branch .LBB44_1691
.LBB44_1686:
	s_mov_b32 s1, -1
	s_branch .LBB44_1690
.LBB44_1687:
	s_or_saveexec_b32 s3, s3
	v_mov_b32_e32 v40, s2
	s_xor_b32 exec_lo, exec_lo, s3
	s_cbranch_execz .LBB44_1669
.LBB44_1688:
	v_cmp_ne_u16_e32 vcc_lo, 0, v2
	v_mov_b32_e32 v40, 0
	s_and_not1_b32 s1, s1, exec_lo
	s_and_b32 s2, vcc_lo, exec_lo
	s_delay_alu instid0(SALU_CYCLE_1)
	s_or_b32 s1, s1, s2
	s_or_b32 exec_lo, exec_lo, s3
	s_and_saveexec_b32 s2, s1
	s_cbranch_execnz .LBB44_1670
	s_branch .LBB44_1671
.LBB44_1689:
	s_mov_b32 s0, -1
.LBB44_1690:
                                        ; implicit-def: $vgpr40
.LBB44_1691:
	s_and_b32 vcc_lo, exec_lo, s1
	s_mov_b32 s1, 0
	s_cbranch_vccz .LBB44_1693
; %bb.1692:
	v_cmp_ne_u16_e64 s0, 11, v47
	s_mov_b32 s1, -1
                                        ; implicit-def: $vgpr40
.LBB44_1693:
	s_delay_alu instid0(VALU_DEP_1)
	s_and_b32 vcc_lo, exec_lo, s0
	s_mov_b32 s48, s51
	s_cbranch_vccnz .LBB44_1717
; %bb.1694:
	s_and_not1_b32 vcc_lo, exec_lo, s1
	s_cbranch_vccnz .LBB44_1696
.LBB44_1695:
	global_load_u8 v2, v[0:1], off
	s_mov_b32 s2, -1
	s_waitcnt vmcnt(0)
	v_cmp_ne_u16_e32 vcc_lo, 0, v2
	v_cndmask_b32_e64 v40, 0, 1.0, vcc_lo
.LBB44_1696:
.LBB44_1697:
	s_and_not1_b32 vcc_lo, exec_lo, s2
	s_cbranch_vccnz .LBB44_2654
.LBB44_1698:
	v_mul_lo_u32 v46, s42, v45
	v_cmp_lt_i16_e64 s0, s46, 11
	s_delay_alu instid0(VALU_DEP_2) | instskip(SKIP_1) | instid1(VALU_DEP_2)
	v_ashrrev_i32_e32 v1, 31, v46
	v_add_co_u32 v0, vcc_lo, s44, v46
	v_add_co_ci_u32_e32 v1, vcc_lo, s45, v1, vcc_lo
	s_delay_alu instid0(VALU_DEP_4)
	s_and_b32 vcc_lo, exec_lo, s0
	s_cbranch_vccnz .LBB44_1705
; %bb.1699:
	v_cmp_gt_i16_e64 s0, s46, 25
	s_mov_b32 s1, 0
	s_delay_alu instid0(VALU_DEP_1)
	s_and_b32 vcc_lo, exec_lo, s0
	s_cbranch_vccz .LBB44_1711
; %bb.1700:
	v_cmp_gt_i16_e64 s0, s46, 28
	s_delay_alu instid0(VALU_DEP_1)
	s_and_b32 vcc_lo, exec_lo, s0
	s_cbranch_vccz .LBB44_1713
; %bb.1701:
	v_cmp_gt_i16_e64 s0, s46, 43
	;; [unrolled: 5-line block ×3, first 2 shown]
	s_delay_alu instid0(VALU_DEP_1)
	s_and_b32 vcc_lo, exec_lo, s0
	s_cbranch_vccz .LBB44_1719
; %bb.1703:
	v_cmp_eq_u16_e64 s0, s46, 46
	s_mov_b32 s3, 0
	s_delay_alu instid0(VALU_DEP_1)
	s_and_b32 vcc_lo, exec_lo, s0
	s_cbranch_vccz .LBB44_1763
; %bb.1704:
	global_load_b32 v2, v[0:1], off
	s_mov_b32 s0, 0
	s_mov_b32 s2, -1
	s_waitcnt vmcnt(0)
	v_lshlrev_b32_e32 v43, 16, v2
	s_branch .LBB44_1765
.LBB44_1705:
	s_mov_b32 s2, 0
                                        ; implicit-def: $vgpr43
	s_cbranch_execz .LBB44_1830
; %bb.1706:
	v_cmp_lt_i16_e64 s0, s46, 5
	s_delay_alu instid0(VALU_DEP_1)
	s_and_b32 vcc_lo, exec_lo, s0
	s_cbranch_vccnz .LBB44_1712
; %bb.1707:
	v_cmp_lt_i16_e64 s0, s46, 8
	s_delay_alu instid0(VALU_DEP_1)
	s_and_b32 vcc_lo, exec_lo, s0
	s_cbranch_vccnz .LBB44_1714
	;; [unrolled: 5-line block ×3, first 2 shown]
; %bb.1709:
	v_cmp_gt_i16_e64 s0, s46, 9
	s_delay_alu instid0(VALU_DEP_1)
	s_and_b32 vcc_lo, exec_lo, s0
	s_cbranch_vccz .LBB44_1722
; %bb.1710:
	global_load_b64 v[2:3], v[0:1], off
	s_mov_b32 s0, 0
	s_waitcnt vmcnt(0)
	v_cvt_f32_f64_e32 v43, v[2:3]
	s_branch .LBB44_1723
.LBB44_1711:
	s_mov_b32 s2, 0
	s_mov_b32 s0, 0
                                        ; implicit-def: $vgpr43
	s_cbranch_execnz .LBB44_1794
	s_branch .LBB44_1826
.LBB44_1712:
                                        ; implicit-def: $vgpr43
	s_branch .LBB44_1741
.LBB44_1713:
	s_mov_b32 s3, -1
	s_mov_b32 s2, 0
	s_mov_b32 s0, 0
                                        ; implicit-def: $vgpr43
	s_branch .LBB44_1775
.LBB44_1714:
	s_mov_b32 s0, -1
                                        ; implicit-def: $vgpr43
	s_branch .LBB44_1729
.LBB44_1715:
	s_mov_b32 s3, -1
	s_mov_b32 s2, 0
	s_mov_b32 s0, 0
                                        ; implicit-def: $vgpr43
	s_branch .LBB44_1770
.LBB44_1716:
	s_mov_b32 s0, -1
                                        ; implicit-def: $vgpr43
	s_branch .LBB44_1726
.LBB44_1717:
	s_cbranch_execnz .LBB44_1761
; %bb.1718:
	s_or_b32 s48, s51, exec_lo
                                        ; implicit-def: $vgpr40
	s_cbranch_execz .LBB44_1695
	s_branch .LBB44_1696
.LBB44_1719:
	s_mov_b32 s3, -1
	s_mov_b32 s2, 0
	s_mov_b32 s0, 0
	s_branch .LBB44_1764
.LBB44_1720:
	s_or_saveexec_b32 s3, s3
                                        ; implicit-def: $sgpr4
	s_delay_alu instid0(SALU_CYCLE_1)
	s_xor_b32 exec_lo, exec_lo, s3
	s_cbranch_execz .LBB44_1481
.LBB44_1721:
	v_add_f32_e64 v1, 0x46000000, |v0|
	s_and_not1_b32 s2, s2, exec_lo
	s_mov_b32 s4, 0
	s_delay_alu instid0(VALU_DEP_1) | instskip(NEXT) | instid1(VALU_DEP_1)
	v_and_b32_e32 v1, 0xff, v1
	v_cmp_ne_u32_e32 vcc_lo, 0, v1
	s_and_b32 s5, vcc_lo, exec_lo
	s_delay_alu instid0(SALU_CYCLE_1)
	s_or_b32 s2, s2, s5
	s_or_b32 exec_lo, exec_lo, s3
	v_mov_b32_e32 v5, s4
	s_and_saveexec_b32 s3, s2
	s_cbranch_execnz .LBB44_1482
	s_branch .LBB44_1483
.LBB44_1722:
	s_mov_b32 s0, -1
                                        ; implicit-def: $vgpr43
.LBB44_1723:
	s_delay_alu instid0(SALU_CYCLE_1)
	s_and_not1_b32 vcc_lo, exec_lo, s0
	s_cbranch_vccnz .LBB44_1725
; %bb.1724:
	global_load_b32 v43, v[0:1], off
.LBB44_1725:
	s_mov_b32 s0, 0
.LBB44_1726:
	s_delay_alu instid0(SALU_CYCLE_1)
	s_and_not1_b32 vcc_lo, exec_lo, s0
	s_cbranch_vccnz .LBB44_1728
; %bb.1727:
	global_load_b32 v2, v[0:1], off
	s_waitcnt vmcnt(0)
	v_cvt_f32_f16_e32 v43, v2
.LBB44_1728:
	s_mov_b32 s0, 0
.LBB44_1729:
	s_delay_alu instid0(SALU_CYCLE_1)
	s_and_not1_b32 vcc_lo, exec_lo, s0
	s_cbranch_vccnz .LBB44_1740
; %bb.1730:
	v_cmp_lt_i16_e64 s0, s46, 6
	s_delay_alu instid0(VALU_DEP_1)
	s_and_b32 vcc_lo, exec_lo, s0
	s_cbranch_vccnz .LBB44_1733
; %bb.1731:
	v_cmp_gt_i16_e64 s0, s46, 6
	s_delay_alu instid0(VALU_DEP_1)
	s_and_b32 vcc_lo, exec_lo, s0
	s_cbranch_vccz .LBB44_1734
; %bb.1732:
	global_load_b64 v[2:3], v[0:1], off
	s_mov_b32 s0, 0
	s_waitcnt vmcnt(0)
	v_cvt_f32_f64_e32 v43, v[2:3]
	s_branch .LBB44_1735
.LBB44_1733:
	s_mov_b32 s0, -1
                                        ; implicit-def: $vgpr43
	s_branch .LBB44_1738
.LBB44_1734:
	s_mov_b32 s0, -1
                                        ; implicit-def: $vgpr43
.LBB44_1735:
	s_delay_alu instid0(SALU_CYCLE_1)
	s_and_not1_b32 vcc_lo, exec_lo, s0
	s_cbranch_vccnz .LBB44_1737
; %bb.1736:
	global_load_b32 v43, v[0:1], off
.LBB44_1737:
	s_mov_b32 s0, 0
.LBB44_1738:
	s_delay_alu instid0(SALU_CYCLE_1)
	s_and_not1_b32 vcc_lo, exec_lo, s0
	s_cbranch_vccnz .LBB44_1740
; %bb.1739:
	global_load_u16 v2, v[0:1], off
	s_waitcnt vmcnt(0)
	v_cvt_f32_f16_e32 v43, v2
.LBB44_1740:
	s_cbranch_execnz .LBB44_1760
.LBB44_1741:
	v_cmp_lt_i16_e64 s0, s46, 2
	s_delay_alu instid0(VALU_DEP_1)
	s_and_b32 vcc_lo, exec_lo, s0
	s_cbranch_vccnz .LBB44_1745
; %bb.1742:
	v_cmp_lt_i16_e64 s0, s46, 3
	s_delay_alu instid0(VALU_DEP_1)
	s_and_b32 vcc_lo, exec_lo, s0
	s_cbranch_vccnz .LBB44_1746
; %bb.1743:
	v_cmp_gt_i16_e64 s0, s46, 3
	s_delay_alu instid0(VALU_DEP_1)
	s_and_b32 vcc_lo, exec_lo, s0
	s_cbranch_vccz .LBB44_1747
; %bb.1744:
	global_load_b64 v[2:3], v[0:1], off
	s_mov_b32 s0, 0
	s_waitcnt vmcnt(0)
	v_xor_b32_e32 v4, v2, v3
	v_cls_i32_e32 v5, v3
	s_delay_alu instid0(VALU_DEP_2) | instskip(NEXT) | instid1(VALU_DEP_2)
	v_ashrrev_i32_e32 v4, 31, v4
	v_add_nc_u32_e32 v5, -1, v5
	s_delay_alu instid0(VALU_DEP_2) | instskip(NEXT) | instid1(VALU_DEP_1)
	v_add_nc_u32_e32 v4, 32, v4
	v_min_u32_e32 v4, v5, v4
	s_delay_alu instid0(VALU_DEP_1) | instskip(NEXT) | instid1(VALU_DEP_1)
	v_lshlrev_b64 v[2:3], v4, v[2:3]
	v_min_u32_e32 v2, 1, v2
	s_delay_alu instid0(VALU_DEP_1) | instskip(SKIP_1) | instid1(VALU_DEP_2)
	v_or_b32_e32 v2, v3, v2
	v_sub_nc_u32_e32 v3, 32, v4
	v_cvt_f32_i32_e32 v2, v2
	s_delay_alu instid0(VALU_DEP_1)
	v_ldexp_f32 v43, v2, v3
	s_branch .LBB44_1748
.LBB44_1745:
	s_mov_b32 s0, -1
                                        ; implicit-def: $vgpr43
	s_branch .LBB44_1754
.LBB44_1746:
	s_mov_b32 s0, -1
                                        ; implicit-def: $vgpr43
	s_branch .LBB44_1751
.LBB44_1747:
	s_mov_b32 s0, -1
                                        ; implicit-def: $vgpr43
.LBB44_1748:
	s_delay_alu instid0(SALU_CYCLE_1)
	s_and_not1_b32 vcc_lo, exec_lo, s0
	s_cbranch_vccnz .LBB44_1750
; %bb.1749:
	global_load_b32 v2, v[0:1], off
	s_waitcnt vmcnt(0)
	v_cvt_f32_i32_e32 v43, v2
.LBB44_1750:
	s_mov_b32 s0, 0
.LBB44_1751:
	s_delay_alu instid0(SALU_CYCLE_1)
	s_and_not1_b32 vcc_lo, exec_lo, s0
	s_cbranch_vccnz .LBB44_1753
; %bb.1752:
	global_load_i16 v2, v[0:1], off
	s_waitcnt vmcnt(0)
	v_cvt_f32_i32_e32 v43, v2
.LBB44_1753:
	s_mov_b32 s0, 0
.LBB44_1754:
	s_delay_alu instid0(SALU_CYCLE_1)
	s_and_not1_b32 vcc_lo, exec_lo, s0
	s_cbranch_vccnz .LBB44_1760
; %bb.1755:
	v_cmp_gt_i16_e64 s0, s46, 0
	s_delay_alu instid0(VALU_DEP_1)
	s_and_b32 vcc_lo, exec_lo, s0
	s_mov_b32 s0, 0
	s_cbranch_vccz .LBB44_1757
; %bb.1756:
	global_load_i8 v2, v[0:1], off
	s_waitcnt vmcnt(0)
	v_cvt_f32_i32_e32 v43, v2
	s_branch .LBB44_1758
.LBB44_1757:
	s_mov_b32 s0, -1
                                        ; implicit-def: $vgpr43
.LBB44_1758:
	s_delay_alu instid0(SALU_CYCLE_1)
	s_and_not1_b32 vcc_lo, exec_lo, s0
	s_cbranch_vccnz .LBB44_1760
; %bb.1759:
	global_load_u8 v0, v[0:1], off
	s_waitcnt vmcnt(0)
	v_cvt_f32_ubyte0_e32 v43, v0
.LBB44_1760:
	s_branch .LBB44_1831
.LBB44_1761:
	s_trap 2
	s_sendmsg_rtn_b32 s0, sendmsg(MSG_RTN_GET_DOORBELL)
	s_mov_b32 ttmp2, m0
	s_waitcnt lgkmcnt(0)
	s_and_b32 s0, s0, 0x3ff
	s_delay_alu instid0(SALU_CYCLE_1) | instskip(NEXT) | instid1(SALU_CYCLE_1)
	s_bitset1_b32 s0, 10
	s_mov_b32 m0, s0
	s_sendmsg sendmsg(MSG_INTERRUPT)
	s_mov_b32 m0, ttmp2
.LBB44_1762:                            ; =>This Inner Loop Header: Depth=1
	s_sethalt 5
	s_branch .LBB44_1762
.LBB44_1763:
	s_mov_b32 s0, -1
	s_mov_b32 s2, 0
.LBB44_1764:
                                        ; implicit-def: $vgpr43
.LBB44_1765:
	s_and_b32 vcc_lo, exec_lo, s3
	s_cbranch_vccz .LBB44_1769
; %bb.1766:
	v_cmp_eq_u16_e64 s0, s46, 44
	s_delay_alu instid0(VALU_DEP_1)
	s_and_b32 vcc_lo, exec_lo, s0
	s_cbranch_vccz .LBB44_1768
; %bb.1767:
	global_load_u8 v2, v[0:1], off
	s_mov_b32 s0, 0
	s_mov_b32 s2, -1
	s_waitcnt vmcnt(0)
	v_lshlrev_b32_e32 v3, 23, v2
	v_cmp_ne_u32_e32 vcc_lo, 0xff, v2
	s_delay_alu instid0(VALU_DEP_2) | instskip(SKIP_1) | instid1(VALU_DEP_2)
	v_cndmask_b32_e32 v3, 0x7f800001, v3, vcc_lo
	v_cmp_ne_u32_e32 vcc_lo, 0, v2
	v_cndmask_b32_e32 v43, 0x400000, v3, vcc_lo
	s_branch .LBB44_1769
.LBB44_1768:
	s_mov_b32 s0, -1
                                        ; implicit-def: $vgpr43
.LBB44_1769:
	s_mov_b32 s3, 0
.LBB44_1770:
	s_delay_alu instid0(SALU_CYCLE_1)
	s_and_b32 vcc_lo, exec_lo, s3
	s_cbranch_vccz .LBB44_1774
; %bb.1771:
	v_cmp_eq_u16_e64 s0, s46, 29
	s_delay_alu instid0(VALU_DEP_1)
	s_and_b32 vcc_lo, exec_lo, s0
	s_cbranch_vccz .LBB44_1773
; %bb.1772:
	global_load_b64 v[2:3], v[0:1], off
	s_mov_b32 s0, 0
	s_mov_b32 s2, -1
	s_mov_b32 s3, 0
	s_waitcnt vmcnt(0)
	v_clz_i32_u32_e32 v4, v3
	s_delay_alu instid0(VALU_DEP_1) | instskip(NEXT) | instid1(VALU_DEP_1)
	v_min_u32_e32 v4, 32, v4
	v_lshlrev_b64 v[2:3], v4, v[2:3]
	s_delay_alu instid0(VALU_DEP_1) | instskip(NEXT) | instid1(VALU_DEP_1)
	v_min_u32_e32 v2, 1, v2
	v_or_b32_e32 v2, v3, v2
	v_sub_nc_u32_e32 v3, 32, v4
	s_delay_alu instid0(VALU_DEP_2) | instskip(NEXT) | instid1(VALU_DEP_1)
	v_cvt_f32_u32_e32 v2, v2
	v_ldexp_f32 v43, v2, v3
	s_branch .LBB44_1775
.LBB44_1773:
	s_mov_b32 s0, -1
                                        ; implicit-def: $vgpr43
.LBB44_1774:
	s_mov_b32 s3, 0
.LBB44_1775:
	s_delay_alu instid0(SALU_CYCLE_1)
	s_and_b32 vcc_lo, exec_lo, s3
	s_cbranch_vccz .LBB44_1793
; %bb.1776:
	v_cmp_lt_i16_e64 s2, s46, 27
	s_delay_alu instid0(VALU_DEP_1)
	s_and_b32 vcc_lo, exec_lo, s2
	s_cbranch_vccnz .LBB44_1779
; %bb.1777:
	v_cmp_gt_i16_e64 s2, s46, 27
	s_delay_alu instid0(VALU_DEP_1)
	s_and_b32 vcc_lo, exec_lo, s2
	s_cbranch_vccz .LBB44_1780
; %bb.1778:
	global_load_b32 v2, v[0:1], off
	s_mov_b32 s2, 0
	s_waitcnt vmcnt(0)
	v_cvt_f32_u32_e32 v43, v2
	s_branch .LBB44_1781
.LBB44_1779:
	s_mov_b32 s2, -1
                                        ; implicit-def: $vgpr43
	s_branch .LBB44_1784
.LBB44_1780:
	s_mov_b32 s2, -1
                                        ; implicit-def: $vgpr43
.LBB44_1781:
	s_delay_alu instid0(SALU_CYCLE_1)
	s_and_not1_b32 vcc_lo, exec_lo, s2
	s_cbranch_vccnz .LBB44_1783
; %bb.1782:
	global_load_u16 v2, v[0:1], off
	s_waitcnt vmcnt(0)
	v_cvt_f32_u32_e32 v43, v2
.LBB44_1783:
	s_mov_b32 s2, 0
.LBB44_1784:
	s_delay_alu instid0(SALU_CYCLE_1)
	s_and_not1_b32 vcc_lo, exec_lo, s2
	s_cbranch_vccnz .LBB44_1792
; %bb.1785:
	global_load_u8 v2, v[0:1], off
	s_mov_b32 s2, 0
	s_mov_b32 s4, exec_lo
                                        ; implicit-def: $sgpr3
	s_waitcnt vmcnt(0)
	v_cmpx_lt_i16_e32 0x7f, v2
	s_xor_b32 s4, exec_lo, s4
	s_cbranch_execz .LBB44_1805
; %bb.1786:
	s_mov_b32 s2, -1
	s_mov_b32 s5, exec_lo
                                        ; implicit-def: $sgpr3
	v_cmpx_eq_u16_e32 0x80, v2
; %bb.1787:
	s_mov_b32 s3, 0x7f800001
	s_xor_b32 s2, exec_lo, -1
; %bb.1788:
	s_or_b32 exec_lo, exec_lo, s5
	s_delay_alu instid0(SALU_CYCLE_1)
	s_and_b32 s2, s2, exec_lo
	s_or_saveexec_b32 s4, s4
	v_mov_b32_e32 v43, s3
	s_xor_b32 exec_lo, exec_lo, s4
	s_cbranch_execnz .LBB44_1806
.LBB44_1789:
	s_or_b32 exec_lo, exec_lo, s4
	s_and_saveexec_b32 s3, s2
	s_cbranch_execz .LBB44_1791
.LBB44_1790:
	v_and_b32_e32 v3, 0xffff, v2
	v_lshlrev_b32_e32 v2, 24, v2
	s_delay_alu instid0(VALU_DEP_2) | instskip(NEXT) | instid1(VALU_DEP_2)
	v_and_b32_e32 v4, 7, v3
	v_and_b32_e32 v2, 0x80000000, v2
	s_delay_alu instid0(VALU_DEP_2) | instskip(NEXT) | instid1(VALU_DEP_1)
	v_clz_i32_u32_e32 v5, v4
	v_min_u32_e32 v5, 32, v5
	s_delay_alu instid0(VALU_DEP_1) | instskip(SKIP_1) | instid1(VALU_DEP_2)
	v_subrev_nc_u32_e32 v6, 28, v5
	v_sub_nc_u32_e32 v5, 29, v5
	v_lshlrev_b32_e32 v6, v6, v3
	v_bfe_u32 v3, v3, 3, 4
	s_delay_alu instid0(VALU_DEP_2) | instskip(NEXT) | instid1(VALU_DEP_2)
	v_and_b32_e32 v6, 7, v6
	v_cmp_eq_u32_e32 vcc_lo, 0, v3
	s_delay_alu instid0(VALU_DEP_2) | instskip(NEXT) | instid1(VALU_DEP_1)
	v_dual_cndmask_b32 v3, v3, v5 :: v_dual_cndmask_b32 v4, v4, v6
	v_lshl_add_u32 v3, v3, 23, 0x3b800000
	s_delay_alu instid0(VALU_DEP_2) | instskip(NEXT) | instid1(VALU_DEP_1)
	v_lshlrev_b32_e32 v4, 20, v4
	v_or3_b32 v43, v2, v3, v4
.LBB44_1791:
	s_or_b32 exec_lo, exec_lo, s3
.LBB44_1792:
	s_mov_b32 s2, -1
.LBB44_1793:
	s_branch .LBB44_1826
.LBB44_1794:
	v_cmp_gt_i16_e64 s1, s46, 22
	s_delay_alu instid0(VALU_DEP_1)
	s_and_b32 vcc_lo, exec_lo, s1
	s_cbranch_vccz .LBB44_1804
; %bb.1795:
	v_cmp_lt_i16_e64 s1, s46, 24
	s_delay_alu instid0(VALU_DEP_1)
	s_and_b32 vcc_lo, exec_lo, s1
	s_cbranch_vccnz .LBB44_1807
; %bb.1796:
	v_cmp_gt_i16_e64 s1, s46, 24
	s_delay_alu instid0(VALU_DEP_1)
	s_and_b32 vcc_lo, exec_lo, s1
	s_cbranch_vccz .LBB44_1808
; %bb.1797:
	global_load_u8 v2, v[0:1], off
	s_mov_b32 s1, 0
	s_mov_b32 s3, exec_lo
                                        ; implicit-def: $sgpr2
	s_waitcnt vmcnt(0)
	v_cmpx_lt_i16_e32 0x7f, v2
	s_xor_b32 s3, exec_lo, s3
	s_cbranch_execz .LBB44_1820
; %bb.1798:
	s_mov_b32 s1, -1
	s_mov_b32 s4, exec_lo
                                        ; implicit-def: $sgpr2
	v_cmpx_eq_u16_e32 0x80, v2
; %bb.1799:
	s_mov_b32 s2, 0x7f800001
	s_xor_b32 s1, exec_lo, -1
; %bb.1800:
	s_or_b32 exec_lo, exec_lo, s4
	s_delay_alu instid0(SALU_CYCLE_1)
	s_and_b32 s1, s1, exec_lo
	s_or_saveexec_b32 s3, s3
	v_mov_b32_e32 v43, s2
	s_xor_b32 exec_lo, exec_lo, s3
	s_cbranch_execnz .LBB44_1821
.LBB44_1801:
	s_or_b32 exec_lo, exec_lo, s3
	s_and_saveexec_b32 s2, s1
	s_cbranch_execz .LBB44_1803
.LBB44_1802:
	v_and_b32_e32 v3, 0xffff, v2
	v_lshlrev_b32_e32 v2, 24, v2
	s_delay_alu instid0(VALU_DEP_2) | instskip(NEXT) | instid1(VALU_DEP_2)
	v_and_b32_e32 v4, 3, v3
	v_and_b32_e32 v2, 0x80000000, v2
	s_delay_alu instid0(VALU_DEP_2) | instskip(NEXT) | instid1(VALU_DEP_1)
	v_clz_i32_u32_e32 v5, v4
	v_min_u32_e32 v5, 32, v5
	s_delay_alu instid0(VALU_DEP_1) | instskip(SKIP_1) | instid1(VALU_DEP_2)
	v_subrev_nc_u32_e32 v6, 29, v5
	v_sub_nc_u32_e32 v5, 30, v5
	v_lshlrev_b32_e32 v6, v6, v3
	v_bfe_u32 v3, v3, 2, 5
	s_delay_alu instid0(VALU_DEP_2) | instskip(NEXT) | instid1(VALU_DEP_2)
	v_and_b32_e32 v6, 3, v6
	v_cmp_eq_u32_e32 vcc_lo, 0, v3
	s_delay_alu instid0(VALU_DEP_2) | instskip(NEXT) | instid1(VALU_DEP_1)
	v_dual_cndmask_b32 v3, v3, v5 :: v_dual_cndmask_b32 v4, v4, v6
	v_lshl_add_u32 v3, v3, 23, 0x37800000
	s_delay_alu instid0(VALU_DEP_2) | instskip(NEXT) | instid1(VALU_DEP_1)
	v_lshlrev_b32_e32 v4, 21, v4
	v_or3_b32 v43, v2, v3, v4
.LBB44_1803:
	s_or_b32 exec_lo, exec_lo, s2
	s_mov_b32 s1, 0
	s_branch .LBB44_1809
.LBB44_1804:
	s_mov_b32 s1, -1
                                        ; implicit-def: $vgpr43
	s_branch .LBB44_1815
.LBB44_1805:
	s_or_saveexec_b32 s4, s4
	v_mov_b32_e32 v43, s3
	s_xor_b32 exec_lo, exec_lo, s4
	s_cbranch_execz .LBB44_1789
.LBB44_1806:
	v_cmp_ne_u16_e32 vcc_lo, 0, v2
	v_mov_b32_e32 v43, 0
	s_and_not1_b32 s2, s2, exec_lo
	s_and_b32 s3, vcc_lo, exec_lo
	s_delay_alu instid0(SALU_CYCLE_1)
	s_or_b32 s2, s2, s3
	s_or_b32 exec_lo, exec_lo, s4
	s_and_saveexec_b32 s3, s2
	s_cbranch_execnz .LBB44_1790
	s_branch .LBB44_1791
.LBB44_1807:
	s_mov_b32 s1, -1
                                        ; implicit-def: $vgpr43
	s_branch .LBB44_1812
.LBB44_1808:
	s_mov_b32 s1, -1
                                        ; implicit-def: $vgpr43
.LBB44_1809:
	s_delay_alu instid0(SALU_CYCLE_1)
	s_and_b32 vcc_lo, exec_lo, s1
	s_cbranch_vccz .LBB44_1811
; %bb.1810:
	global_load_u8 v2, v[0:1], off
	s_waitcnt vmcnt(0)
	v_lshlrev_b32_e32 v2, 24, v2
	s_delay_alu instid0(VALU_DEP_1) | instskip(NEXT) | instid1(VALU_DEP_1)
	v_and_b32_e32 v3, 0x7f000000, v2
	v_clz_i32_u32_e32 v4, v3
	v_add_nc_u32_e32 v6, 0x1000000, v3
	v_cmp_ne_u32_e32 vcc_lo, 0, v3
	s_delay_alu instid0(VALU_DEP_3) | instskip(NEXT) | instid1(VALU_DEP_1)
	v_min_u32_e32 v4, 32, v4
	v_sub_nc_u32_e64 v4, v4, 4 clamp
	s_delay_alu instid0(VALU_DEP_1) | instskip(SKIP_1) | instid1(VALU_DEP_2)
	v_lshlrev_b32_e32 v5, v4, v3
	v_lshlrev_b32_e32 v4, 23, v4
	v_lshrrev_b32_e32 v5, 4, v5
	s_delay_alu instid0(VALU_DEP_1) | instskip(SKIP_1) | instid1(VALU_DEP_2)
	v_sub_nc_u32_e32 v4, v5, v4
	v_ashrrev_i32_e32 v5, 8, v6
	v_add_nc_u32_e32 v4, 0x3c000000, v4
	s_delay_alu instid0(VALU_DEP_1) | instskip(NEXT) | instid1(VALU_DEP_1)
	v_and_or_b32 v4, 0x7f800000, v5, v4
	v_cndmask_b32_e32 v3, 0, v4, vcc_lo
	s_delay_alu instid0(VALU_DEP_1)
	v_and_or_b32 v43, 0x80000000, v2, v3
.LBB44_1811:
	s_mov_b32 s1, 0
.LBB44_1812:
	s_delay_alu instid0(SALU_CYCLE_1)
	s_and_not1_b32 vcc_lo, exec_lo, s1
	s_cbranch_vccnz .LBB44_1814
; %bb.1813:
	global_load_u8 v2, v[0:1], off
	s_waitcnt vmcnt(0)
	v_lshlrev_b32_e32 v3, 25, v2
	v_lshlrev_b16 v2, 8, v2
	s_delay_alu instid0(VALU_DEP_2) | instskip(NEXT) | instid1(VALU_DEP_2)
	v_lshrrev_b32_e32 v4, 4, v3
	v_and_or_b32 v5, 0x7f00, v2, 0.5
	v_bfe_i32 v2, v2, 0, 16
	s_delay_alu instid0(VALU_DEP_3) | instskip(NEXT) | instid1(VALU_DEP_1)
	v_or_b32_e32 v4, 0x70000000, v4
	v_dual_add_f32 v5, -0.5, v5 :: v_dual_mul_f32 v4, 0x7800000, v4
	v_cmp_gt_u32_e32 vcc_lo, 0x8000000, v3
	s_delay_alu instid0(VALU_DEP_2) | instskip(NEXT) | instid1(VALU_DEP_1)
	v_cndmask_b32_e32 v3, v4, v5, vcc_lo
	v_and_or_b32 v43, 0x80000000, v2, v3
.LBB44_1814:
	s_mov_b32 s1, 0
	s_mov_b32 s2, -1
.LBB44_1815:
	s_and_not1_b32 vcc_lo, exec_lo, s1
	s_mov_b32 s1, 0
	s_cbranch_vccnz .LBB44_1826
; %bb.1816:
	v_cmp_gt_i16_e64 s1, s46, 14
	s_delay_alu instid0(VALU_DEP_1)
	s_and_b32 vcc_lo, exec_lo, s1
	s_cbranch_vccz .LBB44_1819
; %bb.1817:
	v_cmp_eq_u16_e64 s0, s46, 15
	s_delay_alu instid0(VALU_DEP_1)
	s_and_b32 vcc_lo, exec_lo, s0
	s_cbranch_vccz .LBB44_1822
; %bb.1818:
	global_load_u16 v2, v[0:1], off
	s_mov_b32 s0, 0
	s_mov_b32 s2, -1
	s_waitcnt vmcnt(0)
	v_lshlrev_b32_e32 v43, 16, v2
	s_branch .LBB44_1823
.LBB44_1819:
	s_mov_b32 s1, -1
                                        ; implicit-def: $vgpr43
	s_branch .LBB44_1824
.LBB44_1820:
	s_or_saveexec_b32 s3, s3
	v_mov_b32_e32 v43, s2
	s_xor_b32 exec_lo, exec_lo, s3
	s_cbranch_execz .LBB44_1801
.LBB44_1821:
	v_cmp_ne_u16_e32 vcc_lo, 0, v2
	v_mov_b32_e32 v43, 0
	s_and_not1_b32 s1, s1, exec_lo
	s_and_b32 s2, vcc_lo, exec_lo
	s_delay_alu instid0(SALU_CYCLE_1)
	s_or_b32 s1, s1, s2
	s_or_b32 exec_lo, exec_lo, s3
	s_and_saveexec_b32 s2, s1
	s_cbranch_execnz .LBB44_1802
	s_branch .LBB44_1803
.LBB44_1822:
	s_mov_b32 s0, -1
                                        ; implicit-def: $vgpr43
.LBB44_1823:
	s_mov_b32 s1, 0
.LBB44_1824:
	s_delay_alu instid0(SALU_CYCLE_1)
	s_and_b32 vcc_lo, exec_lo, s1
	s_mov_b32 s1, 0
	s_cbranch_vccz .LBB44_1826
; %bb.1825:
	v_cmp_ne_u16_e64 s0, s46, 11
	s_mov_b32 s1, -1
                                        ; implicit-def: $vgpr43
.LBB44_1826:
	s_delay_alu instid0(VALU_DEP_1)
	s_and_b32 vcc_lo, exec_lo, s0
	s_cbranch_vccnz .LBB44_1854
; %bb.1827:
	s_and_not1_b32 vcc_lo, exec_lo, s1
	s_cbranch_vccnz .LBB44_1829
.LBB44_1828:
	global_load_u8 v2, v[0:1], off
	s_mov_b32 s2, -1
	s_waitcnt vmcnt(0)
	v_cmp_ne_u16_e32 vcc_lo, 0, v2
	v_cndmask_b32_e64 v43, 0, 1.0, vcc_lo
.LBB44_1829:
.LBB44_1830:
	s_and_not1_b32 vcc_lo, exec_lo, s2
	s_cbranch_vccnz .LBB44_2654
.LBB44_1831:
	s_bitcmp1_b32 s47, 0
	s_cselect_b32 s0, -1, 0
	s_delay_alu instid0(SALU_CYCLE_1)
	s_xor_b32 s47, s0, -1
	s_mov_b32 s0, -1
	s_and_b32 vcc_lo, exec_lo, s47
	s_cbranch_vccz .LBB44_1833
; %bb.1832:
	s_waitcnt vmcnt(0)
	s_delay_alu instid0(VALU_DEP_1) | instskip(SKIP_3) | instid1(SALU_CYCLE_1)
	v_dual_mov_b32 v0, v40 :: v_dual_mov_b32 v1, v43
	s_getpc_b64 s[0:1]
	s_add_u32 s0, s0, _ZN12_GLOBAL__N_111calc_igammaIfEET_S1_S1_@rel32@lo+4
	s_addc_u32 s1, s1, _ZN12_GLOBAL__N_111calc_igammaIfEET_S1_S1_@rel32@hi+12
	s_swappc_b64 s[30:31], s[0:1]
	v_mov_b32_e32 v42, v0
	s_cbranch_execz .LBB44_1834
	s_branch .LBB44_1835
.LBB44_1833:
                                        ; implicit-def: $vgpr42
	s_and_not1_b32 vcc_lo, exec_lo, s0
	s_cbranch_vccnz .LBB44_1835
.LBB44_1834:
	s_waitcnt vmcnt(0)
	s_delay_alu instid0(VALU_DEP_1) | instskip(SKIP_3) | instid1(SALU_CYCLE_1)
	v_dual_mov_b32 v0, v40 :: v_dual_mov_b32 v1, v43
	s_getpc_b64 s[0:1]
	s_add_u32 s0, s0, _ZN12_GLOBAL__N_112calc_igammacIfEET_S1_S1_@rel32@lo+4
	s_addc_u32 s1, s1, _ZN12_GLOBAL__N_112calc_igammacIfEET_S1_S1_@rel32@hi+12
	s_swappc_b64 s[30:31], s[0:1]
	v_mov_b32_e32 v42, v0
.LBB44_1835:
	s_lshl_b32 s41, s41, 7
	v_cmp_gt_i16_e32 vcc_lo, 11, v47
	v_add_nc_u32_e32 v56, s41, v44
	s_delay_alu instid0(VALU_DEP_1) | instskip(SKIP_1) | instid1(VALU_DEP_1)
	v_ashrrev_i32_e32 v1, 31, v56
	v_add_co_u32 v0, s0, s38, v56
	v_add_co_ci_u32_e64 v1, s0, s39, v1, s0
	s_cbranch_vccnz .LBB44_1842
; %bb.1836:
	v_cmp_lt_i16_e32 vcc_lo, 25, v47
	s_mov_b32 s1, 0
	s_cbranch_vccz .LBB44_1848
; %bb.1837:
	v_cmp_lt_i16_e32 vcc_lo, 28, v47
	s_cbranch_vccz .LBB44_1850
; %bb.1838:
	v_cmp_lt_i16_e32 vcc_lo, 43, v47
	;; [unrolled: 3-line block ×3, first 2 shown]
	s_cbranch_vccz .LBB44_1858
; %bb.1840:
	v_cmp_eq_u16_e32 vcc_lo, 46, v47
	s_mov_b32 s3, 0
	s_cbranch_vccz .LBB44_1901
; %bb.1841:
	global_load_b32 v2, v[0:1], off
	s_mov_b32 s0, 0
	s_mov_b32 s2, -1
	s_waitcnt vmcnt(0)
	v_lshlrev_b32_e32 v40, 16, v2
	s_branch .LBB44_1903
.LBB44_1842:
	s_mov_b32 s2, 0
                                        ; implicit-def: $vgpr40
	s_cbranch_execz .LBB44_1969
; %bb.1843:
	v_cmp_gt_i16_e32 vcc_lo, 5, v47
	s_cbranch_vccnz .LBB44_1849
; %bb.1844:
	v_cmp_gt_i16_e32 vcc_lo, 8, v47
	s_cbranch_vccnz .LBB44_1851
	;; [unrolled: 3-line block ×3, first 2 shown]
; %bb.1846:
	v_cmp_lt_i16_e32 vcc_lo, 9, v47
	s_cbranch_vccz .LBB44_1859
; %bb.1847:
	global_load_b64 v[2:3], v[0:1], off
	s_mov_b32 s0, 0
	s_waitcnt vmcnt(0)
	v_cvt_f32_f64_e32 v40, v[2:3]
	s_branch .LBB44_1860
.LBB44_1848:
	s_mov_b32 s3, -1
	s_mov_b32 s2, 0
	s_mov_b32 s0, 0
                                        ; implicit-def: $vgpr40
	s_branch .LBB44_1932
.LBB44_1849:
	s_mov_b32 s0, -1
                                        ; implicit-def: $vgpr40
	s_branch .LBB44_1878
.LBB44_1850:
	s_mov_b32 s3, -1
	s_mov_b32 s2, 0
	s_mov_b32 s0, 0
                                        ; implicit-def: $vgpr40
	s_branch .LBB44_1913
.LBB44_1851:
	s_mov_b32 s0, -1
                                        ; implicit-def: $vgpr40
	s_branch .LBB44_1866
.LBB44_1852:
	s_mov_b32 s3, -1
	s_mov_b32 s2, 0
	s_mov_b32 s0, 0
                                        ; implicit-def: $vgpr40
	s_branch .LBB44_1908
.LBB44_1853:
	s_mov_b32 s0, -1
                                        ; implicit-def: $vgpr40
	s_branch .LBB44_1863
.LBB44_1854:
	s_cbranch_execnz .LBB44_1899
; %bb.1855:
	s_or_b32 s48, s48, exec_lo
                                        ; implicit-def: $vgpr43
	s_cbranch_execz .LBB44_1828
	s_branch .LBB44_1829
.LBB44_1856:
	s_or_saveexec_b32 s4, s4
                                        ; implicit-def: $sgpr5
	s_delay_alu instid0(SALU_CYCLE_1)
	s_xor_b32 exec_lo, exec_lo, s4
	s_cbranch_execz .LBB44_1493
.LBB44_1857:
	v_add_f32_e64 v1, 0x42800000, |v0|
	s_and_not1_b32 s3, s3, exec_lo
	s_mov_b32 s5, 0
	s_delay_alu instid0(VALU_DEP_1) | instskip(NEXT) | instid1(VALU_DEP_1)
	v_and_b32_e32 v1, 0xff, v1
	v_cmp_ne_u32_e32 vcc_lo, 0, v1
	s_and_b32 s6, vcc_lo, exec_lo
	s_delay_alu instid0(SALU_CYCLE_1)
	s_or_b32 s3, s3, s6
	s_or_b32 exec_lo, exec_lo, s4
	v_mov_b32_e32 v5, s5
	s_and_saveexec_b32 s4, s3
	s_cbranch_execnz .LBB44_1494
	s_branch .LBB44_1495
.LBB44_1858:
	s_mov_b32 s3, -1
	s_mov_b32 s2, 0
	s_mov_b32 s0, 0
	s_branch .LBB44_1902
.LBB44_1859:
	s_mov_b32 s0, -1
                                        ; implicit-def: $vgpr40
.LBB44_1860:
	s_delay_alu instid0(SALU_CYCLE_1)
	s_and_not1_b32 vcc_lo, exec_lo, s0
	s_cbranch_vccnz .LBB44_1862
; %bb.1861:
	global_load_b32 v40, v[0:1], off
.LBB44_1862:
	s_mov_b32 s0, 0
.LBB44_1863:
	s_delay_alu instid0(SALU_CYCLE_1)
	s_and_not1_b32 vcc_lo, exec_lo, s0
	s_cbranch_vccnz .LBB44_1865
; %bb.1864:
	global_load_b32 v2, v[0:1], off
	s_waitcnt vmcnt(0)
	v_cvt_f32_f16_e32 v40, v2
.LBB44_1865:
	s_mov_b32 s0, 0
.LBB44_1866:
	s_delay_alu instid0(SALU_CYCLE_1)
	s_and_not1_b32 vcc_lo, exec_lo, s0
	s_cbranch_vccnz .LBB44_1877
; %bb.1867:
	v_cmp_gt_i16_e32 vcc_lo, 6, v47
	s_cbranch_vccnz .LBB44_1870
; %bb.1868:
	v_cmp_lt_i16_e32 vcc_lo, 6, v47
	s_cbranch_vccz .LBB44_1871
; %bb.1869:
	global_load_b64 v[2:3], v[0:1], off
	s_mov_b32 s0, 0
	s_waitcnt vmcnt(0)
	v_cvt_f32_f64_e32 v40, v[2:3]
	s_branch .LBB44_1872
.LBB44_1870:
	s_mov_b32 s0, -1
                                        ; implicit-def: $vgpr40
	s_branch .LBB44_1875
.LBB44_1871:
	s_mov_b32 s0, -1
                                        ; implicit-def: $vgpr40
.LBB44_1872:
	s_delay_alu instid0(SALU_CYCLE_1)
	s_and_not1_b32 vcc_lo, exec_lo, s0
	s_cbranch_vccnz .LBB44_1874
; %bb.1873:
	global_load_b32 v40, v[0:1], off
.LBB44_1874:
	s_mov_b32 s0, 0
.LBB44_1875:
	s_delay_alu instid0(SALU_CYCLE_1)
	s_and_not1_b32 vcc_lo, exec_lo, s0
	s_cbranch_vccnz .LBB44_1877
; %bb.1876:
	global_load_u16 v2, v[0:1], off
	s_waitcnt vmcnt(0)
	v_cvt_f32_f16_e32 v40, v2
.LBB44_1877:
	s_mov_b32 s0, 0
.LBB44_1878:
	s_delay_alu instid0(SALU_CYCLE_1)
	s_and_not1_b32 vcc_lo, exec_lo, s0
	s_cbranch_vccnz .LBB44_1898
; %bb.1879:
	v_cmp_gt_i16_e32 vcc_lo, 2, v47
	s_cbranch_vccnz .LBB44_1883
; %bb.1880:
	v_cmp_gt_i16_e32 vcc_lo, 3, v47
	s_cbranch_vccnz .LBB44_1884
; %bb.1881:
	v_cmp_lt_i16_e32 vcc_lo, 3, v47
	s_cbranch_vccz .LBB44_1885
; %bb.1882:
	global_load_b64 v[2:3], v[0:1], off
	s_mov_b32 s0, 0
	s_waitcnt vmcnt(0)
	v_xor_b32_e32 v4, v2, v3
	v_cls_i32_e32 v5, v3
	s_delay_alu instid0(VALU_DEP_2) | instskip(NEXT) | instid1(VALU_DEP_2)
	v_ashrrev_i32_e32 v4, 31, v4
	v_add_nc_u32_e32 v5, -1, v5
	s_delay_alu instid0(VALU_DEP_2) | instskip(NEXT) | instid1(VALU_DEP_1)
	v_add_nc_u32_e32 v4, 32, v4
	v_min_u32_e32 v4, v5, v4
	s_delay_alu instid0(VALU_DEP_1) | instskip(NEXT) | instid1(VALU_DEP_1)
	v_lshlrev_b64 v[2:3], v4, v[2:3]
	v_min_u32_e32 v2, 1, v2
	s_delay_alu instid0(VALU_DEP_1) | instskip(SKIP_1) | instid1(VALU_DEP_2)
	v_or_b32_e32 v2, v3, v2
	v_sub_nc_u32_e32 v3, 32, v4
	v_cvt_f32_i32_e32 v2, v2
	s_delay_alu instid0(VALU_DEP_1)
	v_ldexp_f32 v40, v2, v3
	s_branch .LBB44_1886
.LBB44_1883:
	s_mov_b32 s0, -1
                                        ; implicit-def: $vgpr40
	s_branch .LBB44_1892
.LBB44_1884:
	s_mov_b32 s0, -1
                                        ; implicit-def: $vgpr40
	s_branch .LBB44_1889
.LBB44_1885:
	s_mov_b32 s0, -1
                                        ; implicit-def: $vgpr40
.LBB44_1886:
	s_delay_alu instid0(SALU_CYCLE_1)
	s_and_not1_b32 vcc_lo, exec_lo, s0
	s_cbranch_vccnz .LBB44_1888
; %bb.1887:
	global_load_b32 v2, v[0:1], off
	s_waitcnt vmcnt(0)
	v_cvt_f32_i32_e32 v40, v2
.LBB44_1888:
	s_mov_b32 s0, 0
.LBB44_1889:
	s_delay_alu instid0(SALU_CYCLE_1)
	s_and_not1_b32 vcc_lo, exec_lo, s0
	s_cbranch_vccnz .LBB44_1891
; %bb.1890:
	global_load_i16 v2, v[0:1], off
	s_waitcnt vmcnt(0)
	v_cvt_f32_i32_e32 v40, v2
.LBB44_1891:
	s_mov_b32 s0, 0
.LBB44_1892:
	s_delay_alu instid0(SALU_CYCLE_1)
	s_and_not1_b32 vcc_lo, exec_lo, s0
	s_cbranch_vccnz .LBB44_1898
; %bb.1893:
	v_cmp_lt_i16_e32 vcc_lo, 0, v47
	s_mov_b32 s0, 0
	s_cbranch_vccz .LBB44_1895
; %bb.1894:
	global_load_i8 v2, v[0:1], off
	s_waitcnt vmcnt(0)
	v_cvt_f32_i32_e32 v40, v2
	s_branch .LBB44_1896
.LBB44_1895:
	s_mov_b32 s0, -1
                                        ; implicit-def: $vgpr40
.LBB44_1896:
	s_delay_alu instid0(SALU_CYCLE_1)
	s_and_not1_b32 vcc_lo, exec_lo, s0
	s_cbranch_vccnz .LBB44_1898
; %bb.1897:
	global_load_u8 v0, v[0:1], off
	s_waitcnt vmcnt(0)
	v_cvt_f32_ubyte0_e32 v40, v0
.LBB44_1898:
	s_branch .LBB44_1970
.LBB44_1899:
	s_trap 2
	s_sendmsg_rtn_b32 s0, sendmsg(MSG_RTN_GET_DOORBELL)
	s_mov_b32 ttmp2, m0
	s_waitcnt lgkmcnt(0)
	s_and_b32 s0, s0, 0x3ff
	s_delay_alu instid0(SALU_CYCLE_1) | instskip(NEXT) | instid1(SALU_CYCLE_1)
	s_bitset1_b32 s0, 10
	s_mov_b32 m0, s0
	s_sendmsg sendmsg(MSG_INTERRUPT)
	s_mov_b32 m0, ttmp2
.LBB44_1900:                            ; =>This Inner Loop Header: Depth=1
	s_sethalt 5
	s_branch .LBB44_1900
.LBB44_1901:
	s_mov_b32 s0, -1
	s_mov_b32 s2, 0
.LBB44_1902:
                                        ; implicit-def: $vgpr40
.LBB44_1903:
	s_and_b32 vcc_lo, exec_lo, s3
	s_cbranch_vccz .LBB44_1907
; %bb.1904:
	v_cmp_eq_u16_e32 vcc_lo, 44, v47
	s_cbranch_vccz .LBB44_1906
; %bb.1905:
	global_load_u8 v2, v[0:1], off
	s_mov_b32 s0, 0
	s_mov_b32 s2, -1
	s_waitcnt vmcnt(0)
	v_lshlrev_b32_e32 v3, 23, v2
	v_cmp_ne_u32_e32 vcc_lo, 0xff, v2
	s_delay_alu instid0(VALU_DEP_2) | instskip(SKIP_1) | instid1(VALU_DEP_2)
	v_cndmask_b32_e32 v3, 0x7f800001, v3, vcc_lo
	v_cmp_ne_u32_e32 vcc_lo, 0, v2
	v_cndmask_b32_e32 v40, 0x400000, v3, vcc_lo
	s_branch .LBB44_1907
.LBB44_1906:
	s_mov_b32 s0, -1
                                        ; implicit-def: $vgpr40
.LBB44_1907:
	s_mov_b32 s3, 0
.LBB44_1908:
	s_delay_alu instid0(SALU_CYCLE_1)
	s_and_b32 vcc_lo, exec_lo, s3
	s_cbranch_vccz .LBB44_1912
; %bb.1909:
	v_cmp_eq_u16_e32 vcc_lo, 29, v47
	s_cbranch_vccz .LBB44_1911
; %bb.1910:
	global_load_b64 v[2:3], v[0:1], off
	s_mov_b32 s0, 0
	s_mov_b32 s2, -1
	s_mov_b32 s3, 0
	s_waitcnt vmcnt(0)
	v_clz_i32_u32_e32 v4, v3
	s_delay_alu instid0(VALU_DEP_1) | instskip(NEXT) | instid1(VALU_DEP_1)
	v_min_u32_e32 v4, 32, v4
	v_lshlrev_b64 v[2:3], v4, v[2:3]
	s_delay_alu instid0(VALU_DEP_1) | instskip(NEXT) | instid1(VALU_DEP_1)
	v_min_u32_e32 v2, 1, v2
	v_or_b32_e32 v2, v3, v2
	v_sub_nc_u32_e32 v3, 32, v4
	s_delay_alu instid0(VALU_DEP_2) | instskip(NEXT) | instid1(VALU_DEP_1)
	v_cvt_f32_u32_e32 v2, v2
	v_ldexp_f32 v40, v2, v3
	s_branch .LBB44_1913
.LBB44_1911:
	s_mov_b32 s0, -1
                                        ; implicit-def: $vgpr40
.LBB44_1912:
	s_mov_b32 s3, 0
.LBB44_1913:
	s_delay_alu instid0(SALU_CYCLE_1)
	s_and_b32 vcc_lo, exec_lo, s3
	s_cbranch_vccz .LBB44_1931
; %bb.1914:
	v_cmp_gt_i16_e32 vcc_lo, 27, v47
	s_cbranch_vccnz .LBB44_1917
; %bb.1915:
	v_cmp_lt_i16_e32 vcc_lo, 27, v47
	s_cbranch_vccz .LBB44_1918
; %bb.1916:
	global_load_b32 v2, v[0:1], off
	s_mov_b32 s2, 0
	s_waitcnt vmcnt(0)
	v_cvt_f32_u32_e32 v40, v2
	s_branch .LBB44_1919
.LBB44_1917:
	s_mov_b32 s2, -1
                                        ; implicit-def: $vgpr40
	s_branch .LBB44_1922
.LBB44_1918:
	s_mov_b32 s2, -1
                                        ; implicit-def: $vgpr40
.LBB44_1919:
	s_delay_alu instid0(SALU_CYCLE_1)
	s_and_not1_b32 vcc_lo, exec_lo, s2
	s_cbranch_vccnz .LBB44_1921
; %bb.1920:
	global_load_u16 v2, v[0:1], off
	s_waitcnt vmcnt(0)
	v_cvt_f32_u32_e32 v40, v2
.LBB44_1921:
	s_mov_b32 s2, 0
.LBB44_1922:
	s_delay_alu instid0(SALU_CYCLE_1)
	s_and_not1_b32 vcc_lo, exec_lo, s2
	s_cbranch_vccnz .LBB44_1930
; %bb.1923:
	global_load_u8 v2, v[0:1], off
	s_mov_b32 s2, 0
	s_mov_b32 s4, exec_lo
                                        ; implicit-def: $sgpr3
	s_waitcnt vmcnt(0)
	v_cmpx_lt_i16_e32 0x7f, v2
	s_xor_b32 s4, exec_lo, s4
	s_cbranch_execz .LBB44_1944
; %bb.1924:
	s_mov_b32 s2, -1
	s_mov_b32 s5, exec_lo
                                        ; implicit-def: $sgpr3
	v_cmpx_eq_u16_e32 0x80, v2
; %bb.1925:
	s_mov_b32 s3, 0x7f800001
	s_xor_b32 s2, exec_lo, -1
; %bb.1926:
	s_or_b32 exec_lo, exec_lo, s5
	s_delay_alu instid0(SALU_CYCLE_1)
	s_and_b32 s2, s2, exec_lo
	s_or_saveexec_b32 s4, s4
	v_mov_b32_e32 v40, s3
	s_xor_b32 exec_lo, exec_lo, s4
	s_cbranch_execnz .LBB44_1945
.LBB44_1927:
	s_or_b32 exec_lo, exec_lo, s4
	s_and_saveexec_b32 s3, s2
	s_cbranch_execz .LBB44_1929
.LBB44_1928:
	v_and_b32_e32 v3, 0xffff, v2
	v_lshlrev_b32_e32 v2, 24, v2
	s_delay_alu instid0(VALU_DEP_2) | instskip(NEXT) | instid1(VALU_DEP_2)
	v_and_b32_e32 v4, 7, v3
	v_and_b32_e32 v2, 0x80000000, v2
	s_delay_alu instid0(VALU_DEP_2) | instskip(NEXT) | instid1(VALU_DEP_1)
	v_clz_i32_u32_e32 v5, v4
	v_min_u32_e32 v5, 32, v5
	s_delay_alu instid0(VALU_DEP_1) | instskip(SKIP_1) | instid1(VALU_DEP_2)
	v_subrev_nc_u32_e32 v6, 28, v5
	v_sub_nc_u32_e32 v5, 29, v5
	v_lshlrev_b32_e32 v6, v6, v3
	v_bfe_u32 v3, v3, 3, 4
	s_delay_alu instid0(VALU_DEP_2) | instskip(NEXT) | instid1(VALU_DEP_2)
	v_and_b32_e32 v6, 7, v6
	v_cmp_eq_u32_e32 vcc_lo, 0, v3
	s_delay_alu instid0(VALU_DEP_2) | instskip(NEXT) | instid1(VALU_DEP_1)
	v_dual_cndmask_b32 v3, v3, v5 :: v_dual_cndmask_b32 v4, v4, v6
	v_lshl_add_u32 v3, v3, 23, 0x3b800000
	s_delay_alu instid0(VALU_DEP_2) | instskip(NEXT) | instid1(VALU_DEP_1)
	v_lshlrev_b32_e32 v4, 20, v4
	v_or3_b32 v40, v2, v3, v4
.LBB44_1929:
	s_or_b32 exec_lo, exec_lo, s3
.LBB44_1930:
	s_mov_b32 s2, -1
.LBB44_1931:
	s_mov_b32 s3, 0
.LBB44_1932:
	s_delay_alu instid0(SALU_CYCLE_1)
	s_and_b32 vcc_lo, exec_lo, s3
	s_cbranch_vccz .LBB44_1965
; %bb.1933:
	v_cmp_lt_i16_e32 vcc_lo, 22, v47
	s_cbranch_vccz .LBB44_1943
; %bb.1934:
	v_cmp_gt_i16_e32 vcc_lo, 24, v47
	s_cbranch_vccnz .LBB44_1946
; %bb.1935:
	v_cmp_lt_i16_e32 vcc_lo, 24, v47
	s_cbranch_vccz .LBB44_1947
; %bb.1936:
	global_load_u8 v2, v[0:1], off
	s_mov_b32 s3, exec_lo
                                        ; implicit-def: $sgpr2
	s_waitcnt vmcnt(0)
	v_cmpx_lt_i16_e32 0x7f, v2
	s_xor_b32 s3, exec_lo, s3
	s_cbranch_execz .LBB44_1959
; %bb.1937:
	s_mov_b32 s1, -1
	s_mov_b32 s4, exec_lo
                                        ; implicit-def: $sgpr2
	v_cmpx_eq_u16_e32 0x80, v2
; %bb.1938:
	s_mov_b32 s2, 0x7f800001
	s_xor_b32 s1, exec_lo, -1
; %bb.1939:
	s_or_b32 exec_lo, exec_lo, s4
	s_delay_alu instid0(SALU_CYCLE_1)
	s_and_b32 s1, s1, exec_lo
	s_or_saveexec_b32 s3, s3
	v_mov_b32_e32 v40, s2
	s_xor_b32 exec_lo, exec_lo, s3
	s_cbranch_execnz .LBB44_1960
.LBB44_1940:
	s_or_b32 exec_lo, exec_lo, s3
	s_and_saveexec_b32 s2, s1
	s_cbranch_execz .LBB44_1942
.LBB44_1941:
	v_and_b32_e32 v3, 0xffff, v2
	v_lshlrev_b32_e32 v2, 24, v2
	s_delay_alu instid0(VALU_DEP_2) | instskip(NEXT) | instid1(VALU_DEP_2)
	v_and_b32_e32 v4, 3, v3
	v_and_b32_e32 v2, 0x80000000, v2
	s_delay_alu instid0(VALU_DEP_2) | instskip(NEXT) | instid1(VALU_DEP_1)
	v_clz_i32_u32_e32 v5, v4
	v_min_u32_e32 v5, 32, v5
	s_delay_alu instid0(VALU_DEP_1) | instskip(SKIP_1) | instid1(VALU_DEP_2)
	v_subrev_nc_u32_e32 v6, 29, v5
	v_sub_nc_u32_e32 v5, 30, v5
	v_lshlrev_b32_e32 v6, v6, v3
	v_bfe_u32 v3, v3, 2, 5
	s_delay_alu instid0(VALU_DEP_2) | instskip(NEXT) | instid1(VALU_DEP_2)
	v_and_b32_e32 v6, 3, v6
	v_cmp_eq_u32_e32 vcc_lo, 0, v3
	s_delay_alu instid0(VALU_DEP_2) | instskip(NEXT) | instid1(VALU_DEP_1)
	v_dual_cndmask_b32 v3, v3, v5 :: v_dual_cndmask_b32 v4, v4, v6
	v_lshl_add_u32 v3, v3, 23, 0x37800000
	s_delay_alu instid0(VALU_DEP_2) | instskip(NEXT) | instid1(VALU_DEP_1)
	v_lshlrev_b32_e32 v4, 21, v4
	v_or3_b32 v40, v2, v3, v4
.LBB44_1942:
	s_or_b32 exec_lo, exec_lo, s2
	s_mov_b32 s1, 0
	s_branch .LBB44_1948
.LBB44_1943:
	s_mov_b32 s1, -1
                                        ; implicit-def: $vgpr40
	s_branch .LBB44_1954
.LBB44_1944:
	s_or_saveexec_b32 s4, s4
	v_mov_b32_e32 v40, s3
	s_xor_b32 exec_lo, exec_lo, s4
	s_cbranch_execz .LBB44_1927
.LBB44_1945:
	v_cmp_ne_u16_e32 vcc_lo, 0, v2
	v_mov_b32_e32 v40, 0
	s_and_not1_b32 s2, s2, exec_lo
	s_and_b32 s3, vcc_lo, exec_lo
	s_delay_alu instid0(SALU_CYCLE_1)
	s_or_b32 s2, s2, s3
	s_or_b32 exec_lo, exec_lo, s4
	s_and_saveexec_b32 s3, s2
	s_cbranch_execnz .LBB44_1928
	s_branch .LBB44_1929
.LBB44_1946:
	s_mov_b32 s1, -1
                                        ; implicit-def: $vgpr40
	s_branch .LBB44_1951
.LBB44_1947:
	s_mov_b32 s1, -1
                                        ; implicit-def: $vgpr40
.LBB44_1948:
	s_delay_alu instid0(SALU_CYCLE_1)
	s_and_b32 vcc_lo, exec_lo, s1
	s_cbranch_vccz .LBB44_1950
; %bb.1949:
	global_load_u8 v2, v[0:1], off
	s_waitcnt vmcnt(0)
	v_lshlrev_b32_e32 v2, 24, v2
	s_delay_alu instid0(VALU_DEP_1) | instskip(NEXT) | instid1(VALU_DEP_1)
	v_and_b32_e32 v3, 0x7f000000, v2
	v_clz_i32_u32_e32 v4, v3
	v_add_nc_u32_e32 v6, 0x1000000, v3
	v_cmp_ne_u32_e32 vcc_lo, 0, v3
	s_delay_alu instid0(VALU_DEP_3) | instskip(NEXT) | instid1(VALU_DEP_1)
	v_min_u32_e32 v4, 32, v4
	v_sub_nc_u32_e64 v4, v4, 4 clamp
	s_delay_alu instid0(VALU_DEP_1) | instskip(SKIP_1) | instid1(VALU_DEP_2)
	v_lshlrev_b32_e32 v5, v4, v3
	v_lshlrev_b32_e32 v4, 23, v4
	v_lshrrev_b32_e32 v5, 4, v5
	s_delay_alu instid0(VALU_DEP_1) | instskip(SKIP_1) | instid1(VALU_DEP_2)
	v_sub_nc_u32_e32 v4, v5, v4
	v_ashrrev_i32_e32 v5, 8, v6
	v_add_nc_u32_e32 v4, 0x3c000000, v4
	s_delay_alu instid0(VALU_DEP_1) | instskip(NEXT) | instid1(VALU_DEP_1)
	v_and_or_b32 v4, 0x7f800000, v5, v4
	v_cndmask_b32_e32 v3, 0, v4, vcc_lo
	s_delay_alu instid0(VALU_DEP_1)
	v_and_or_b32 v40, 0x80000000, v2, v3
.LBB44_1950:
	s_mov_b32 s1, 0
.LBB44_1951:
	s_delay_alu instid0(SALU_CYCLE_1)
	s_and_not1_b32 vcc_lo, exec_lo, s1
	s_cbranch_vccnz .LBB44_1953
; %bb.1952:
	global_load_u8 v2, v[0:1], off
	s_waitcnt vmcnt(0)
	v_lshlrev_b32_e32 v3, 25, v2
	v_lshlrev_b16 v2, 8, v2
	s_delay_alu instid0(VALU_DEP_2) | instskip(NEXT) | instid1(VALU_DEP_2)
	v_lshrrev_b32_e32 v4, 4, v3
	v_and_or_b32 v5, 0x7f00, v2, 0.5
	v_bfe_i32 v2, v2, 0, 16
	s_delay_alu instid0(VALU_DEP_3) | instskip(NEXT) | instid1(VALU_DEP_1)
	v_or_b32_e32 v4, 0x70000000, v4
	v_dual_add_f32 v5, -0.5, v5 :: v_dual_mul_f32 v4, 0x7800000, v4
	v_cmp_gt_u32_e32 vcc_lo, 0x8000000, v3
	s_delay_alu instid0(VALU_DEP_2) | instskip(NEXT) | instid1(VALU_DEP_1)
	v_cndmask_b32_e32 v3, v4, v5, vcc_lo
	v_and_or_b32 v40, 0x80000000, v2, v3
.LBB44_1953:
	s_mov_b32 s1, 0
	s_mov_b32 s2, -1
.LBB44_1954:
	s_and_not1_b32 vcc_lo, exec_lo, s1
	s_mov_b32 s1, 0
	s_cbranch_vccnz .LBB44_1965
; %bb.1955:
	v_cmp_lt_i16_e32 vcc_lo, 14, v47
	s_cbranch_vccz .LBB44_1958
; %bb.1956:
	v_cmp_eq_u16_e32 vcc_lo, 15, v47
	s_cbranch_vccz .LBB44_1961
; %bb.1957:
	global_load_u16 v2, v[0:1], off
	s_mov_b32 s0, 0
	s_mov_b32 s2, -1
	s_waitcnt vmcnt(0)
	v_lshlrev_b32_e32 v40, 16, v2
	s_branch .LBB44_1963
.LBB44_1958:
	s_mov_b32 s1, -1
	s_branch .LBB44_1962
.LBB44_1959:
	s_or_saveexec_b32 s3, s3
	v_mov_b32_e32 v40, s2
	s_xor_b32 exec_lo, exec_lo, s3
	s_cbranch_execz .LBB44_1940
.LBB44_1960:
	v_cmp_ne_u16_e32 vcc_lo, 0, v2
	v_mov_b32_e32 v40, 0
	s_and_not1_b32 s1, s1, exec_lo
	s_and_b32 s2, vcc_lo, exec_lo
	s_delay_alu instid0(SALU_CYCLE_1)
	s_or_b32 s1, s1, s2
	s_or_b32 exec_lo, exec_lo, s3
	s_and_saveexec_b32 s2, s1
	s_cbranch_execnz .LBB44_1941
	s_branch .LBB44_1942
.LBB44_1961:
	s_mov_b32 s0, -1
.LBB44_1962:
                                        ; implicit-def: $vgpr40
.LBB44_1963:
	s_and_b32 vcc_lo, exec_lo, s1
	s_mov_b32 s1, 0
	s_cbranch_vccz .LBB44_1965
; %bb.1964:
	v_cmp_ne_u16_e64 s0, 11, v47
	s_mov_b32 s1, -1
                                        ; implicit-def: $vgpr40
.LBB44_1965:
	s_delay_alu instid0(VALU_DEP_1)
	s_and_b32 vcc_lo, exec_lo, s0
	s_cbranch_vccnz .LBB44_1981
; %bb.1966:
	s_and_not1_b32 vcc_lo, exec_lo, s1
	s_cbranch_vccnz .LBB44_1968
.LBB44_1967:
	global_load_u8 v2, v[0:1], off
	s_mov_b32 s2, -1
	s_waitcnt vmcnt(0)
	v_cmp_ne_u16_e32 vcc_lo, 0, v2
	v_cndmask_b32_e64 v40, 0, 1.0, vcc_lo
.LBB44_1968:
.LBB44_1969:
	s_and_not1_b32 vcc_lo, exec_lo, s2
	s_cbranch_vccnz .LBB44_2654
.LBB44_1970:
	s_lshl_b32 s42, s42, 7
	v_cmp_lt_i16_e64 s0, s46, 11
	v_add_nc_u32_e32 v46, s42, v46
	s_delay_alu instid0(VALU_DEP_1) | instskip(SKIP_1) | instid1(VALU_DEP_2)
	v_ashrrev_i32_e32 v1, 31, v46
	v_add_co_u32 v0, vcc_lo, s44, v46
	v_add_co_ci_u32_e32 v1, vcc_lo, s45, v1, vcc_lo
	s_and_b32 vcc_lo, exec_lo, s0
	s_cbranch_vccnz .LBB44_1977
; %bb.1971:
	v_cmp_gt_i16_e64 s0, s46, 25
	s_mov_b32 s1, 0
	s_delay_alu instid0(VALU_DEP_1)
	s_and_b32 vcc_lo, exec_lo, s0
	s_cbranch_vccz .LBB44_1978
; %bb.1972:
	v_cmp_gt_i16_e64 s0, s46, 28
	s_delay_alu instid0(VALU_DEP_1)
	s_and_b32 vcc_lo, exec_lo, s0
	s_cbranch_vccz .LBB44_1979
; %bb.1973:
	v_cmp_gt_i16_e64 s0, s46, 43
	;; [unrolled: 5-line block ×3, first 2 shown]
	s_delay_alu instid0(VALU_DEP_1)
	s_and_b32 vcc_lo, exec_lo, s0
	s_cbranch_vccz .LBB44_1983
; %bb.1975:
	v_cmp_eq_u16_e64 s0, s46, 46
	s_mov_b32 s3, 0
	s_delay_alu instid0(VALU_DEP_1)
	s_and_b32 vcc_lo, exec_lo, s0
	s_cbranch_vccz .LBB44_1986
; %bb.1976:
	global_load_b32 v2, v[0:1], off
	s_mov_b32 s0, 0
	s_mov_b32 s2, -1
	s_waitcnt vmcnt(0)
	v_lshlrev_b32_e32 v43, 16, v2
	s_branch .LBB44_1988
.LBB44_1977:
	s_mov_b32 s0, -1
	s_mov_b32 s2, 0
                                        ; implicit-def: $vgpr43
	s_branch .LBB44_2054
.LBB44_1978:
	s_mov_b32 s3, -1
	s_mov_b32 s2, 0
	s_mov_b32 s0, 0
                                        ; implicit-def: $vgpr43
	s_branch .LBB44_2017
.LBB44_1979:
	s_mov_b32 s3, -1
	s_mov_b32 s2, 0
	s_mov_b32 s0, 0
                                        ; implicit-def: $vgpr43
	s_branch .LBB44_1998
.LBB44_1980:
	s_mov_b32 s3, -1
	s_mov_b32 s2, 0
	s_mov_b32 s0, 0
                                        ; implicit-def: $vgpr43
	s_branch .LBB44_1993
.LBB44_1981:
	s_cbranch_execnz .LBB44_1984
; %bb.1982:
	s_or_b32 s48, s48, exec_lo
                                        ; implicit-def: $vgpr40
	s_cbranch_execz .LBB44_1967
	s_branch .LBB44_1968
.LBB44_1983:
	s_mov_b32 s3, -1
	s_mov_b32 s2, 0
	s_mov_b32 s0, 0
	s_branch .LBB44_1987
.LBB44_1984:
	s_trap 2
	s_sendmsg_rtn_b32 s0, sendmsg(MSG_RTN_GET_DOORBELL)
	s_mov_b32 ttmp2, m0
	s_waitcnt lgkmcnt(0)
	s_and_b32 s0, s0, 0x3ff
	s_delay_alu instid0(SALU_CYCLE_1) | instskip(NEXT) | instid1(SALU_CYCLE_1)
	s_bitset1_b32 s0, 10
	s_mov_b32 m0, s0
	s_sendmsg sendmsg(MSG_INTERRUPT)
	s_mov_b32 m0, ttmp2
.LBB44_1985:                            ; =>This Inner Loop Header: Depth=1
	s_sethalt 5
	s_branch .LBB44_1985
.LBB44_1986:
	s_mov_b32 s0, -1
	s_mov_b32 s2, 0
.LBB44_1987:
                                        ; implicit-def: $vgpr43
.LBB44_1988:
	s_and_b32 vcc_lo, exec_lo, s3
	s_cbranch_vccz .LBB44_1992
; %bb.1989:
	v_cmp_eq_u16_e64 s0, s46, 44
	s_delay_alu instid0(VALU_DEP_1)
	s_and_b32 vcc_lo, exec_lo, s0
	s_cbranch_vccz .LBB44_1991
; %bb.1990:
	global_load_u8 v2, v[0:1], off
	s_mov_b32 s0, 0
	s_mov_b32 s2, -1
	s_waitcnt vmcnt(0)
	v_lshlrev_b32_e32 v3, 23, v2
	v_cmp_ne_u32_e32 vcc_lo, 0xff, v2
	s_delay_alu instid0(VALU_DEP_2) | instskip(SKIP_1) | instid1(VALU_DEP_2)
	v_cndmask_b32_e32 v3, 0x7f800001, v3, vcc_lo
	v_cmp_ne_u32_e32 vcc_lo, 0, v2
	v_cndmask_b32_e32 v43, 0x400000, v3, vcc_lo
	s_branch .LBB44_1992
.LBB44_1991:
	s_mov_b32 s0, -1
                                        ; implicit-def: $vgpr43
.LBB44_1992:
	s_mov_b32 s3, 0
.LBB44_1993:
	s_delay_alu instid0(SALU_CYCLE_1)
	s_and_b32 vcc_lo, exec_lo, s3
	s_cbranch_vccz .LBB44_1997
; %bb.1994:
	v_cmp_eq_u16_e64 s0, s46, 29
	s_delay_alu instid0(VALU_DEP_1)
	s_and_b32 vcc_lo, exec_lo, s0
	s_cbranch_vccz .LBB44_1996
; %bb.1995:
	global_load_b64 v[2:3], v[0:1], off
	s_mov_b32 s0, 0
	s_mov_b32 s2, -1
	s_mov_b32 s3, 0
	s_waitcnt vmcnt(0)
	v_clz_i32_u32_e32 v4, v3
	s_delay_alu instid0(VALU_DEP_1) | instskip(NEXT) | instid1(VALU_DEP_1)
	v_min_u32_e32 v4, 32, v4
	v_lshlrev_b64 v[2:3], v4, v[2:3]
	s_delay_alu instid0(VALU_DEP_1) | instskip(NEXT) | instid1(VALU_DEP_1)
	v_min_u32_e32 v2, 1, v2
	v_or_b32_e32 v2, v3, v2
	v_sub_nc_u32_e32 v3, 32, v4
	s_delay_alu instid0(VALU_DEP_2) | instskip(NEXT) | instid1(VALU_DEP_1)
	v_cvt_f32_u32_e32 v2, v2
	v_ldexp_f32 v43, v2, v3
	s_branch .LBB44_1998
.LBB44_1996:
	s_mov_b32 s0, -1
                                        ; implicit-def: $vgpr43
.LBB44_1997:
	s_mov_b32 s3, 0
.LBB44_1998:
	s_delay_alu instid0(SALU_CYCLE_1)
	s_and_b32 vcc_lo, exec_lo, s3
	s_cbranch_vccz .LBB44_2016
; %bb.1999:
	v_cmp_lt_i16_e64 s2, s46, 27
	s_delay_alu instid0(VALU_DEP_1)
	s_and_b32 vcc_lo, exec_lo, s2
	s_cbranch_vccnz .LBB44_2002
; %bb.2000:
	v_cmp_gt_i16_e64 s2, s46, 27
	s_delay_alu instid0(VALU_DEP_1)
	s_and_b32 vcc_lo, exec_lo, s2
	s_cbranch_vccz .LBB44_2003
; %bb.2001:
	global_load_b32 v2, v[0:1], off
	s_mov_b32 s2, 0
	s_waitcnt vmcnt(0)
	v_cvt_f32_u32_e32 v43, v2
	s_branch .LBB44_2004
.LBB44_2002:
	s_mov_b32 s2, -1
                                        ; implicit-def: $vgpr43
	s_branch .LBB44_2007
.LBB44_2003:
	s_mov_b32 s2, -1
                                        ; implicit-def: $vgpr43
.LBB44_2004:
	s_delay_alu instid0(SALU_CYCLE_1)
	s_and_not1_b32 vcc_lo, exec_lo, s2
	s_cbranch_vccnz .LBB44_2006
; %bb.2005:
	global_load_u16 v2, v[0:1], off
	s_waitcnt vmcnt(0)
	v_cvt_f32_u32_e32 v43, v2
.LBB44_2006:
	s_mov_b32 s2, 0
.LBB44_2007:
	s_delay_alu instid0(SALU_CYCLE_1)
	s_and_not1_b32 vcc_lo, exec_lo, s2
	s_cbranch_vccnz .LBB44_2015
; %bb.2008:
	global_load_u8 v2, v[0:1], off
	s_mov_b32 s2, 0
	s_mov_b32 s4, exec_lo
                                        ; implicit-def: $sgpr3
	s_waitcnt vmcnt(0)
	v_cmpx_lt_i16_e32 0x7f, v2
	s_xor_b32 s4, exec_lo, s4
	s_cbranch_execz .LBB44_2029
; %bb.2009:
	s_mov_b32 s2, -1
	s_mov_b32 s5, exec_lo
                                        ; implicit-def: $sgpr3
	v_cmpx_eq_u16_e32 0x80, v2
; %bb.2010:
	s_mov_b32 s3, 0x7f800001
	s_xor_b32 s2, exec_lo, -1
; %bb.2011:
	s_or_b32 exec_lo, exec_lo, s5
	s_delay_alu instid0(SALU_CYCLE_1)
	s_and_b32 s2, s2, exec_lo
	s_or_saveexec_b32 s4, s4
	v_mov_b32_e32 v43, s3
	s_xor_b32 exec_lo, exec_lo, s4
	s_cbranch_execnz .LBB44_2030
.LBB44_2012:
	s_or_b32 exec_lo, exec_lo, s4
	s_and_saveexec_b32 s3, s2
	s_cbranch_execz .LBB44_2014
.LBB44_2013:
	v_and_b32_e32 v3, 0xffff, v2
	v_lshlrev_b32_e32 v2, 24, v2
	s_delay_alu instid0(VALU_DEP_2) | instskip(NEXT) | instid1(VALU_DEP_2)
	v_and_b32_e32 v4, 7, v3
	v_and_b32_e32 v2, 0x80000000, v2
	s_delay_alu instid0(VALU_DEP_2) | instskip(NEXT) | instid1(VALU_DEP_1)
	v_clz_i32_u32_e32 v5, v4
	v_min_u32_e32 v5, 32, v5
	s_delay_alu instid0(VALU_DEP_1) | instskip(SKIP_1) | instid1(VALU_DEP_2)
	v_subrev_nc_u32_e32 v6, 28, v5
	v_sub_nc_u32_e32 v5, 29, v5
	v_lshlrev_b32_e32 v6, v6, v3
	v_bfe_u32 v3, v3, 3, 4
	s_delay_alu instid0(VALU_DEP_2) | instskip(NEXT) | instid1(VALU_DEP_2)
	v_and_b32_e32 v6, 7, v6
	v_cmp_eq_u32_e32 vcc_lo, 0, v3
	s_delay_alu instid0(VALU_DEP_2) | instskip(NEXT) | instid1(VALU_DEP_1)
	v_dual_cndmask_b32 v3, v3, v5 :: v_dual_cndmask_b32 v4, v4, v6
	v_lshl_add_u32 v3, v3, 23, 0x3b800000
	s_delay_alu instid0(VALU_DEP_2) | instskip(NEXT) | instid1(VALU_DEP_1)
	v_lshlrev_b32_e32 v4, 20, v4
	v_or3_b32 v43, v2, v3, v4
.LBB44_2014:
	s_or_b32 exec_lo, exec_lo, s3
.LBB44_2015:
	s_mov_b32 s2, -1
.LBB44_2016:
	s_mov_b32 s3, 0
.LBB44_2017:
	s_delay_alu instid0(SALU_CYCLE_1)
	s_and_b32 vcc_lo, exec_lo, s3
	s_cbranch_vccz .LBB44_2050
; %bb.2018:
	v_cmp_gt_i16_e64 s1, s46, 22
	s_delay_alu instid0(VALU_DEP_1)
	s_and_b32 vcc_lo, exec_lo, s1
	s_cbranch_vccz .LBB44_2028
; %bb.2019:
	v_cmp_lt_i16_e64 s1, s46, 24
	s_delay_alu instid0(VALU_DEP_1)
	s_and_b32 vcc_lo, exec_lo, s1
	s_cbranch_vccnz .LBB44_2031
; %bb.2020:
	v_cmp_gt_i16_e64 s1, s46, 24
	s_delay_alu instid0(VALU_DEP_1)
	s_and_b32 vcc_lo, exec_lo, s1
	s_cbranch_vccz .LBB44_2032
; %bb.2021:
	global_load_u8 v2, v[0:1], off
	s_mov_b32 s1, 0
	s_mov_b32 s3, exec_lo
                                        ; implicit-def: $sgpr2
	s_waitcnt vmcnt(0)
	v_cmpx_lt_i16_e32 0x7f, v2
	s_xor_b32 s3, exec_lo, s3
	s_cbranch_execz .LBB44_2044
; %bb.2022:
	s_mov_b32 s1, -1
	s_mov_b32 s4, exec_lo
                                        ; implicit-def: $sgpr2
	v_cmpx_eq_u16_e32 0x80, v2
; %bb.2023:
	s_mov_b32 s2, 0x7f800001
	s_xor_b32 s1, exec_lo, -1
; %bb.2024:
	s_or_b32 exec_lo, exec_lo, s4
	s_delay_alu instid0(SALU_CYCLE_1)
	s_and_b32 s1, s1, exec_lo
	s_or_saveexec_b32 s3, s3
	v_mov_b32_e32 v43, s2
	s_xor_b32 exec_lo, exec_lo, s3
	s_cbranch_execnz .LBB44_2045
.LBB44_2025:
	s_or_b32 exec_lo, exec_lo, s3
	s_and_saveexec_b32 s2, s1
	s_cbranch_execz .LBB44_2027
.LBB44_2026:
	v_and_b32_e32 v3, 0xffff, v2
	v_lshlrev_b32_e32 v2, 24, v2
	s_delay_alu instid0(VALU_DEP_2) | instskip(NEXT) | instid1(VALU_DEP_2)
	v_and_b32_e32 v4, 3, v3
	v_and_b32_e32 v2, 0x80000000, v2
	s_delay_alu instid0(VALU_DEP_2) | instskip(NEXT) | instid1(VALU_DEP_1)
	v_clz_i32_u32_e32 v5, v4
	v_min_u32_e32 v5, 32, v5
	s_delay_alu instid0(VALU_DEP_1) | instskip(SKIP_1) | instid1(VALU_DEP_2)
	v_subrev_nc_u32_e32 v6, 29, v5
	v_sub_nc_u32_e32 v5, 30, v5
	v_lshlrev_b32_e32 v6, v6, v3
	v_bfe_u32 v3, v3, 2, 5
	s_delay_alu instid0(VALU_DEP_2) | instskip(NEXT) | instid1(VALU_DEP_2)
	v_and_b32_e32 v6, 3, v6
	v_cmp_eq_u32_e32 vcc_lo, 0, v3
	s_delay_alu instid0(VALU_DEP_2) | instskip(NEXT) | instid1(VALU_DEP_1)
	v_dual_cndmask_b32 v3, v3, v5 :: v_dual_cndmask_b32 v4, v4, v6
	v_lshl_add_u32 v3, v3, 23, 0x37800000
	s_delay_alu instid0(VALU_DEP_2) | instskip(NEXT) | instid1(VALU_DEP_1)
	v_lshlrev_b32_e32 v4, 21, v4
	v_or3_b32 v43, v2, v3, v4
.LBB44_2027:
	s_or_b32 exec_lo, exec_lo, s2
	s_mov_b32 s1, 0
	s_branch .LBB44_2033
.LBB44_2028:
	s_mov_b32 s1, -1
                                        ; implicit-def: $vgpr43
	s_branch .LBB44_2039
.LBB44_2029:
	s_or_saveexec_b32 s4, s4
	v_mov_b32_e32 v43, s3
	s_xor_b32 exec_lo, exec_lo, s4
	s_cbranch_execz .LBB44_2012
.LBB44_2030:
	v_cmp_ne_u16_e32 vcc_lo, 0, v2
	v_mov_b32_e32 v43, 0
	s_and_not1_b32 s2, s2, exec_lo
	s_and_b32 s3, vcc_lo, exec_lo
	s_delay_alu instid0(SALU_CYCLE_1)
	s_or_b32 s2, s2, s3
	s_or_b32 exec_lo, exec_lo, s4
	s_and_saveexec_b32 s3, s2
	s_cbranch_execnz .LBB44_2013
	s_branch .LBB44_2014
.LBB44_2031:
	s_mov_b32 s1, -1
                                        ; implicit-def: $vgpr43
	s_branch .LBB44_2036
.LBB44_2032:
	s_mov_b32 s1, -1
                                        ; implicit-def: $vgpr43
.LBB44_2033:
	s_delay_alu instid0(SALU_CYCLE_1)
	s_and_b32 vcc_lo, exec_lo, s1
	s_cbranch_vccz .LBB44_2035
; %bb.2034:
	global_load_u8 v2, v[0:1], off
	s_waitcnt vmcnt(0)
	v_lshlrev_b32_e32 v2, 24, v2
	s_delay_alu instid0(VALU_DEP_1) | instskip(NEXT) | instid1(VALU_DEP_1)
	v_and_b32_e32 v3, 0x7f000000, v2
	v_clz_i32_u32_e32 v4, v3
	v_add_nc_u32_e32 v6, 0x1000000, v3
	v_cmp_ne_u32_e32 vcc_lo, 0, v3
	s_delay_alu instid0(VALU_DEP_3) | instskip(NEXT) | instid1(VALU_DEP_1)
	v_min_u32_e32 v4, 32, v4
	v_sub_nc_u32_e64 v4, v4, 4 clamp
	s_delay_alu instid0(VALU_DEP_1) | instskip(SKIP_1) | instid1(VALU_DEP_2)
	v_lshlrev_b32_e32 v5, v4, v3
	v_lshlrev_b32_e32 v4, 23, v4
	v_lshrrev_b32_e32 v5, 4, v5
	s_delay_alu instid0(VALU_DEP_1) | instskip(SKIP_1) | instid1(VALU_DEP_2)
	v_sub_nc_u32_e32 v4, v5, v4
	v_ashrrev_i32_e32 v5, 8, v6
	v_add_nc_u32_e32 v4, 0x3c000000, v4
	s_delay_alu instid0(VALU_DEP_1) | instskip(NEXT) | instid1(VALU_DEP_1)
	v_and_or_b32 v4, 0x7f800000, v5, v4
	v_cndmask_b32_e32 v3, 0, v4, vcc_lo
	s_delay_alu instid0(VALU_DEP_1)
	v_and_or_b32 v43, 0x80000000, v2, v3
.LBB44_2035:
	s_mov_b32 s1, 0
.LBB44_2036:
	s_delay_alu instid0(SALU_CYCLE_1)
	s_and_not1_b32 vcc_lo, exec_lo, s1
	s_cbranch_vccnz .LBB44_2038
; %bb.2037:
	global_load_u8 v2, v[0:1], off
	s_waitcnt vmcnt(0)
	v_lshlrev_b32_e32 v3, 25, v2
	v_lshlrev_b16 v2, 8, v2
	s_delay_alu instid0(VALU_DEP_2) | instskip(NEXT) | instid1(VALU_DEP_2)
	v_lshrrev_b32_e32 v4, 4, v3
	v_and_or_b32 v5, 0x7f00, v2, 0.5
	v_bfe_i32 v2, v2, 0, 16
	s_delay_alu instid0(VALU_DEP_3) | instskip(NEXT) | instid1(VALU_DEP_1)
	v_or_b32_e32 v4, 0x70000000, v4
	v_dual_add_f32 v5, -0.5, v5 :: v_dual_mul_f32 v4, 0x7800000, v4
	v_cmp_gt_u32_e32 vcc_lo, 0x8000000, v3
	s_delay_alu instid0(VALU_DEP_2) | instskip(NEXT) | instid1(VALU_DEP_1)
	v_cndmask_b32_e32 v3, v4, v5, vcc_lo
	v_and_or_b32 v43, 0x80000000, v2, v3
.LBB44_2038:
	s_mov_b32 s1, 0
	s_mov_b32 s2, -1
.LBB44_2039:
	s_and_not1_b32 vcc_lo, exec_lo, s1
	s_mov_b32 s1, 0
	s_cbranch_vccnz .LBB44_2050
; %bb.2040:
	v_cmp_gt_i16_e64 s1, s46, 14
	s_delay_alu instid0(VALU_DEP_1)
	s_and_b32 vcc_lo, exec_lo, s1
	s_cbranch_vccz .LBB44_2043
; %bb.2041:
	v_cmp_eq_u16_e64 s0, s46, 15
	s_delay_alu instid0(VALU_DEP_1)
	s_and_b32 vcc_lo, exec_lo, s0
	s_cbranch_vccz .LBB44_2046
; %bb.2042:
	global_load_u16 v2, v[0:1], off
	s_mov_b32 s0, 0
	s_mov_b32 s2, -1
	s_waitcnt vmcnt(0)
	v_lshlrev_b32_e32 v43, 16, v2
	s_branch .LBB44_2047
.LBB44_2043:
	s_mov_b32 s1, -1
                                        ; implicit-def: $vgpr43
	s_branch .LBB44_2048
.LBB44_2044:
	s_or_saveexec_b32 s3, s3
	v_mov_b32_e32 v43, s2
	s_xor_b32 exec_lo, exec_lo, s3
	s_cbranch_execz .LBB44_2025
.LBB44_2045:
	v_cmp_ne_u16_e32 vcc_lo, 0, v2
	v_mov_b32_e32 v43, 0
	s_and_not1_b32 s1, s1, exec_lo
	s_and_b32 s2, vcc_lo, exec_lo
	s_delay_alu instid0(SALU_CYCLE_1)
	s_or_b32 s1, s1, s2
	s_or_b32 exec_lo, exec_lo, s3
	s_and_saveexec_b32 s2, s1
	s_cbranch_execnz .LBB44_2026
	s_branch .LBB44_2027
.LBB44_2046:
	s_mov_b32 s0, -1
                                        ; implicit-def: $vgpr43
.LBB44_2047:
	s_mov_b32 s1, 0
.LBB44_2048:
	s_delay_alu instid0(SALU_CYCLE_1)
	s_and_b32 vcc_lo, exec_lo, s1
	s_mov_b32 s1, 0
	s_cbranch_vccz .LBB44_2050
; %bb.2049:
	v_cmp_ne_u16_e64 s0, s46, 11
	s_mov_b32 s1, -1
                                        ; implicit-def: $vgpr43
.LBB44_2050:
	s_delay_alu instid0(VALU_DEP_1)
	s_and_b32 vcc_lo, exec_lo, s0
	s_cbranch_vccnz .LBB44_2120
; %bb.2051:
	s_and_not1_b32 vcc_lo, exec_lo, s1
	s_cbranch_vccnz .LBB44_2053
.LBB44_2052:
	global_load_u8 v2, v[0:1], off
	s_mov_b32 s2, -1
	s_waitcnt vmcnt(0)
	v_cmp_ne_u16_e32 vcc_lo, 0, v2
	v_cndmask_b32_e64 v43, 0, 1.0, vcc_lo
.LBB44_2053:
	s_mov_b32 s0, 0
.LBB44_2054:
	s_delay_alu instid0(SALU_CYCLE_1)
	s_and_b32 vcc_lo, exec_lo, s0
	s_cbranch_vccz .LBB44_2103
; %bb.2055:
	v_cmp_lt_i16_e64 s0, s46, 5
	s_delay_alu instid0(VALU_DEP_1)
	s_and_b32 vcc_lo, exec_lo, s0
	s_cbranch_vccnz .LBB44_2060
; %bb.2056:
	v_cmp_lt_i16_e64 s0, s46, 8
	s_delay_alu instid0(VALU_DEP_1)
	s_and_b32 vcc_lo, exec_lo, s0
	s_cbranch_vccnz .LBB44_2061
	;; [unrolled: 5-line block ×3, first 2 shown]
; %bb.2058:
	v_cmp_gt_i16_e64 s0, s46, 9
	s_delay_alu instid0(VALU_DEP_1)
	s_and_b32 vcc_lo, exec_lo, s0
	s_cbranch_vccz .LBB44_2063
; %bb.2059:
	global_load_b64 v[2:3], v[0:1], off
	s_mov_b32 s0, 0
	s_waitcnt vmcnt(0)
	v_cvt_f32_f64_e32 v43, v[2:3]
	s_branch .LBB44_2064
.LBB44_2060:
	s_mov_b32 s0, -1
                                        ; implicit-def: $vgpr43
	s_branch .LBB44_2082
.LBB44_2061:
	s_mov_b32 s0, -1
                                        ; implicit-def: $vgpr43
	s_branch .LBB44_2070
.LBB44_2062:
	s_mov_b32 s0, -1
                                        ; implicit-def: $vgpr43
	s_branch .LBB44_2067
.LBB44_2063:
	s_mov_b32 s0, -1
                                        ; implicit-def: $vgpr43
.LBB44_2064:
	s_delay_alu instid0(SALU_CYCLE_1)
	s_and_not1_b32 vcc_lo, exec_lo, s0
	s_cbranch_vccnz .LBB44_2066
; %bb.2065:
	global_load_b32 v43, v[0:1], off
.LBB44_2066:
	s_mov_b32 s0, 0
.LBB44_2067:
	s_delay_alu instid0(SALU_CYCLE_1)
	s_and_not1_b32 vcc_lo, exec_lo, s0
	s_cbranch_vccnz .LBB44_2069
; %bb.2068:
	global_load_b32 v2, v[0:1], off
	s_waitcnt vmcnt(0)
	v_cvt_f32_f16_e32 v43, v2
.LBB44_2069:
	s_mov_b32 s0, 0
.LBB44_2070:
	s_delay_alu instid0(SALU_CYCLE_1)
	s_and_not1_b32 vcc_lo, exec_lo, s0
	s_cbranch_vccnz .LBB44_2081
; %bb.2071:
	v_cmp_lt_i16_e64 s0, s46, 6
	s_delay_alu instid0(VALU_DEP_1)
	s_and_b32 vcc_lo, exec_lo, s0
	s_cbranch_vccnz .LBB44_2074
; %bb.2072:
	v_cmp_gt_i16_e64 s0, s46, 6
	s_delay_alu instid0(VALU_DEP_1)
	s_and_b32 vcc_lo, exec_lo, s0
	s_cbranch_vccz .LBB44_2075
; %bb.2073:
	global_load_b64 v[2:3], v[0:1], off
	s_mov_b32 s0, 0
	s_waitcnt vmcnt(0)
	v_cvt_f32_f64_e32 v43, v[2:3]
	s_branch .LBB44_2076
.LBB44_2074:
	s_mov_b32 s0, -1
                                        ; implicit-def: $vgpr43
	s_branch .LBB44_2079
.LBB44_2075:
	s_mov_b32 s0, -1
                                        ; implicit-def: $vgpr43
.LBB44_2076:
	s_delay_alu instid0(SALU_CYCLE_1)
	s_and_not1_b32 vcc_lo, exec_lo, s0
	s_cbranch_vccnz .LBB44_2078
; %bb.2077:
	global_load_b32 v43, v[0:1], off
.LBB44_2078:
	s_mov_b32 s0, 0
.LBB44_2079:
	s_delay_alu instid0(SALU_CYCLE_1)
	s_and_not1_b32 vcc_lo, exec_lo, s0
	s_cbranch_vccnz .LBB44_2081
; %bb.2080:
	global_load_u16 v2, v[0:1], off
	s_waitcnt vmcnt(0)
	v_cvt_f32_f16_e32 v43, v2
.LBB44_2081:
	s_mov_b32 s0, 0
.LBB44_2082:
	s_delay_alu instid0(SALU_CYCLE_1)
	s_and_not1_b32 vcc_lo, exec_lo, s0
	s_cbranch_vccnz .LBB44_2102
; %bb.2083:
	v_cmp_lt_i16_e64 s0, s46, 2
	s_delay_alu instid0(VALU_DEP_1)
	s_and_b32 vcc_lo, exec_lo, s0
	s_cbranch_vccnz .LBB44_2087
; %bb.2084:
	v_cmp_lt_i16_e64 s0, s46, 3
	s_delay_alu instid0(VALU_DEP_1)
	s_and_b32 vcc_lo, exec_lo, s0
	s_cbranch_vccnz .LBB44_2088
; %bb.2085:
	v_cmp_gt_i16_e64 s0, s46, 3
	s_delay_alu instid0(VALU_DEP_1)
	s_and_b32 vcc_lo, exec_lo, s0
	s_cbranch_vccz .LBB44_2089
; %bb.2086:
	global_load_b64 v[2:3], v[0:1], off
	s_mov_b32 s0, 0
	s_waitcnt vmcnt(0)
	v_xor_b32_e32 v4, v2, v3
	v_cls_i32_e32 v5, v3
	s_delay_alu instid0(VALU_DEP_2) | instskip(NEXT) | instid1(VALU_DEP_2)
	v_ashrrev_i32_e32 v4, 31, v4
	v_add_nc_u32_e32 v5, -1, v5
	s_delay_alu instid0(VALU_DEP_2) | instskip(NEXT) | instid1(VALU_DEP_1)
	v_add_nc_u32_e32 v4, 32, v4
	v_min_u32_e32 v4, v5, v4
	s_delay_alu instid0(VALU_DEP_1) | instskip(NEXT) | instid1(VALU_DEP_1)
	v_lshlrev_b64 v[2:3], v4, v[2:3]
	v_min_u32_e32 v2, 1, v2
	s_delay_alu instid0(VALU_DEP_1) | instskip(SKIP_1) | instid1(VALU_DEP_2)
	v_or_b32_e32 v2, v3, v2
	v_sub_nc_u32_e32 v3, 32, v4
	v_cvt_f32_i32_e32 v2, v2
	s_delay_alu instid0(VALU_DEP_1)
	v_ldexp_f32 v43, v2, v3
	s_branch .LBB44_2090
.LBB44_2087:
	s_mov_b32 s0, -1
                                        ; implicit-def: $vgpr43
	s_branch .LBB44_2096
.LBB44_2088:
	s_mov_b32 s0, -1
                                        ; implicit-def: $vgpr43
	s_branch .LBB44_2093
.LBB44_2089:
	s_mov_b32 s0, -1
                                        ; implicit-def: $vgpr43
.LBB44_2090:
	s_delay_alu instid0(SALU_CYCLE_1)
	s_and_not1_b32 vcc_lo, exec_lo, s0
	s_cbranch_vccnz .LBB44_2092
; %bb.2091:
	global_load_b32 v2, v[0:1], off
	s_waitcnt vmcnt(0)
	v_cvt_f32_i32_e32 v43, v2
.LBB44_2092:
	s_mov_b32 s0, 0
.LBB44_2093:
	s_delay_alu instid0(SALU_CYCLE_1)
	s_and_not1_b32 vcc_lo, exec_lo, s0
	s_cbranch_vccnz .LBB44_2095
; %bb.2094:
	global_load_i16 v2, v[0:1], off
	s_waitcnt vmcnt(0)
	v_cvt_f32_i32_e32 v43, v2
.LBB44_2095:
	s_mov_b32 s0, 0
.LBB44_2096:
	s_delay_alu instid0(SALU_CYCLE_1)
	s_and_not1_b32 vcc_lo, exec_lo, s0
	s_cbranch_vccnz .LBB44_2102
; %bb.2097:
	v_cmp_gt_i16_e64 s0, s46, 0
	s_delay_alu instid0(VALU_DEP_1)
	s_and_b32 vcc_lo, exec_lo, s0
	s_mov_b32 s0, 0
	s_cbranch_vccz .LBB44_2099
; %bb.2098:
	global_load_i8 v2, v[0:1], off
	s_waitcnt vmcnt(0)
	v_cvt_f32_i32_e32 v43, v2
	s_branch .LBB44_2100
.LBB44_2099:
	s_mov_b32 s0, -1
                                        ; implicit-def: $vgpr43
.LBB44_2100:
	s_delay_alu instid0(SALU_CYCLE_1)
	s_and_not1_b32 vcc_lo, exec_lo, s0
	s_cbranch_vccnz .LBB44_2102
; %bb.2101:
	global_load_u8 v0, v[0:1], off
	s_waitcnt vmcnt(0)
	v_cvt_f32_ubyte0_e32 v43, v0
.LBB44_2102:
	s_mov_b32 s2, -1
.LBB44_2103:
	s_delay_alu instid0(SALU_CYCLE_1)
	s_and_not1_b32 vcc_lo, exec_lo, s2
	s_cbranch_vccnz .LBB44_2654
; %bb.2104:
	s_and_b32 vcc_lo, exec_lo, s47
	s_cbranch_vccz .LBB44_2106
; %bb.2105:
	s_waitcnt vmcnt(0)
	s_delay_alu instid0(VALU_DEP_1) | instskip(SKIP_3) | instid1(SALU_CYCLE_1)
	v_dual_mov_b32 v0, v40 :: v_dual_mov_b32 v1, v43
	s_getpc_b64 s[0:1]
	s_add_u32 s0, s0, _ZN12_GLOBAL__N_111calc_igammaIfEET_S1_S1_@rel32@lo+4
	s_addc_u32 s1, s1, _ZN12_GLOBAL__N_111calc_igammaIfEET_S1_S1_@rel32@hi+12
	s_swappc_b64 s[30:31], s[0:1]
	v_mov_b32_e32 v44, v0
	s_mov_b32 s0, 0
	s_branch .LBB44_2107
.LBB44_2106:
	s_mov_b32 s0, -1
                                        ; implicit-def: $vgpr44
.LBB44_2107:
	s_delay_alu instid0(SALU_CYCLE_1)
	s_and_not1_b32 vcc_lo, exec_lo, s0
	s_cbranch_vccnz .LBB44_2109
; %bb.2108:
	s_waitcnt vmcnt(0)
	s_delay_alu instid0(VALU_DEP_1) | instskip(SKIP_3) | instid1(SALU_CYCLE_1)
	v_dual_mov_b32 v0, v40 :: v_dual_mov_b32 v1, v43
	s_getpc_b64 s[0:1]
	s_add_u32 s0, s0, _ZN12_GLOBAL__N_112calc_igammacIfEET_S1_S1_@rel32@lo+4
	s_addc_u32 s1, s1, _ZN12_GLOBAL__N_112calc_igammacIfEET_S1_S1_@rel32@hi+12
	s_swappc_b64 s[30:31], s[0:1]
	v_mov_b32_e32 v44, v0
.LBB44_2109:
	v_add_nc_u32_e32 v56, s41, v56
	v_cmp_gt_i16_e32 vcc_lo, 11, v47
	s_delay_alu instid0(VALU_DEP_2) | instskip(SKIP_1) | instid1(VALU_DEP_1)
	v_ashrrev_i32_e32 v1, 31, v56
	v_add_co_u32 v0, s0, s38, v56
	v_add_co_ci_u32_e64 v1, s0, s39, v1, s0
	s_cbranch_vccnz .LBB44_2116
; %bb.2110:
	v_cmp_lt_i16_e32 vcc_lo, 25, v47
	s_mov_b32 s1, 0
	s_cbranch_vccz .LBB44_2117
; %bb.2111:
	v_cmp_lt_i16_e32 vcc_lo, 28, v47
	s_cbranch_vccz .LBB44_2118
; %bb.2112:
	v_cmp_lt_i16_e32 vcc_lo, 43, v47
	;; [unrolled: 3-line block ×3, first 2 shown]
	s_cbranch_vccz .LBB44_2122
; %bb.2114:
	v_cmp_eq_u16_e32 vcc_lo, 46, v47
	s_mov_b32 s3, 0
	s_cbranch_vccz .LBB44_2125
; %bb.2115:
	global_load_b32 v2, v[0:1], off
	s_mov_b32 s0, 0
	s_mov_b32 s2, -1
	s_waitcnt vmcnt(0)
	v_lshlrev_b32_e32 v40, 16, v2
	s_branch .LBB44_2127
.LBB44_2116:
	s_mov_b32 s0, -1
	s_mov_b32 s2, 0
                                        ; implicit-def: $vgpr40
	s_branch .LBB44_2193
.LBB44_2117:
	s_mov_b32 s3, -1
	s_mov_b32 s2, 0
	s_mov_b32 s0, 0
                                        ; implicit-def: $vgpr40
	s_branch .LBB44_2156
.LBB44_2118:
	s_mov_b32 s3, -1
	s_mov_b32 s2, 0
	s_mov_b32 s0, 0
                                        ; implicit-def: $vgpr40
	s_branch .LBB44_2137
.LBB44_2119:
	s_mov_b32 s3, -1
	s_mov_b32 s2, 0
	s_mov_b32 s0, 0
                                        ; implicit-def: $vgpr40
	s_branch .LBB44_2132
.LBB44_2120:
	s_cbranch_execnz .LBB44_2123
; %bb.2121:
	s_or_b32 s48, s48, exec_lo
                                        ; implicit-def: $vgpr43
	s_cbranch_execz .LBB44_2052
	s_branch .LBB44_2053
.LBB44_2122:
	s_mov_b32 s3, -1
	s_mov_b32 s2, 0
	s_mov_b32 s0, 0
	s_branch .LBB44_2126
.LBB44_2123:
	s_trap 2
	s_sendmsg_rtn_b32 s0, sendmsg(MSG_RTN_GET_DOORBELL)
	s_mov_b32 ttmp2, m0
	s_waitcnt lgkmcnt(0)
	s_and_b32 s0, s0, 0x3ff
	s_delay_alu instid0(SALU_CYCLE_1) | instskip(NEXT) | instid1(SALU_CYCLE_1)
	s_bitset1_b32 s0, 10
	s_mov_b32 m0, s0
	s_sendmsg sendmsg(MSG_INTERRUPT)
	s_mov_b32 m0, ttmp2
.LBB44_2124:                            ; =>This Inner Loop Header: Depth=1
	s_sethalt 5
	s_branch .LBB44_2124
.LBB44_2125:
	s_mov_b32 s0, -1
	s_mov_b32 s2, 0
.LBB44_2126:
                                        ; implicit-def: $vgpr40
.LBB44_2127:
	s_and_b32 vcc_lo, exec_lo, s3
	s_cbranch_vccz .LBB44_2131
; %bb.2128:
	v_cmp_eq_u16_e32 vcc_lo, 44, v47
	s_cbranch_vccz .LBB44_2130
; %bb.2129:
	global_load_u8 v2, v[0:1], off
	s_mov_b32 s0, 0
	s_mov_b32 s2, -1
	s_waitcnt vmcnt(0)
	v_lshlrev_b32_e32 v3, 23, v2
	v_cmp_ne_u32_e32 vcc_lo, 0xff, v2
	s_delay_alu instid0(VALU_DEP_2) | instskip(SKIP_1) | instid1(VALU_DEP_2)
	v_cndmask_b32_e32 v3, 0x7f800001, v3, vcc_lo
	v_cmp_ne_u32_e32 vcc_lo, 0, v2
	v_cndmask_b32_e32 v40, 0x400000, v3, vcc_lo
	s_branch .LBB44_2131
.LBB44_2130:
	s_mov_b32 s0, -1
                                        ; implicit-def: $vgpr40
.LBB44_2131:
	s_mov_b32 s3, 0
.LBB44_2132:
	s_delay_alu instid0(SALU_CYCLE_1)
	s_and_b32 vcc_lo, exec_lo, s3
	s_cbranch_vccz .LBB44_2136
; %bb.2133:
	v_cmp_eq_u16_e32 vcc_lo, 29, v47
	s_cbranch_vccz .LBB44_2135
; %bb.2134:
	global_load_b64 v[2:3], v[0:1], off
	s_mov_b32 s0, 0
	s_mov_b32 s2, -1
	s_mov_b32 s3, 0
	s_waitcnt vmcnt(0)
	v_clz_i32_u32_e32 v4, v3
	s_delay_alu instid0(VALU_DEP_1) | instskip(NEXT) | instid1(VALU_DEP_1)
	v_min_u32_e32 v4, 32, v4
	v_lshlrev_b64 v[2:3], v4, v[2:3]
	s_delay_alu instid0(VALU_DEP_1) | instskip(NEXT) | instid1(VALU_DEP_1)
	v_min_u32_e32 v2, 1, v2
	v_or_b32_e32 v2, v3, v2
	v_sub_nc_u32_e32 v3, 32, v4
	s_delay_alu instid0(VALU_DEP_2) | instskip(NEXT) | instid1(VALU_DEP_1)
	v_cvt_f32_u32_e32 v2, v2
	v_ldexp_f32 v40, v2, v3
	s_branch .LBB44_2137
.LBB44_2135:
	s_mov_b32 s0, -1
                                        ; implicit-def: $vgpr40
.LBB44_2136:
	s_mov_b32 s3, 0
.LBB44_2137:
	s_delay_alu instid0(SALU_CYCLE_1)
	s_and_b32 vcc_lo, exec_lo, s3
	s_cbranch_vccz .LBB44_2155
; %bb.2138:
	v_cmp_gt_i16_e32 vcc_lo, 27, v47
	s_cbranch_vccnz .LBB44_2141
; %bb.2139:
	v_cmp_lt_i16_e32 vcc_lo, 27, v47
	s_cbranch_vccz .LBB44_2142
; %bb.2140:
	global_load_b32 v2, v[0:1], off
	s_mov_b32 s2, 0
	s_waitcnt vmcnt(0)
	v_cvt_f32_u32_e32 v40, v2
	s_branch .LBB44_2143
.LBB44_2141:
	s_mov_b32 s2, -1
                                        ; implicit-def: $vgpr40
	s_branch .LBB44_2146
.LBB44_2142:
	s_mov_b32 s2, -1
                                        ; implicit-def: $vgpr40
.LBB44_2143:
	s_delay_alu instid0(SALU_CYCLE_1)
	s_and_not1_b32 vcc_lo, exec_lo, s2
	s_cbranch_vccnz .LBB44_2145
; %bb.2144:
	global_load_u16 v2, v[0:1], off
	s_waitcnt vmcnt(0)
	v_cvt_f32_u32_e32 v40, v2
.LBB44_2145:
	s_mov_b32 s2, 0
.LBB44_2146:
	s_delay_alu instid0(SALU_CYCLE_1)
	s_and_not1_b32 vcc_lo, exec_lo, s2
	s_cbranch_vccnz .LBB44_2154
; %bb.2147:
	global_load_u8 v2, v[0:1], off
	s_mov_b32 s2, 0
	s_mov_b32 s4, exec_lo
                                        ; implicit-def: $sgpr3
	s_waitcnt vmcnt(0)
	v_cmpx_lt_i16_e32 0x7f, v2
	s_xor_b32 s4, exec_lo, s4
	s_cbranch_execz .LBB44_2168
; %bb.2148:
	s_mov_b32 s2, -1
	s_mov_b32 s5, exec_lo
                                        ; implicit-def: $sgpr3
	v_cmpx_eq_u16_e32 0x80, v2
; %bb.2149:
	s_mov_b32 s3, 0x7f800001
	s_xor_b32 s2, exec_lo, -1
; %bb.2150:
	s_or_b32 exec_lo, exec_lo, s5
	s_delay_alu instid0(SALU_CYCLE_1)
	s_and_b32 s2, s2, exec_lo
	s_or_saveexec_b32 s4, s4
	v_mov_b32_e32 v40, s3
	s_xor_b32 exec_lo, exec_lo, s4
	s_cbranch_execnz .LBB44_2169
.LBB44_2151:
	s_or_b32 exec_lo, exec_lo, s4
	s_and_saveexec_b32 s3, s2
	s_cbranch_execz .LBB44_2153
.LBB44_2152:
	v_and_b32_e32 v3, 0xffff, v2
	v_lshlrev_b32_e32 v2, 24, v2
	s_delay_alu instid0(VALU_DEP_2) | instskip(NEXT) | instid1(VALU_DEP_2)
	v_and_b32_e32 v4, 7, v3
	v_and_b32_e32 v2, 0x80000000, v2
	s_delay_alu instid0(VALU_DEP_2) | instskip(NEXT) | instid1(VALU_DEP_1)
	v_clz_i32_u32_e32 v5, v4
	v_min_u32_e32 v5, 32, v5
	s_delay_alu instid0(VALU_DEP_1) | instskip(SKIP_1) | instid1(VALU_DEP_2)
	v_subrev_nc_u32_e32 v6, 28, v5
	v_sub_nc_u32_e32 v5, 29, v5
	v_lshlrev_b32_e32 v6, v6, v3
	v_bfe_u32 v3, v3, 3, 4
	s_delay_alu instid0(VALU_DEP_2) | instskip(NEXT) | instid1(VALU_DEP_2)
	v_and_b32_e32 v6, 7, v6
	v_cmp_eq_u32_e32 vcc_lo, 0, v3
	s_delay_alu instid0(VALU_DEP_2) | instskip(NEXT) | instid1(VALU_DEP_1)
	v_dual_cndmask_b32 v3, v3, v5 :: v_dual_cndmask_b32 v4, v4, v6
	v_lshl_add_u32 v3, v3, 23, 0x3b800000
	s_delay_alu instid0(VALU_DEP_2) | instskip(NEXT) | instid1(VALU_DEP_1)
	v_lshlrev_b32_e32 v4, 20, v4
	v_or3_b32 v40, v2, v3, v4
.LBB44_2153:
	s_or_b32 exec_lo, exec_lo, s3
.LBB44_2154:
	s_mov_b32 s2, -1
.LBB44_2155:
	s_mov_b32 s3, 0
.LBB44_2156:
	s_delay_alu instid0(SALU_CYCLE_1)
	s_and_b32 vcc_lo, exec_lo, s3
	s_cbranch_vccz .LBB44_2189
; %bb.2157:
	v_cmp_lt_i16_e32 vcc_lo, 22, v47
	s_cbranch_vccz .LBB44_2167
; %bb.2158:
	v_cmp_gt_i16_e32 vcc_lo, 24, v47
	s_cbranch_vccnz .LBB44_2170
; %bb.2159:
	v_cmp_lt_i16_e32 vcc_lo, 24, v47
	s_cbranch_vccz .LBB44_2171
; %bb.2160:
	global_load_u8 v2, v[0:1], off
	s_mov_b32 s3, exec_lo
                                        ; implicit-def: $sgpr2
	s_waitcnt vmcnt(0)
	v_cmpx_lt_i16_e32 0x7f, v2
	s_xor_b32 s3, exec_lo, s3
	s_cbranch_execz .LBB44_2183
; %bb.2161:
	s_mov_b32 s1, -1
	s_mov_b32 s4, exec_lo
                                        ; implicit-def: $sgpr2
	v_cmpx_eq_u16_e32 0x80, v2
; %bb.2162:
	s_mov_b32 s2, 0x7f800001
	s_xor_b32 s1, exec_lo, -1
; %bb.2163:
	s_or_b32 exec_lo, exec_lo, s4
	s_delay_alu instid0(SALU_CYCLE_1)
	s_and_b32 s1, s1, exec_lo
	s_or_saveexec_b32 s3, s3
	v_mov_b32_e32 v40, s2
	s_xor_b32 exec_lo, exec_lo, s3
	s_cbranch_execnz .LBB44_2184
.LBB44_2164:
	s_or_b32 exec_lo, exec_lo, s3
	s_and_saveexec_b32 s2, s1
	s_cbranch_execz .LBB44_2166
.LBB44_2165:
	v_and_b32_e32 v3, 0xffff, v2
	v_lshlrev_b32_e32 v2, 24, v2
	s_delay_alu instid0(VALU_DEP_2) | instskip(NEXT) | instid1(VALU_DEP_2)
	v_and_b32_e32 v4, 3, v3
	v_and_b32_e32 v2, 0x80000000, v2
	s_delay_alu instid0(VALU_DEP_2) | instskip(NEXT) | instid1(VALU_DEP_1)
	v_clz_i32_u32_e32 v5, v4
	v_min_u32_e32 v5, 32, v5
	s_delay_alu instid0(VALU_DEP_1) | instskip(SKIP_1) | instid1(VALU_DEP_2)
	v_subrev_nc_u32_e32 v6, 29, v5
	v_sub_nc_u32_e32 v5, 30, v5
	v_lshlrev_b32_e32 v6, v6, v3
	v_bfe_u32 v3, v3, 2, 5
	s_delay_alu instid0(VALU_DEP_2) | instskip(NEXT) | instid1(VALU_DEP_2)
	v_and_b32_e32 v6, 3, v6
	v_cmp_eq_u32_e32 vcc_lo, 0, v3
	s_delay_alu instid0(VALU_DEP_2) | instskip(NEXT) | instid1(VALU_DEP_1)
	v_dual_cndmask_b32 v3, v3, v5 :: v_dual_cndmask_b32 v4, v4, v6
	v_lshl_add_u32 v3, v3, 23, 0x37800000
	s_delay_alu instid0(VALU_DEP_2) | instskip(NEXT) | instid1(VALU_DEP_1)
	v_lshlrev_b32_e32 v4, 21, v4
	v_or3_b32 v40, v2, v3, v4
.LBB44_2166:
	s_or_b32 exec_lo, exec_lo, s2
	s_mov_b32 s1, 0
	s_branch .LBB44_2172
.LBB44_2167:
	s_mov_b32 s1, -1
                                        ; implicit-def: $vgpr40
	s_branch .LBB44_2178
.LBB44_2168:
	s_or_saveexec_b32 s4, s4
	v_mov_b32_e32 v40, s3
	s_xor_b32 exec_lo, exec_lo, s4
	s_cbranch_execz .LBB44_2151
.LBB44_2169:
	v_cmp_ne_u16_e32 vcc_lo, 0, v2
	v_mov_b32_e32 v40, 0
	s_and_not1_b32 s2, s2, exec_lo
	s_and_b32 s3, vcc_lo, exec_lo
	s_delay_alu instid0(SALU_CYCLE_1)
	s_or_b32 s2, s2, s3
	s_or_b32 exec_lo, exec_lo, s4
	s_and_saveexec_b32 s3, s2
	s_cbranch_execnz .LBB44_2152
	s_branch .LBB44_2153
.LBB44_2170:
	s_mov_b32 s1, -1
                                        ; implicit-def: $vgpr40
	s_branch .LBB44_2175
.LBB44_2171:
	s_mov_b32 s1, -1
                                        ; implicit-def: $vgpr40
.LBB44_2172:
	s_delay_alu instid0(SALU_CYCLE_1)
	s_and_b32 vcc_lo, exec_lo, s1
	s_cbranch_vccz .LBB44_2174
; %bb.2173:
	global_load_u8 v2, v[0:1], off
	s_waitcnt vmcnt(0)
	v_lshlrev_b32_e32 v2, 24, v2
	s_delay_alu instid0(VALU_DEP_1) | instskip(NEXT) | instid1(VALU_DEP_1)
	v_and_b32_e32 v3, 0x7f000000, v2
	v_clz_i32_u32_e32 v4, v3
	v_add_nc_u32_e32 v6, 0x1000000, v3
	v_cmp_ne_u32_e32 vcc_lo, 0, v3
	s_delay_alu instid0(VALU_DEP_3) | instskip(NEXT) | instid1(VALU_DEP_1)
	v_min_u32_e32 v4, 32, v4
	v_sub_nc_u32_e64 v4, v4, 4 clamp
	s_delay_alu instid0(VALU_DEP_1) | instskip(SKIP_1) | instid1(VALU_DEP_2)
	v_lshlrev_b32_e32 v5, v4, v3
	v_lshlrev_b32_e32 v4, 23, v4
	v_lshrrev_b32_e32 v5, 4, v5
	s_delay_alu instid0(VALU_DEP_1) | instskip(SKIP_1) | instid1(VALU_DEP_2)
	v_sub_nc_u32_e32 v4, v5, v4
	v_ashrrev_i32_e32 v5, 8, v6
	v_add_nc_u32_e32 v4, 0x3c000000, v4
	s_delay_alu instid0(VALU_DEP_1) | instskip(NEXT) | instid1(VALU_DEP_1)
	v_and_or_b32 v4, 0x7f800000, v5, v4
	v_cndmask_b32_e32 v3, 0, v4, vcc_lo
	s_delay_alu instid0(VALU_DEP_1)
	v_and_or_b32 v40, 0x80000000, v2, v3
.LBB44_2174:
	s_mov_b32 s1, 0
.LBB44_2175:
	s_delay_alu instid0(SALU_CYCLE_1)
	s_and_not1_b32 vcc_lo, exec_lo, s1
	s_cbranch_vccnz .LBB44_2177
; %bb.2176:
	global_load_u8 v2, v[0:1], off
	s_waitcnt vmcnt(0)
	v_lshlrev_b32_e32 v3, 25, v2
	v_lshlrev_b16 v2, 8, v2
	s_delay_alu instid0(VALU_DEP_2) | instskip(NEXT) | instid1(VALU_DEP_2)
	v_lshrrev_b32_e32 v4, 4, v3
	v_and_or_b32 v5, 0x7f00, v2, 0.5
	v_bfe_i32 v2, v2, 0, 16
	s_delay_alu instid0(VALU_DEP_3) | instskip(NEXT) | instid1(VALU_DEP_1)
	v_or_b32_e32 v4, 0x70000000, v4
	v_dual_add_f32 v5, -0.5, v5 :: v_dual_mul_f32 v4, 0x7800000, v4
	v_cmp_gt_u32_e32 vcc_lo, 0x8000000, v3
	s_delay_alu instid0(VALU_DEP_2) | instskip(NEXT) | instid1(VALU_DEP_1)
	v_cndmask_b32_e32 v3, v4, v5, vcc_lo
	v_and_or_b32 v40, 0x80000000, v2, v3
.LBB44_2177:
	s_mov_b32 s1, 0
	s_mov_b32 s2, -1
.LBB44_2178:
	s_and_not1_b32 vcc_lo, exec_lo, s1
	s_mov_b32 s1, 0
	s_cbranch_vccnz .LBB44_2189
; %bb.2179:
	v_cmp_lt_i16_e32 vcc_lo, 14, v47
	s_cbranch_vccz .LBB44_2182
; %bb.2180:
	v_cmp_eq_u16_e32 vcc_lo, 15, v47
	s_cbranch_vccz .LBB44_2185
; %bb.2181:
	global_load_u16 v2, v[0:1], off
	s_mov_b32 s0, 0
	s_mov_b32 s2, -1
	s_waitcnt vmcnt(0)
	v_lshlrev_b32_e32 v40, 16, v2
	s_branch .LBB44_2187
.LBB44_2182:
	s_mov_b32 s1, -1
	s_branch .LBB44_2186
.LBB44_2183:
	s_or_saveexec_b32 s3, s3
	v_mov_b32_e32 v40, s2
	s_xor_b32 exec_lo, exec_lo, s3
	s_cbranch_execz .LBB44_2164
.LBB44_2184:
	v_cmp_ne_u16_e32 vcc_lo, 0, v2
	v_mov_b32_e32 v40, 0
	s_and_not1_b32 s1, s1, exec_lo
	s_and_b32 s2, vcc_lo, exec_lo
	s_delay_alu instid0(SALU_CYCLE_1)
	s_or_b32 s1, s1, s2
	s_or_b32 exec_lo, exec_lo, s3
	s_and_saveexec_b32 s2, s1
	s_cbranch_execnz .LBB44_2165
	s_branch .LBB44_2166
.LBB44_2185:
	s_mov_b32 s0, -1
.LBB44_2186:
                                        ; implicit-def: $vgpr40
.LBB44_2187:
	s_and_b32 vcc_lo, exec_lo, s1
	s_mov_b32 s1, 0
	s_cbranch_vccz .LBB44_2189
; %bb.2188:
	v_cmp_ne_u16_e64 s0, 11, v47
	s_mov_b32 s1, -1
                                        ; implicit-def: $vgpr40
.LBB44_2189:
	s_delay_alu instid0(VALU_DEP_1)
	s_and_b32 vcc_lo, exec_lo, s0
	s_cbranch_vccnz .LBB44_2254
; %bb.2190:
	s_and_not1_b32 vcc_lo, exec_lo, s1
	s_cbranch_vccnz .LBB44_2192
.LBB44_2191:
	global_load_u8 v2, v[0:1], off
	s_mov_b32 s2, -1
	s_waitcnt vmcnt(0)
	v_cmp_ne_u16_e32 vcc_lo, 0, v2
	v_cndmask_b32_e64 v40, 0, 1.0, vcc_lo
.LBB44_2192:
	s_mov_b32 s0, 0
.LBB44_2193:
	s_delay_alu instid0(SALU_CYCLE_1)
	s_and_b32 vcc_lo, exec_lo, s0
	s_cbranch_vccz .LBB44_2242
; %bb.2194:
	v_cmp_gt_i16_e32 vcc_lo, 5, v47
	s_cbranch_vccnz .LBB44_2199
; %bb.2195:
	v_cmp_gt_i16_e32 vcc_lo, 8, v47
	s_cbranch_vccnz .LBB44_2200
	;; [unrolled: 3-line block ×3, first 2 shown]
; %bb.2197:
	v_cmp_lt_i16_e32 vcc_lo, 9, v47
	s_cbranch_vccz .LBB44_2202
; %bb.2198:
	global_load_b64 v[2:3], v[0:1], off
	s_mov_b32 s0, 0
	s_waitcnt vmcnt(0)
	v_cvt_f32_f64_e32 v40, v[2:3]
	s_branch .LBB44_2203
.LBB44_2199:
	s_mov_b32 s0, -1
                                        ; implicit-def: $vgpr40
	s_branch .LBB44_2221
.LBB44_2200:
	s_mov_b32 s0, -1
                                        ; implicit-def: $vgpr40
	s_branch .LBB44_2209
.LBB44_2201:
	s_mov_b32 s0, -1
                                        ; implicit-def: $vgpr40
	s_branch .LBB44_2206
.LBB44_2202:
	s_mov_b32 s0, -1
                                        ; implicit-def: $vgpr40
.LBB44_2203:
	s_delay_alu instid0(SALU_CYCLE_1)
	s_and_not1_b32 vcc_lo, exec_lo, s0
	s_cbranch_vccnz .LBB44_2205
; %bb.2204:
	global_load_b32 v40, v[0:1], off
.LBB44_2205:
	s_mov_b32 s0, 0
.LBB44_2206:
	s_delay_alu instid0(SALU_CYCLE_1)
	s_and_not1_b32 vcc_lo, exec_lo, s0
	s_cbranch_vccnz .LBB44_2208
; %bb.2207:
	global_load_b32 v2, v[0:1], off
	s_waitcnt vmcnt(0)
	v_cvt_f32_f16_e32 v40, v2
.LBB44_2208:
	s_mov_b32 s0, 0
.LBB44_2209:
	s_delay_alu instid0(SALU_CYCLE_1)
	s_and_not1_b32 vcc_lo, exec_lo, s0
	s_cbranch_vccnz .LBB44_2220
; %bb.2210:
	v_cmp_gt_i16_e32 vcc_lo, 6, v47
	s_cbranch_vccnz .LBB44_2213
; %bb.2211:
	v_cmp_lt_i16_e32 vcc_lo, 6, v47
	s_cbranch_vccz .LBB44_2214
; %bb.2212:
	global_load_b64 v[2:3], v[0:1], off
	s_mov_b32 s0, 0
	s_waitcnt vmcnt(0)
	v_cvt_f32_f64_e32 v40, v[2:3]
	s_branch .LBB44_2215
.LBB44_2213:
	s_mov_b32 s0, -1
                                        ; implicit-def: $vgpr40
	s_branch .LBB44_2218
.LBB44_2214:
	s_mov_b32 s0, -1
                                        ; implicit-def: $vgpr40
.LBB44_2215:
	s_delay_alu instid0(SALU_CYCLE_1)
	s_and_not1_b32 vcc_lo, exec_lo, s0
	s_cbranch_vccnz .LBB44_2217
; %bb.2216:
	global_load_b32 v40, v[0:1], off
.LBB44_2217:
	s_mov_b32 s0, 0
.LBB44_2218:
	s_delay_alu instid0(SALU_CYCLE_1)
	s_and_not1_b32 vcc_lo, exec_lo, s0
	s_cbranch_vccnz .LBB44_2220
; %bb.2219:
	global_load_u16 v2, v[0:1], off
	s_waitcnt vmcnt(0)
	v_cvt_f32_f16_e32 v40, v2
.LBB44_2220:
	s_mov_b32 s0, 0
.LBB44_2221:
	s_delay_alu instid0(SALU_CYCLE_1)
	s_and_not1_b32 vcc_lo, exec_lo, s0
	s_cbranch_vccnz .LBB44_2241
; %bb.2222:
	v_cmp_gt_i16_e32 vcc_lo, 2, v47
	s_cbranch_vccnz .LBB44_2226
; %bb.2223:
	v_cmp_gt_i16_e32 vcc_lo, 3, v47
	s_cbranch_vccnz .LBB44_2227
; %bb.2224:
	v_cmp_lt_i16_e32 vcc_lo, 3, v47
	s_cbranch_vccz .LBB44_2228
; %bb.2225:
	global_load_b64 v[2:3], v[0:1], off
	s_mov_b32 s0, 0
	s_waitcnt vmcnt(0)
	v_xor_b32_e32 v4, v2, v3
	v_cls_i32_e32 v5, v3
	s_delay_alu instid0(VALU_DEP_2) | instskip(NEXT) | instid1(VALU_DEP_2)
	v_ashrrev_i32_e32 v4, 31, v4
	v_add_nc_u32_e32 v5, -1, v5
	s_delay_alu instid0(VALU_DEP_2) | instskip(NEXT) | instid1(VALU_DEP_1)
	v_add_nc_u32_e32 v4, 32, v4
	v_min_u32_e32 v4, v5, v4
	s_delay_alu instid0(VALU_DEP_1) | instskip(NEXT) | instid1(VALU_DEP_1)
	v_lshlrev_b64 v[2:3], v4, v[2:3]
	v_min_u32_e32 v2, 1, v2
	s_delay_alu instid0(VALU_DEP_1) | instskip(SKIP_1) | instid1(VALU_DEP_2)
	v_or_b32_e32 v2, v3, v2
	v_sub_nc_u32_e32 v3, 32, v4
	v_cvt_f32_i32_e32 v2, v2
	s_delay_alu instid0(VALU_DEP_1)
	v_ldexp_f32 v40, v2, v3
	s_branch .LBB44_2229
.LBB44_2226:
	s_mov_b32 s0, -1
                                        ; implicit-def: $vgpr40
	s_branch .LBB44_2235
.LBB44_2227:
	s_mov_b32 s0, -1
                                        ; implicit-def: $vgpr40
	s_branch .LBB44_2232
.LBB44_2228:
	s_mov_b32 s0, -1
                                        ; implicit-def: $vgpr40
.LBB44_2229:
	s_delay_alu instid0(SALU_CYCLE_1)
	s_and_not1_b32 vcc_lo, exec_lo, s0
	s_cbranch_vccnz .LBB44_2231
; %bb.2230:
	global_load_b32 v2, v[0:1], off
	s_waitcnt vmcnt(0)
	v_cvt_f32_i32_e32 v40, v2
.LBB44_2231:
	s_mov_b32 s0, 0
.LBB44_2232:
	s_delay_alu instid0(SALU_CYCLE_1)
	s_and_not1_b32 vcc_lo, exec_lo, s0
	s_cbranch_vccnz .LBB44_2234
; %bb.2233:
	global_load_i16 v2, v[0:1], off
	s_waitcnt vmcnt(0)
	v_cvt_f32_i32_e32 v40, v2
.LBB44_2234:
	s_mov_b32 s0, 0
.LBB44_2235:
	s_delay_alu instid0(SALU_CYCLE_1)
	s_and_not1_b32 vcc_lo, exec_lo, s0
	s_cbranch_vccnz .LBB44_2241
; %bb.2236:
	v_cmp_lt_i16_e32 vcc_lo, 0, v47
	s_mov_b32 s0, 0
	s_cbranch_vccz .LBB44_2238
; %bb.2237:
	global_load_i8 v2, v[0:1], off
	s_waitcnt vmcnt(0)
	v_cvt_f32_i32_e32 v40, v2
	s_branch .LBB44_2239
.LBB44_2238:
	s_mov_b32 s0, -1
                                        ; implicit-def: $vgpr40
.LBB44_2239:
	s_delay_alu instid0(SALU_CYCLE_1)
	s_and_not1_b32 vcc_lo, exec_lo, s0
	s_cbranch_vccnz .LBB44_2241
; %bb.2240:
	global_load_u8 v0, v[0:1], off
	s_waitcnt vmcnt(0)
	v_cvt_f32_ubyte0_e32 v40, v0
.LBB44_2241:
	s_mov_b32 s2, -1
.LBB44_2242:
	s_delay_alu instid0(SALU_CYCLE_1)
	s_and_not1_b32 vcc_lo, exec_lo, s2
	s_cbranch_vccnz .LBB44_2654
; %bb.2243:
	v_add_nc_u32_e32 v57, s42, v46
	v_cmp_lt_i16_e64 s0, s46, 11
	s_delay_alu instid0(VALU_DEP_2) | instskip(SKIP_1) | instid1(VALU_DEP_2)
	v_ashrrev_i32_e32 v1, 31, v57
	v_add_co_u32 v0, vcc_lo, s44, v57
	v_add_co_ci_u32_e32 v1, vcc_lo, s45, v1, vcc_lo
	s_delay_alu instid0(VALU_DEP_4)
	s_and_b32 vcc_lo, exec_lo, s0
	s_cbranch_vccnz .LBB44_2250
; %bb.2244:
	v_cmp_gt_i16_e64 s0, s46, 25
	s_mov_b32 s1, 0
	s_delay_alu instid0(VALU_DEP_1)
	s_and_b32 vcc_lo, exec_lo, s0
	s_cbranch_vccz .LBB44_2251
; %bb.2245:
	v_cmp_gt_i16_e64 s0, s46, 28
	s_delay_alu instid0(VALU_DEP_1)
	s_and_b32 vcc_lo, exec_lo, s0
	s_cbranch_vccz .LBB44_2252
; %bb.2246:
	v_cmp_gt_i16_e64 s0, s46, 43
	;; [unrolled: 5-line block ×3, first 2 shown]
	s_delay_alu instid0(VALU_DEP_1)
	s_and_b32 vcc_lo, exec_lo, s0
	s_cbranch_vccz .LBB44_2256
; %bb.2248:
	v_cmp_eq_u16_e64 s0, s46, 46
	s_mov_b32 s3, 0
	s_delay_alu instid0(VALU_DEP_1)
	s_and_b32 vcc_lo, exec_lo, s0
	s_cbranch_vccz .LBB44_2261
; %bb.2249:
	global_load_b32 v2, v[0:1], off
	s_mov_b32 s0, 0
	s_mov_b32 s2, -1
	s_waitcnt vmcnt(0)
	v_lshlrev_b32_e32 v43, 16, v2
	s_branch .LBB44_2263
.LBB44_2250:
	s_mov_b32 s0, -1
	s_mov_b32 s2, 0
                                        ; implicit-def: $vgpr43
	s_branch .LBB44_2329
.LBB44_2251:
	s_mov_b32 s3, -1
	s_mov_b32 s2, 0
	s_mov_b32 s0, 0
                                        ; implicit-def: $vgpr43
	s_branch .LBB44_2292
.LBB44_2252:
	s_mov_b32 s3, -1
	s_mov_b32 s2, 0
	s_mov_b32 s0, 0
                                        ; implicit-def: $vgpr43
	s_branch .LBB44_2273
.LBB44_2253:
	s_mov_b32 s3, -1
	s_mov_b32 s2, 0
	s_mov_b32 s0, 0
                                        ; implicit-def: $vgpr43
	s_branch .LBB44_2268
.LBB44_2254:
	s_cbranch_execnz .LBB44_2257
; %bb.2255:
	s_or_b32 s48, s48, exec_lo
                                        ; implicit-def: $vgpr40
	s_cbranch_execz .LBB44_2191
	s_branch .LBB44_2192
.LBB44_2256:
	s_mov_b32 s3, -1
	s_mov_b32 s2, 0
	s_mov_b32 s0, 0
	s_branch .LBB44_2262
.LBB44_2257:
	s_trap 2
	s_sendmsg_rtn_b32 s0, sendmsg(MSG_RTN_GET_DOORBELL)
	s_mov_b32 ttmp2, m0
	s_waitcnt lgkmcnt(0)
	s_and_b32 s0, s0, 0x3ff
	s_delay_alu instid0(SALU_CYCLE_1) | instskip(NEXT) | instid1(SALU_CYCLE_1)
	s_bitset1_b32 s0, 10
	s_mov_b32 m0, s0
	s_sendmsg sendmsg(MSG_INTERRUPT)
	s_mov_b32 m0, ttmp2
.LBB44_2258:                            ; =>This Inner Loop Header: Depth=1
	s_sethalt 5
	s_branch .LBB44_2258
.LBB44_2259:
	s_or_saveexec_b32 s3, s3
                                        ; implicit-def: $sgpr4
	s_delay_alu instid0(SALU_CYCLE_1)
	s_xor_b32 exec_lo, exec_lo, s3
	s_cbranch_execz .LBB44_1098
.LBB44_2260:
	v_add_f32_e64 v1, 0x42800000, |v0|
	s_and_not1_b32 s2, s2, exec_lo
	s_mov_b32 s4, 0
	s_delay_alu instid0(VALU_DEP_1) | instskip(NEXT) | instid1(VALU_DEP_1)
	v_and_b32_e32 v1, 0xff, v1
	v_cmp_ne_u32_e32 vcc_lo, 0, v1
	s_and_b32 s5, vcc_lo, exec_lo
	s_delay_alu instid0(SALU_CYCLE_1)
	s_or_b32 s2, s2, s5
	s_or_b32 exec_lo, exec_lo, s3
	v_mov_b32_e32 v5, s4
	s_and_saveexec_b32 s3, s2
	s_cbranch_execnz .LBB44_1099
	s_branch .LBB44_1100
.LBB44_2261:
	s_mov_b32 s0, -1
	s_mov_b32 s2, 0
.LBB44_2262:
                                        ; implicit-def: $vgpr43
.LBB44_2263:
	s_and_b32 vcc_lo, exec_lo, s3
	s_cbranch_vccz .LBB44_2267
; %bb.2264:
	v_cmp_eq_u16_e64 s0, s46, 44
	s_delay_alu instid0(VALU_DEP_1)
	s_and_b32 vcc_lo, exec_lo, s0
	s_cbranch_vccz .LBB44_2266
; %bb.2265:
	global_load_u8 v2, v[0:1], off
	s_mov_b32 s0, 0
	s_mov_b32 s2, -1
	s_waitcnt vmcnt(0)
	v_lshlrev_b32_e32 v3, 23, v2
	v_cmp_ne_u32_e32 vcc_lo, 0xff, v2
	s_delay_alu instid0(VALU_DEP_2) | instskip(SKIP_1) | instid1(VALU_DEP_2)
	v_cndmask_b32_e32 v3, 0x7f800001, v3, vcc_lo
	v_cmp_ne_u32_e32 vcc_lo, 0, v2
	v_cndmask_b32_e32 v43, 0x400000, v3, vcc_lo
	s_branch .LBB44_2267
.LBB44_2266:
	s_mov_b32 s0, -1
                                        ; implicit-def: $vgpr43
.LBB44_2267:
	s_mov_b32 s3, 0
.LBB44_2268:
	s_delay_alu instid0(SALU_CYCLE_1)
	s_and_b32 vcc_lo, exec_lo, s3
	s_cbranch_vccz .LBB44_2272
; %bb.2269:
	v_cmp_eq_u16_e64 s0, s46, 29
	s_delay_alu instid0(VALU_DEP_1)
	s_and_b32 vcc_lo, exec_lo, s0
	s_cbranch_vccz .LBB44_2271
; %bb.2270:
	global_load_b64 v[2:3], v[0:1], off
	s_mov_b32 s0, 0
	s_mov_b32 s2, -1
	s_mov_b32 s3, 0
	s_waitcnt vmcnt(0)
	v_clz_i32_u32_e32 v4, v3
	s_delay_alu instid0(VALU_DEP_1) | instskip(NEXT) | instid1(VALU_DEP_1)
	v_min_u32_e32 v4, 32, v4
	v_lshlrev_b64 v[2:3], v4, v[2:3]
	s_delay_alu instid0(VALU_DEP_1) | instskip(NEXT) | instid1(VALU_DEP_1)
	v_min_u32_e32 v2, 1, v2
	v_or_b32_e32 v2, v3, v2
	v_sub_nc_u32_e32 v3, 32, v4
	s_delay_alu instid0(VALU_DEP_2) | instskip(NEXT) | instid1(VALU_DEP_1)
	v_cvt_f32_u32_e32 v2, v2
	v_ldexp_f32 v43, v2, v3
	s_branch .LBB44_2273
.LBB44_2271:
	s_mov_b32 s0, -1
                                        ; implicit-def: $vgpr43
.LBB44_2272:
	s_mov_b32 s3, 0
.LBB44_2273:
	s_delay_alu instid0(SALU_CYCLE_1)
	s_and_b32 vcc_lo, exec_lo, s3
	s_cbranch_vccz .LBB44_2291
; %bb.2274:
	v_cmp_lt_i16_e64 s2, s46, 27
	s_delay_alu instid0(VALU_DEP_1)
	s_and_b32 vcc_lo, exec_lo, s2
	s_cbranch_vccnz .LBB44_2277
; %bb.2275:
	v_cmp_gt_i16_e64 s2, s46, 27
	s_delay_alu instid0(VALU_DEP_1)
	s_and_b32 vcc_lo, exec_lo, s2
	s_cbranch_vccz .LBB44_2278
; %bb.2276:
	global_load_b32 v2, v[0:1], off
	s_mov_b32 s2, 0
	s_waitcnt vmcnt(0)
	v_cvt_f32_u32_e32 v43, v2
	s_branch .LBB44_2279
.LBB44_2277:
	s_mov_b32 s2, -1
                                        ; implicit-def: $vgpr43
	s_branch .LBB44_2282
.LBB44_2278:
	s_mov_b32 s2, -1
                                        ; implicit-def: $vgpr43
.LBB44_2279:
	s_delay_alu instid0(SALU_CYCLE_1)
	s_and_not1_b32 vcc_lo, exec_lo, s2
	s_cbranch_vccnz .LBB44_2281
; %bb.2280:
	global_load_u16 v2, v[0:1], off
	s_waitcnt vmcnt(0)
	v_cvt_f32_u32_e32 v43, v2
.LBB44_2281:
	s_mov_b32 s2, 0
.LBB44_2282:
	s_delay_alu instid0(SALU_CYCLE_1)
	s_and_not1_b32 vcc_lo, exec_lo, s2
	s_cbranch_vccnz .LBB44_2290
; %bb.2283:
	global_load_u8 v2, v[0:1], off
	s_mov_b32 s2, 0
	s_mov_b32 s4, exec_lo
                                        ; implicit-def: $sgpr3
	s_waitcnt vmcnt(0)
	v_cmpx_lt_i16_e32 0x7f, v2
	s_xor_b32 s4, exec_lo, s4
	s_cbranch_execz .LBB44_2304
; %bb.2284:
	s_mov_b32 s2, -1
	s_mov_b32 s5, exec_lo
                                        ; implicit-def: $sgpr3
	v_cmpx_eq_u16_e32 0x80, v2
; %bb.2285:
	s_mov_b32 s3, 0x7f800001
	s_xor_b32 s2, exec_lo, -1
; %bb.2286:
	s_or_b32 exec_lo, exec_lo, s5
	s_delay_alu instid0(SALU_CYCLE_1)
	s_and_b32 s2, s2, exec_lo
	s_or_saveexec_b32 s4, s4
	v_mov_b32_e32 v43, s3
	s_xor_b32 exec_lo, exec_lo, s4
	s_cbranch_execnz .LBB44_2305
.LBB44_2287:
	s_or_b32 exec_lo, exec_lo, s4
	s_and_saveexec_b32 s3, s2
	s_cbranch_execz .LBB44_2289
.LBB44_2288:
	v_and_b32_e32 v3, 0xffff, v2
	v_lshlrev_b32_e32 v2, 24, v2
	s_delay_alu instid0(VALU_DEP_2) | instskip(NEXT) | instid1(VALU_DEP_2)
	v_and_b32_e32 v4, 7, v3
	v_and_b32_e32 v2, 0x80000000, v2
	s_delay_alu instid0(VALU_DEP_2) | instskip(NEXT) | instid1(VALU_DEP_1)
	v_clz_i32_u32_e32 v5, v4
	v_min_u32_e32 v5, 32, v5
	s_delay_alu instid0(VALU_DEP_1) | instskip(SKIP_1) | instid1(VALU_DEP_2)
	v_subrev_nc_u32_e32 v6, 28, v5
	v_sub_nc_u32_e32 v5, 29, v5
	v_lshlrev_b32_e32 v6, v6, v3
	v_bfe_u32 v3, v3, 3, 4
	s_delay_alu instid0(VALU_DEP_2) | instskip(NEXT) | instid1(VALU_DEP_2)
	v_and_b32_e32 v6, 7, v6
	v_cmp_eq_u32_e32 vcc_lo, 0, v3
	s_delay_alu instid0(VALU_DEP_2) | instskip(NEXT) | instid1(VALU_DEP_1)
	v_dual_cndmask_b32 v3, v3, v5 :: v_dual_cndmask_b32 v4, v4, v6
	v_lshl_add_u32 v3, v3, 23, 0x3b800000
	s_delay_alu instid0(VALU_DEP_2) | instskip(NEXT) | instid1(VALU_DEP_1)
	v_lshlrev_b32_e32 v4, 20, v4
	v_or3_b32 v43, v2, v3, v4
.LBB44_2289:
	s_or_b32 exec_lo, exec_lo, s3
.LBB44_2290:
	s_mov_b32 s2, -1
.LBB44_2291:
	s_mov_b32 s3, 0
.LBB44_2292:
	s_delay_alu instid0(SALU_CYCLE_1)
	s_and_b32 vcc_lo, exec_lo, s3
	s_cbranch_vccz .LBB44_2325
; %bb.2293:
	v_cmp_gt_i16_e64 s1, s46, 22
	s_delay_alu instid0(VALU_DEP_1)
	s_and_b32 vcc_lo, exec_lo, s1
	s_cbranch_vccz .LBB44_2303
; %bb.2294:
	v_cmp_lt_i16_e64 s1, s46, 24
	s_delay_alu instid0(VALU_DEP_1)
	s_and_b32 vcc_lo, exec_lo, s1
	s_cbranch_vccnz .LBB44_2306
; %bb.2295:
	v_cmp_gt_i16_e64 s1, s46, 24
	s_delay_alu instid0(VALU_DEP_1)
	s_and_b32 vcc_lo, exec_lo, s1
	s_cbranch_vccz .LBB44_2307
; %bb.2296:
	global_load_u8 v2, v[0:1], off
	s_mov_b32 s1, 0
	s_mov_b32 s3, exec_lo
                                        ; implicit-def: $sgpr2
	s_waitcnt vmcnt(0)
	v_cmpx_lt_i16_e32 0x7f, v2
	s_xor_b32 s3, exec_lo, s3
	s_cbranch_execz .LBB44_2319
; %bb.2297:
	s_mov_b32 s1, -1
	s_mov_b32 s4, exec_lo
                                        ; implicit-def: $sgpr2
	v_cmpx_eq_u16_e32 0x80, v2
; %bb.2298:
	s_mov_b32 s2, 0x7f800001
	s_xor_b32 s1, exec_lo, -1
; %bb.2299:
	s_or_b32 exec_lo, exec_lo, s4
	s_delay_alu instid0(SALU_CYCLE_1)
	s_and_b32 s1, s1, exec_lo
	s_or_saveexec_b32 s3, s3
	v_mov_b32_e32 v43, s2
	s_xor_b32 exec_lo, exec_lo, s3
	s_cbranch_execnz .LBB44_2320
.LBB44_2300:
	s_or_b32 exec_lo, exec_lo, s3
	s_and_saveexec_b32 s2, s1
	s_cbranch_execz .LBB44_2302
.LBB44_2301:
	v_and_b32_e32 v3, 0xffff, v2
	v_lshlrev_b32_e32 v2, 24, v2
	s_delay_alu instid0(VALU_DEP_2) | instskip(NEXT) | instid1(VALU_DEP_2)
	v_and_b32_e32 v4, 3, v3
	v_and_b32_e32 v2, 0x80000000, v2
	s_delay_alu instid0(VALU_DEP_2) | instskip(NEXT) | instid1(VALU_DEP_1)
	v_clz_i32_u32_e32 v5, v4
	v_min_u32_e32 v5, 32, v5
	s_delay_alu instid0(VALU_DEP_1) | instskip(SKIP_1) | instid1(VALU_DEP_2)
	v_subrev_nc_u32_e32 v6, 29, v5
	v_sub_nc_u32_e32 v5, 30, v5
	v_lshlrev_b32_e32 v6, v6, v3
	v_bfe_u32 v3, v3, 2, 5
	s_delay_alu instid0(VALU_DEP_2) | instskip(NEXT) | instid1(VALU_DEP_2)
	v_and_b32_e32 v6, 3, v6
	v_cmp_eq_u32_e32 vcc_lo, 0, v3
	s_delay_alu instid0(VALU_DEP_2) | instskip(NEXT) | instid1(VALU_DEP_1)
	v_dual_cndmask_b32 v3, v3, v5 :: v_dual_cndmask_b32 v4, v4, v6
	v_lshl_add_u32 v3, v3, 23, 0x37800000
	s_delay_alu instid0(VALU_DEP_2) | instskip(NEXT) | instid1(VALU_DEP_1)
	v_lshlrev_b32_e32 v4, 21, v4
	v_or3_b32 v43, v2, v3, v4
.LBB44_2302:
	s_or_b32 exec_lo, exec_lo, s2
	s_mov_b32 s1, 0
	s_branch .LBB44_2308
.LBB44_2303:
	s_mov_b32 s1, -1
                                        ; implicit-def: $vgpr43
	s_branch .LBB44_2314
.LBB44_2304:
	s_or_saveexec_b32 s4, s4
	v_mov_b32_e32 v43, s3
	s_xor_b32 exec_lo, exec_lo, s4
	s_cbranch_execz .LBB44_2287
.LBB44_2305:
	v_cmp_ne_u16_e32 vcc_lo, 0, v2
	v_mov_b32_e32 v43, 0
	s_and_not1_b32 s2, s2, exec_lo
	s_and_b32 s3, vcc_lo, exec_lo
	s_delay_alu instid0(SALU_CYCLE_1)
	s_or_b32 s2, s2, s3
	s_or_b32 exec_lo, exec_lo, s4
	s_and_saveexec_b32 s3, s2
	s_cbranch_execnz .LBB44_2288
	s_branch .LBB44_2289
.LBB44_2306:
	s_mov_b32 s1, -1
                                        ; implicit-def: $vgpr43
	s_branch .LBB44_2311
.LBB44_2307:
	s_mov_b32 s1, -1
                                        ; implicit-def: $vgpr43
.LBB44_2308:
	s_delay_alu instid0(SALU_CYCLE_1)
	s_and_b32 vcc_lo, exec_lo, s1
	s_cbranch_vccz .LBB44_2310
; %bb.2309:
	global_load_u8 v2, v[0:1], off
	s_waitcnt vmcnt(0)
	v_lshlrev_b32_e32 v2, 24, v2
	s_delay_alu instid0(VALU_DEP_1) | instskip(NEXT) | instid1(VALU_DEP_1)
	v_and_b32_e32 v3, 0x7f000000, v2
	v_clz_i32_u32_e32 v4, v3
	v_add_nc_u32_e32 v6, 0x1000000, v3
	v_cmp_ne_u32_e32 vcc_lo, 0, v3
	s_delay_alu instid0(VALU_DEP_3) | instskip(NEXT) | instid1(VALU_DEP_1)
	v_min_u32_e32 v4, 32, v4
	v_sub_nc_u32_e64 v4, v4, 4 clamp
	s_delay_alu instid0(VALU_DEP_1) | instskip(SKIP_1) | instid1(VALU_DEP_2)
	v_lshlrev_b32_e32 v5, v4, v3
	v_lshlrev_b32_e32 v4, 23, v4
	v_lshrrev_b32_e32 v5, 4, v5
	s_delay_alu instid0(VALU_DEP_1) | instskip(SKIP_1) | instid1(VALU_DEP_2)
	v_sub_nc_u32_e32 v4, v5, v4
	v_ashrrev_i32_e32 v5, 8, v6
	v_add_nc_u32_e32 v4, 0x3c000000, v4
	s_delay_alu instid0(VALU_DEP_1) | instskip(NEXT) | instid1(VALU_DEP_1)
	v_and_or_b32 v4, 0x7f800000, v5, v4
	v_cndmask_b32_e32 v3, 0, v4, vcc_lo
	s_delay_alu instid0(VALU_DEP_1)
	v_and_or_b32 v43, 0x80000000, v2, v3
.LBB44_2310:
	s_mov_b32 s1, 0
.LBB44_2311:
	s_delay_alu instid0(SALU_CYCLE_1)
	s_and_not1_b32 vcc_lo, exec_lo, s1
	s_cbranch_vccnz .LBB44_2313
; %bb.2312:
	global_load_u8 v2, v[0:1], off
	s_waitcnt vmcnt(0)
	v_lshlrev_b32_e32 v3, 25, v2
	v_lshlrev_b16 v2, 8, v2
	s_delay_alu instid0(VALU_DEP_2) | instskip(NEXT) | instid1(VALU_DEP_2)
	v_lshrrev_b32_e32 v4, 4, v3
	v_and_or_b32 v5, 0x7f00, v2, 0.5
	v_bfe_i32 v2, v2, 0, 16
	s_delay_alu instid0(VALU_DEP_3) | instskip(NEXT) | instid1(VALU_DEP_1)
	v_or_b32_e32 v4, 0x70000000, v4
	v_dual_add_f32 v5, -0.5, v5 :: v_dual_mul_f32 v4, 0x7800000, v4
	v_cmp_gt_u32_e32 vcc_lo, 0x8000000, v3
	s_delay_alu instid0(VALU_DEP_2) | instskip(NEXT) | instid1(VALU_DEP_1)
	v_cndmask_b32_e32 v3, v4, v5, vcc_lo
	v_and_or_b32 v43, 0x80000000, v2, v3
.LBB44_2313:
	s_mov_b32 s1, 0
	s_mov_b32 s2, -1
.LBB44_2314:
	s_and_not1_b32 vcc_lo, exec_lo, s1
	s_mov_b32 s1, 0
	s_cbranch_vccnz .LBB44_2325
; %bb.2315:
	v_cmp_gt_i16_e64 s1, s46, 14
	s_delay_alu instid0(VALU_DEP_1)
	s_and_b32 vcc_lo, exec_lo, s1
	s_cbranch_vccz .LBB44_2318
; %bb.2316:
	v_cmp_eq_u16_e64 s0, s46, 15
	s_delay_alu instid0(VALU_DEP_1)
	s_and_b32 vcc_lo, exec_lo, s0
	s_cbranch_vccz .LBB44_2321
; %bb.2317:
	global_load_u16 v2, v[0:1], off
	s_mov_b32 s0, 0
	s_mov_b32 s2, -1
	s_waitcnt vmcnt(0)
	v_lshlrev_b32_e32 v43, 16, v2
	s_branch .LBB44_2322
.LBB44_2318:
	s_mov_b32 s1, -1
                                        ; implicit-def: $vgpr43
	s_branch .LBB44_2323
.LBB44_2319:
	s_or_saveexec_b32 s3, s3
	v_mov_b32_e32 v43, s2
	s_xor_b32 exec_lo, exec_lo, s3
	s_cbranch_execz .LBB44_2300
.LBB44_2320:
	v_cmp_ne_u16_e32 vcc_lo, 0, v2
	v_mov_b32_e32 v43, 0
	s_and_not1_b32 s1, s1, exec_lo
	s_and_b32 s2, vcc_lo, exec_lo
	s_delay_alu instid0(SALU_CYCLE_1)
	s_or_b32 s1, s1, s2
	s_or_b32 exec_lo, exec_lo, s3
	s_and_saveexec_b32 s2, s1
	s_cbranch_execnz .LBB44_2301
	s_branch .LBB44_2302
.LBB44_2321:
	s_mov_b32 s0, -1
                                        ; implicit-def: $vgpr43
.LBB44_2322:
	s_mov_b32 s1, 0
.LBB44_2323:
	s_delay_alu instid0(SALU_CYCLE_1)
	s_and_b32 vcc_lo, exec_lo, s1
	s_mov_b32 s1, 0
	s_cbranch_vccz .LBB44_2325
; %bb.2324:
	v_cmp_ne_u16_e64 s0, s46, 11
	s_mov_b32 s1, -1
                                        ; implicit-def: $vgpr43
.LBB44_2325:
	s_delay_alu instid0(VALU_DEP_1)
	s_and_b32 vcc_lo, exec_lo, s0
	s_cbranch_vccnz .LBB44_2395
; %bb.2326:
	s_and_not1_b32 vcc_lo, exec_lo, s1
	s_cbranch_vccnz .LBB44_2328
.LBB44_2327:
	global_load_u8 v2, v[0:1], off
	s_mov_b32 s2, -1
	s_waitcnt vmcnt(0)
	v_cmp_ne_u16_e32 vcc_lo, 0, v2
	v_cndmask_b32_e64 v43, 0, 1.0, vcc_lo
.LBB44_2328:
	s_mov_b32 s0, 0
.LBB44_2329:
	s_delay_alu instid0(SALU_CYCLE_1)
	s_and_b32 vcc_lo, exec_lo, s0
	s_cbranch_vccz .LBB44_2378
; %bb.2330:
	v_cmp_lt_i16_e64 s0, s46, 5
	s_delay_alu instid0(VALU_DEP_1)
	s_and_b32 vcc_lo, exec_lo, s0
	s_cbranch_vccnz .LBB44_2335
; %bb.2331:
	v_cmp_lt_i16_e64 s0, s46, 8
	s_delay_alu instid0(VALU_DEP_1)
	s_and_b32 vcc_lo, exec_lo, s0
	s_cbranch_vccnz .LBB44_2336
	;; [unrolled: 5-line block ×3, first 2 shown]
; %bb.2333:
	v_cmp_gt_i16_e64 s0, s46, 9
	s_delay_alu instid0(VALU_DEP_1)
	s_and_b32 vcc_lo, exec_lo, s0
	s_cbranch_vccz .LBB44_2338
; %bb.2334:
	global_load_b64 v[2:3], v[0:1], off
	s_mov_b32 s0, 0
	s_waitcnt vmcnt(0)
	v_cvt_f32_f64_e32 v43, v[2:3]
	s_branch .LBB44_2339
.LBB44_2335:
	s_mov_b32 s0, -1
                                        ; implicit-def: $vgpr43
	s_branch .LBB44_2357
.LBB44_2336:
	s_mov_b32 s0, -1
                                        ; implicit-def: $vgpr43
	s_branch .LBB44_2345
.LBB44_2337:
	s_mov_b32 s0, -1
                                        ; implicit-def: $vgpr43
	s_branch .LBB44_2342
.LBB44_2338:
	s_mov_b32 s0, -1
                                        ; implicit-def: $vgpr43
.LBB44_2339:
	s_delay_alu instid0(SALU_CYCLE_1)
	s_and_not1_b32 vcc_lo, exec_lo, s0
	s_cbranch_vccnz .LBB44_2341
; %bb.2340:
	global_load_b32 v43, v[0:1], off
.LBB44_2341:
	s_mov_b32 s0, 0
.LBB44_2342:
	s_delay_alu instid0(SALU_CYCLE_1)
	s_and_not1_b32 vcc_lo, exec_lo, s0
	s_cbranch_vccnz .LBB44_2344
; %bb.2343:
	global_load_b32 v2, v[0:1], off
	s_waitcnt vmcnt(0)
	v_cvt_f32_f16_e32 v43, v2
.LBB44_2344:
	s_mov_b32 s0, 0
.LBB44_2345:
	s_delay_alu instid0(SALU_CYCLE_1)
	s_and_not1_b32 vcc_lo, exec_lo, s0
	s_cbranch_vccnz .LBB44_2356
; %bb.2346:
	v_cmp_lt_i16_e64 s0, s46, 6
	s_delay_alu instid0(VALU_DEP_1)
	s_and_b32 vcc_lo, exec_lo, s0
	s_cbranch_vccnz .LBB44_2349
; %bb.2347:
	v_cmp_gt_i16_e64 s0, s46, 6
	s_delay_alu instid0(VALU_DEP_1)
	s_and_b32 vcc_lo, exec_lo, s0
	s_cbranch_vccz .LBB44_2350
; %bb.2348:
	global_load_b64 v[2:3], v[0:1], off
	s_mov_b32 s0, 0
	s_waitcnt vmcnt(0)
	v_cvt_f32_f64_e32 v43, v[2:3]
	s_branch .LBB44_2351
.LBB44_2349:
	s_mov_b32 s0, -1
                                        ; implicit-def: $vgpr43
	s_branch .LBB44_2354
.LBB44_2350:
	s_mov_b32 s0, -1
                                        ; implicit-def: $vgpr43
.LBB44_2351:
	s_delay_alu instid0(SALU_CYCLE_1)
	s_and_not1_b32 vcc_lo, exec_lo, s0
	s_cbranch_vccnz .LBB44_2353
; %bb.2352:
	global_load_b32 v43, v[0:1], off
.LBB44_2353:
	s_mov_b32 s0, 0
.LBB44_2354:
	s_delay_alu instid0(SALU_CYCLE_1)
	s_and_not1_b32 vcc_lo, exec_lo, s0
	s_cbranch_vccnz .LBB44_2356
; %bb.2355:
	global_load_u16 v2, v[0:1], off
	s_waitcnt vmcnt(0)
	v_cvt_f32_f16_e32 v43, v2
.LBB44_2356:
	s_mov_b32 s0, 0
.LBB44_2357:
	s_delay_alu instid0(SALU_CYCLE_1)
	s_and_not1_b32 vcc_lo, exec_lo, s0
	s_cbranch_vccnz .LBB44_2377
; %bb.2358:
	v_cmp_lt_i16_e64 s0, s46, 2
	s_delay_alu instid0(VALU_DEP_1)
	s_and_b32 vcc_lo, exec_lo, s0
	s_cbranch_vccnz .LBB44_2362
; %bb.2359:
	v_cmp_lt_i16_e64 s0, s46, 3
	s_delay_alu instid0(VALU_DEP_1)
	s_and_b32 vcc_lo, exec_lo, s0
	s_cbranch_vccnz .LBB44_2363
; %bb.2360:
	v_cmp_gt_i16_e64 s0, s46, 3
	s_delay_alu instid0(VALU_DEP_1)
	s_and_b32 vcc_lo, exec_lo, s0
	s_cbranch_vccz .LBB44_2364
; %bb.2361:
	global_load_b64 v[2:3], v[0:1], off
	s_mov_b32 s0, 0
	s_waitcnt vmcnt(0)
	v_xor_b32_e32 v4, v2, v3
	v_cls_i32_e32 v5, v3
	s_delay_alu instid0(VALU_DEP_2) | instskip(NEXT) | instid1(VALU_DEP_2)
	v_ashrrev_i32_e32 v4, 31, v4
	v_add_nc_u32_e32 v5, -1, v5
	s_delay_alu instid0(VALU_DEP_2) | instskip(NEXT) | instid1(VALU_DEP_1)
	v_add_nc_u32_e32 v4, 32, v4
	v_min_u32_e32 v4, v5, v4
	s_delay_alu instid0(VALU_DEP_1) | instskip(NEXT) | instid1(VALU_DEP_1)
	v_lshlrev_b64 v[2:3], v4, v[2:3]
	v_min_u32_e32 v2, 1, v2
	s_delay_alu instid0(VALU_DEP_1) | instskip(SKIP_1) | instid1(VALU_DEP_2)
	v_or_b32_e32 v2, v3, v2
	v_sub_nc_u32_e32 v3, 32, v4
	v_cvt_f32_i32_e32 v2, v2
	s_delay_alu instid0(VALU_DEP_1)
	v_ldexp_f32 v43, v2, v3
	s_branch .LBB44_2365
.LBB44_2362:
	s_mov_b32 s0, -1
                                        ; implicit-def: $vgpr43
	s_branch .LBB44_2371
.LBB44_2363:
	s_mov_b32 s0, -1
                                        ; implicit-def: $vgpr43
	s_branch .LBB44_2368
.LBB44_2364:
	s_mov_b32 s0, -1
                                        ; implicit-def: $vgpr43
.LBB44_2365:
	s_delay_alu instid0(SALU_CYCLE_1)
	s_and_not1_b32 vcc_lo, exec_lo, s0
	s_cbranch_vccnz .LBB44_2367
; %bb.2366:
	global_load_b32 v2, v[0:1], off
	s_waitcnt vmcnt(0)
	v_cvt_f32_i32_e32 v43, v2
.LBB44_2367:
	s_mov_b32 s0, 0
.LBB44_2368:
	s_delay_alu instid0(SALU_CYCLE_1)
	s_and_not1_b32 vcc_lo, exec_lo, s0
	s_cbranch_vccnz .LBB44_2370
; %bb.2369:
	global_load_i16 v2, v[0:1], off
	s_waitcnt vmcnt(0)
	v_cvt_f32_i32_e32 v43, v2
.LBB44_2370:
	s_mov_b32 s0, 0
.LBB44_2371:
	s_delay_alu instid0(SALU_CYCLE_1)
	s_and_not1_b32 vcc_lo, exec_lo, s0
	s_cbranch_vccnz .LBB44_2377
; %bb.2372:
	v_cmp_gt_i16_e64 s0, s46, 0
	s_delay_alu instid0(VALU_DEP_1)
	s_and_b32 vcc_lo, exec_lo, s0
	s_mov_b32 s0, 0
	s_cbranch_vccz .LBB44_2374
; %bb.2373:
	global_load_i8 v2, v[0:1], off
	s_waitcnt vmcnt(0)
	v_cvt_f32_i32_e32 v43, v2
	s_branch .LBB44_2375
.LBB44_2374:
	s_mov_b32 s0, -1
                                        ; implicit-def: $vgpr43
.LBB44_2375:
	s_delay_alu instid0(SALU_CYCLE_1)
	s_and_not1_b32 vcc_lo, exec_lo, s0
	s_cbranch_vccnz .LBB44_2377
; %bb.2376:
	global_load_u8 v0, v[0:1], off
	s_waitcnt vmcnt(0)
	v_cvt_f32_ubyte0_e32 v43, v0
.LBB44_2377:
	s_mov_b32 s2, -1
.LBB44_2378:
	s_delay_alu instid0(SALU_CYCLE_1)
	s_and_not1_b32 vcc_lo, exec_lo, s2
	s_cbranch_vccnz .LBB44_2654
; %bb.2379:
	s_and_b32 vcc_lo, exec_lo, s47
	s_cbranch_vccz .LBB44_2381
; %bb.2380:
	s_waitcnt vmcnt(0)
	s_delay_alu instid0(VALU_DEP_1) | instskip(SKIP_3) | instid1(SALU_CYCLE_1)
	v_dual_mov_b32 v0, v40 :: v_dual_mov_b32 v1, v43
	s_getpc_b64 s[0:1]
	s_add_u32 s0, s0, _ZN12_GLOBAL__N_111calc_igammaIfEET_S1_S1_@rel32@lo+4
	s_addc_u32 s1, s1, _ZN12_GLOBAL__N_111calc_igammaIfEET_S1_S1_@rel32@hi+12
	s_swappc_b64 s[30:31], s[0:1]
	v_mov_b32_e32 v46, v0
	s_mov_b32 s0, 0
	s_branch .LBB44_2382
.LBB44_2381:
	s_mov_b32 s0, -1
                                        ; implicit-def: $vgpr46
.LBB44_2382:
	s_delay_alu instid0(SALU_CYCLE_1)
	s_and_not1_b32 vcc_lo, exec_lo, s0
	s_cbranch_vccnz .LBB44_2384
; %bb.2383:
	s_waitcnt vmcnt(0)
	s_delay_alu instid0(VALU_DEP_1) | instskip(SKIP_3) | instid1(SALU_CYCLE_1)
	v_dual_mov_b32 v0, v40 :: v_dual_mov_b32 v1, v43
	s_getpc_b64 s[0:1]
	s_add_u32 s0, s0, _ZN12_GLOBAL__N_112calc_igammacIfEET_S1_S1_@rel32@lo+4
	s_addc_u32 s1, s1, _ZN12_GLOBAL__N_112calc_igammacIfEET_S1_S1_@rel32@hi+12
	s_swappc_b64 s[30:31], s[0:1]
	v_mov_b32_e32 v46, v0
.LBB44_2384:
	v_add_nc_u32_e32 v0, s41, v56
	v_cmp_gt_i16_e32 vcc_lo, 11, v47
	s_delay_alu instid0(VALU_DEP_2) | instskip(SKIP_1) | instid1(VALU_DEP_1)
	v_ashrrev_i32_e32 v1, 31, v0
	v_add_co_u32 v0, s0, s38, v0
	v_add_co_ci_u32_e64 v1, s0, s39, v1, s0
	s_cbranch_vccnz .LBB44_2391
; %bb.2385:
	v_cmp_lt_i16_e32 vcc_lo, 25, v47
	s_mov_b32 s1, 0
	s_cbranch_vccz .LBB44_2392
; %bb.2386:
	v_cmp_lt_i16_e32 vcc_lo, 28, v47
	s_cbranch_vccz .LBB44_2393
; %bb.2387:
	v_cmp_lt_i16_e32 vcc_lo, 43, v47
	;; [unrolled: 3-line block ×3, first 2 shown]
	s_cbranch_vccz .LBB44_2397
; %bb.2389:
	v_cmp_eq_u16_e32 vcc_lo, 46, v47
	s_mov_b32 s3, 0
	s_cbranch_vccz .LBB44_2400
; %bb.2390:
	global_load_b32 v2, v[0:1], off
	s_mov_b32 s0, 0
	s_mov_b32 s2, -1
	s_waitcnt vmcnt(0)
	v_lshlrev_b32_e32 v40, 16, v2
	s_branch .LBB44_2402
.LBB44_2391:
	s_mov_b32 s0, -1
	s_mov_b32 s2, 0
                                        ; implicit-def: $vgpr40
	s_branch .LBB44_2468
.LBB44_2392:
	s_mov_b32 s3, -1
	s_mov_b32 s2, 0
	s_mov_b32 s0, 0
                                        ; implicit-def: $vgpr40
	s_branch .LBB44_2431
.LBB44_2393:
	s_mov_b32 s3, -1
	s_mov_b32 s2, 0
	s_mov_b32 s0, 0
                                        ; implicit-def: $vgpr40
	s_branch .LBB44_2412
.LBB44_2394:
	s_mov_b32 s3, -1
	s_mov_b32 s2, 0
	s_mov_b32 s0, 0
                                        ; implicit-def: $vgpr40
	s_branch .LBB44_2407
.LBB44_2395:
	s_cbranch_execnz .LBB44_2398
; %bb.2396:
	s_or_b32 s48, s48, exec_lo
                                        ; implicit-def: $vgpr43
	s_cbranch_execz .LBB44_2327
	s_branch .LBB44_2328
.LBB44_2397:
	s_mov_b32 s3, -1
	s_mov_b32 s2, 0
	s_mov_b32 s0, 0
	s_branch .LBB44_2401
.LBB44_2398:
	s_trap 2
	s_sendmsg_rtn_b32 s0, sendmsg(MSG_RTN_GET_DOORBELL)
	s_mov_b32 ttmp2, m0
	s_waitcnt lgkmcnt(0)
	s_and_b32 s0, s0, 0x3ff
	s_delay_alu instid0(SALU_CYCLE_1) | instskip(NEXT) | instid1(SALU_CYCLE_1)
	s_bitset1_b32 s0, 10
	s_mov_b32 m0, s0
	s_sendmsg sendmsg(MSG_INTERRUPT)
	s_mov_b32 m0, ttmp2
.LBB44_2399:                            ; =>This Inner Loop Header: Depth=1
	s_sethalt 5
	s_branch .LBB44_2399
.LBB44_2400:
	s_mov_b32 s0, -1
	s_mov_b32 s2, 0
.LBB44_2401:
                                        ; implicit-def: $vgpr40
.LBB44_2402:
	s_and_b32 vcc_lo, exec_lo, s3
	s_cbranch_vccz .LBB44_2406
; %bb.2403:
	v_cmp_eq_u16_e32 vcc_lo, 44, v47
	s_cbranch_vccz .LBB44_2405
; %bb.2404:
	global_load_u8 v2, v[0:1], off
	s_mov_b32 s0, 0
	s_mov_b32 s2, -1
	s_waitcnt vmcnt(0)
	v_lshlrev_b32_e32 v3, 23, v2
	v_cmp_ne_u32_e32 vcc_lo, 0xff, v2
	s_delay_alu instid0(VALU_DEP_2) | instskip(SKIP_1) | instid1(VALU_DEP_2)
	v_cndmask_b32_e32 v3, 0x7f800001, v3, vcc_lo
	v_cmp_ne_u32_e32 vcc_lo, 0, v2
	v_cndmask_b32_e32 v40, 0x400000, v3, vcc_lo
	s_branch .LBB44_2406
.LBB44_2405:
	s_mov_b32 s0, -1
                                        ; implicit-def: $vgpr40
.LBB44_2406:
	s_mov_b32 s3, 0
.LBB44_2407:
	s_delay_alu instid0(SALU_CYCLE_1)
	s_and_b32 vcc_lo, exec_lo, s3
	s_cbranch_vccz .LBB44_2411
; %bb.2408:
	v_cmp_eq_u16_e32 vcc_lo, 29, v47
	s_cbranch_vccz .LBB44_2410
; %bb.2409:
	global_load_b64 v[2:3], v[0:1], off
	s_mov_b32 s0, 0
	s_mov_b32 s2, -1
	s_mov_b32 s3, 0
	s_waitcnt vmcnt(0)
	v_clz_i32_u32_e32 v4, v3
	s_delay_alu instid0(VALU_DEP_1) | instskip(NEXT) | instid1(VALU_DEP_1)
	v_min_u32_e32 v4, 32, v4
	v_lshlrev_b64 v[2:3], v4, v[2:3]
	s_delay_alu instid0(VALU_DEP_1) | instskip(NEXT) | instid1(VALU_DEP_1)
	v_min_u32_e32 v2, 1, v2
	v_or_b32_e32 v2, v3, v2
	v_sub_nc_u32_e32 v3, 32, v4
	s_delay_alu instid0(VALU_DEP_2) | instskip(NEXT) | instid1(VALU_DEP_1)
	v_cvt_f32_u32_e32 v2, v2
	v_ldexp_f32 v40, v2, v3
	s_branch .LBB44_2412
.LBB44_2410:
	s_mov_b32 s0, -1
                                        ; implicit-def: $vgpr40
.LBB44_2411:
	s_mov_b32 s3, 0
.LBB44_2412:
	s_delay_alu instid0(SALU_CYCLE_1)
	s_and_b32 vcc_lo, exec_lo, s3
	s_cbranch_vccz .LBB44_2430
; %bb.2413:
	v_cmp_gt_i16_e32 vcc_lo, 27, v47
	s_cbranch_vccnz .LBB44_2416
; %bb.2414:
	v_cmp_lt_i16_e32 vcc_lo, 27, v47
	s_cbranch_vccz .LBB44_2417
; %bb.2415:
	global_load_b32 v2, v[0:1], off
	s_mov_b32 s2, 0
	s_waitcnt vmcnt(0)
	v_cvt_f32_u32_e32 v40, v2
	s_branch .LBB44_2418
.LBB44_2416:
	s_mov_b32 s2, -1
                                        ; implicit-def: $vgpr40
	s_branch .LBB44_2421
.LBB44_2417:
	s_mov_b32 s2, -1
                                        ; implicit-def: $vgpr40
.LBB44_2418:
	s_delay_alu instid0(SALU_CYCLE_1)
	s_and_not1_b32 vcc_lo, exec_lo, s2
	s_cbranch_vccnz .LBB44_2420
; %bb.2419:
	global_load_u16 v2, v[0:1], off
	s_waitcnt vmcnt(0)
	v_cvt_f32_u32_e32 v40, v2
.LBB44_2420:
	s_mov_b32 s2, 0
.LBB44_2421:
	s_delay_alu instid0(SALU_CYCLE_1)
	s_and_not1_b32 vcc_lo, exec_lo, s2
	s_cbranch_vccnz .LBB44_2429
; %bb.2422:
	global_load_u8 v2, v[0:1], off
	s_mov_b32 s2, 0
	s_mov_b32 s4, exec_lo
                                        ; implicit-def: $sgpr3
	s_waitcnt vmcnt(0)
	v_cmpx_lt_i16_e32 0x7f, v2
	s_xor_b32 s4, exec_lo, s4
	s_cbranch_execz .LBB44_2443
; %bb.2423:
	s_mov_b32 s2, -1
	s_mov_b32 s5, exec_lo
                                        ; implicit-def: $sgpr3
	v_cmpx_eq_u16_e32 0x80, v2
; %bb.2424:
	s_mov_b32 s3, 0x7f800001
	s_xor_b32 s2, exec_lo, -1
; %bb.2425:
	s_or_b32 exec_lo, exec_lo, s5
	s_delay_alu instid0(SALU_CYCLE_1)
	s_and_b32 s2, s2, exec_lo
	s_or_saveexec_b32 s4, s4
	v_mov_b32_e32 v40, s3
	s_xor_b32 exec_lo, exec_lo, s4
	s_cbranch_execnz .LBB44_2444
.LBB44_2426:
	s_or_b32 exec_lo, exec_lo, s4
	s_and_saveexec_b32 s3, s2
	s_cbranch_execz .LBB44_2428
.LBB44_2427:
	v_and_b32_e32 v3, 0xffff, v2
	v_lshlrev_b32_e32 v2, 24, v2
	s_delay_alu instid0(VALU_DEP_2) | instskip(NEXT) | instid1(VALU_DEP_2)
	v_and_b32_e32 v4, 7, v3
	v_and_b32_e32 v2, 0x80000000, v2
	s_delay_alu instid0(VALU_DEP_2) | instskip(NEXT) | instid1(VALU_DEP_1)
	v_clz_i32_u32_e32 v5, v4
	v_min_u32_e32 v5, 32, v5
	s_delay_alu instid0(VALU_DEP_1) | instskip(SKIP_1) | instid1(VALU_DEP_2)
	v_subrev_nc_u32_e32 v6, 28, v5
	v_sub_nc_u32_e32 v5, 29, v5
	v_lshlrev_b32_e32 v6, v6, v3
	v_bfe_u32 v3, v3, 3, 4
	s_delay_alu instid0(VALU_DEP_2) | instskip(NEXT) | instid1(VALU_DEP_2)
	v_and_b32_e32 v6, 7, v6
	v_cmp_eq_u32_e32 vcc_lo, 0, v3
	s_delay_alu instid0(VALU_DEP_2) | instskip(NEXT) | instid1(VALU_DEP_1)
	v_dual_cndmask_b32 v3, v3, v5 :: v_dual_cndmask_b32 v4, v4, v6
	v_lshl_add_u32 v3, v3, 23, 0x3b800000
	s_delay_alu instid0(VALU_DEP_2) | instskip(NEXT) | instid1(VALU_DEP_1)
	v_lshlrev_b32_e32 v4, 20, v4
	v_or3_b32 v40, v2, v3, v4
.LBB44_2428:
	s_or_b32 exec_lo, exec_lo, s3
.LBB44_2429:
	s_mov_b32 s2, -1
.LBB44_2430:
	s_mov_b32 s3, 0
.LBB44_2431:
	s_delay_alu instid0(SALU_CYCLE_1)
	s_and_b32 vcc_lo, exec_lo, s3
	s_cbranch_vccz .LBB44_2464
; %bb.2432:
	v_cmp_lt_i16_e32 vcc_lo, 22, v47
	s_cbranch_vccz .LBB44_2442
; %bb.2433:
	v_cmp_gt_i16_e32 vcc_lo, 24, v47
	s_cbranch_vccnz .LBB44_2445
; %bb.2434:
	v_cmp_lt_i16_e32 vcc_lo, 24, v47
	s_cbranch_vccz .LBB44_2446
; %bb.2435:
	global_load_u8 v2, v[0:1], off
	s_mov_b32 s3, exec_lo
                                        ; implicit-def: $sgpr2
	s_waitcnt vmcnt(0)
	v_cmpx_lt_i16_e32 0x7f, v2
	s_xor_b32 s3, exec_lo, s3
	s_cbranch_execz .LBB44_2458
; %bb.2436:
	s_mov_b32 s1, -1
	s_mov_b32 s4, exec_lo
                                        ; implicit-def: $sgpr2
	v_cmpx_eq_u16_e32 0x80, v2
; %bb.2437:
	s_mov_b32 s2, 0x7f800001
	s_xor_b32 s1, exec_lo, -1
; %bb.2438:
	s_or_b32 exec_lo, exec_lo, s4
	s_delay_alu instid0(SALU_CYCLE_1)
	s_and_b32 s1, s1, exec_lo
	s_or_saveexec_b32 s3, s3
	v_mov_b32_e32 v40, s2
	s_xor_b32 exec_lo, exec_lo, s3
	s_cbranch_execnz .LBB44_2459
.LBB44_2439:
	s_or_b32 exec_lo, exec_lo, s3
	s_and_saveexec_b32 s2, s1
	s_cbranch_execz .LBB44_2441
.LBB44_2440:
	v_and_b32_e32 v3, 0xffff, v2
	v_lshlrev_b32_e32 v2, 24, v2
	s_delay_alu instid0(VALU_DEP_2) | instskip(NEXT) | instid1(VALU_DEP_2)
	v_and_b32_e32 v4, 3, v3
	v_and_b32_e32 v2, 0x80000000, v2
	s_delay_alu instid0(VALU_DEP_2) | instskip(NEXT) | instid1(VALU_DEP_1)
	v_clz_i32_u32_e32 v5, v4
	v_min_u32_e32 v5, 32, v5
	s_delay_alu instid0(VALU_DEP_1) | instskip(SKIP_1) | instid1(VALU_DEP_2)
	v_subrev_nc_u32_e32 v6, 29, v5
	v_sub_nc_u32_e32 v5, 30, v5
	v_lshlrev_b32_e32 v6, v6, v3
	v_bfe_u32 v3, v3, 2, 5
	s_delay_alu instid0(VALU_DEP_2) | instskip(NEXT) | instid1(VALU_DEP_2)
	v_and_b32_e32 v6, 3, v6
	v_cmp_eq_u32_e32 vcc_lo, 0, v3
	s_delay_alu instid0(VALU_DEP_2) | instskip(NEXT) | instid1(VALU_DEP_1)
	v_dual_cndmask_b32 v3, v3, v5 :: v_dual_cndmask_b32 v4, v4, v6
	v_lshl_add_u32 v3, v3, 23, 0x37800000
	s_delay_alu instid0(VALU_DEP_2) | instskip(NEXT) | instid1(VALU_DEP_1)
	v_lshlrev_b32_e32 v4, 21, v4
	v_or3_b32 v40, v2, v3, v4
.LBB44_2441:
	s_or_b32 exec_lo, exec_lo, s2
	s_mov_b32 s1, 0
	s_branch .LBB44_2447
.LBB44_2442:
	s_mov_b32 s1, -1
                                        ; implicit-def: $vgpr40
	s_branch .LBB44_2453
.LBB44_2443:
	s_or_saveexec_b32 s4, s4
	v_mov_b32_e32 v40, s3
	s_xor_b32 exec_lo, exec_lo, s4
	s_cbranch_execz .LBB44_2426
.LBB44_2444:
	v_cmp_ne_u16_e32 vcc_lo, 0, v2
	v_mov_b32_e32 v40, 0
	s_and_not1_b32 s2, s2, exec_lo
	s_and_b32 s3, vcc_lo, exec_lo
	s_delay_alu instid0(SALU_CYCLE_1)
	s_or_b32 s2, s2, s3
	s_or_b32 exec_lo, exec_lo, s4
	s_and_saveexec_b32 s3, s2
	s_cbranch_execnz .LBB44_2427
	s_branch .LBB44_2428
.LBB44_2445:
	s_mov_b32 s1, -1
                                        ; implicit-def: $vgpr40
	s_branch .LBB44_2450
.LBB44_2446:
	s_mov_b32 s1, -1
                                        ; implicit-def: $vgpr40
.LBB44_2447:
	s_delay_alu instid0(SALU_CYCLE_1)
	s_and_b32 vcc_lo, exec_lo, s1
	s_cbranch_vccz .LBB44_2449
; %bb.2448:
	global_load_u8 v2, v[0:1], off
	s_waitcnt vmcnt(0)
	v_lshlrev_b32_e32 v2, 24, v2
	s_delay_alu instid0(VALU_DEP_1) | instskip(NEXT) | instid1(VALU_DEP_1)
	v_and_b32_e32 v3, 0x7f000000, v2
	v_clz_i32_u32_e32 v4, v3
	v_add_nc_u32_e32 v6, 0x1000000, v3
	v_cmp_ne_u32_e32 vcc_lo, 0, v3
	s_delay_alu instid0(VALU_DEP_3) | instskip(NEXT) | instid1(VALU_DEP_1)
	v_min_u32_e32 v4, 32, v4
	v_sub_nc_u32_e64 v4, v4, 4 clamp
	s_delay_alu instid0(VALU_DEP_1) | instskip(SKIP_1) | instid1(VALU_DEP_2)
	v_lshlrev_b32_e32 v5, v4, v3
	v_lshlrev_b32_e32 v4, 23, v4
	v_lshrrev_b32_e32 v5, 4, v5
	s_delay_alu instid0(VALU_DEP_1) | instskip(SKIP_1) | instid1(VALU_DEP_2)
	v_sub_nc_u32_e32 v4, v5, v4
	v_ashrrev_i32_e32 v5, 8, v6
	v_add_nc_u32_e32 v4, 0x3c000000, v4
	s_delay_alu instid0(VALU_DEP_1) | instskip(NEXT) | instid1(VALU_DEP_1)
	v_and_or_b32 v4, 0x7f800000, v5, v4
	v_cndmask_b32_e32 v3, 0, v4, vcc_lo
	s_delay_alu instid0(VALU_DEP_1)
	v_and_or_b32 v40, 0x80000000, v2, v3
.LBB44_2449:
	s_mov_b32 s1, 0
.LBB44_2450:
	s_delay_alu instid0(SALU_CYCLE_1)
	s_and_not1_b32 vcc_lo, exec_lo, s1
	s_cbranch_vccnz .LBB44_2452
; %bb.2451:
	global_load_u8 v2, v[0:1], off
	s_waitcnt vmcnt(0)
	v_lshlrev_b32_e32 v3, 25, v2
	v_lshlrev_b16 v2, 8, v2
	s_delay_alu instid0(VALU_DEP_2) | instskip(NEXT) | instid1(VALU_DEP_2)
	v_lshrrev_b32_e32 v4, 4, v3
	v_and_or_b32 v5, 0x7f00, v2, 0.5
	v_bfe_i32 v2, v2, 0, 16
	s_delay_alu instid0(VALU_DEP_3) | instskip(NEXT) | instid1(VALU_DEP_1)
	v_or_b32_e32 v4, 0x70000000, v4
	v_dual_add_f32 v5, -0.5, v5 :: v_dual_mul_f32 v4, 0x7800000, v4
	v_cmp_gt_u32_e32 vcc_lo, 0x8000000, v3
	s_delay_alu instid0(VALU_DEP_2) | instskip(NEXT) | instid1(VALU_DEP_1)
	v_cndmask_b32_e32 v3, v4, v5, vcc_lo
	v_and_or_b32 v40, 0x80000000, v2, v3
.LBB44_2452:
	s_mov_b32 s1, 0
	s_mov_b32 s2, -1
.LBB44_2453:
	s_and_not1_b32 vcc_lo, exec_lo, s1
	s_mov_b32 s1, 0
	s_cbranch_vccnz .LBB44_2464
; %bb.2454:
	v_cmp_lt_i16_e32 vcc_lo, 14, v47
	s_cbranch_vccz .LBB44_2457
; %bb.2455:
	v_cmp_eq_u16_e32 vcc_lo, 15, v47
	s_cbranch_vccz .LBB44_2460
; %bb.2456:
	global_load_u16 v2, v[0:1], off
	s_mov_b32 s0, 0
	s_mov_b32 s2, -1
	s_waitcnt vmcnt(0)
	v_lshlrev_b32_e32 v40, 16, v2
	s_branch .LBB44_2462
.LBB44_2457:
	s_mov_b32 s1, -1
	s_branch .LBB44_2461
.LBB44_2458:
	s_or_saveexec_b32 s3, s3
	v_mov_b32_e32 v40, s2
	s_xor_b32 exec_lo, exec_lo, s3
	s_cbranch_execz .LBB44_2439
.LBB44_2459:
	v_cmp_ne_u16_e32 vcc_lo, 0, v2
	v_mov_b32_e32 v40, 0
	s_and_not1_b32 s1, s1, exec_lo
	s_and_b32 s2, vcc_lo, exec_lo
	s_delay_alu instid0(SALU_CYCLE_1)
	s_or_b32 s1, s1, s2
	s_or_b32 exec_lo, exec_lo, s3
	s_and_saveexec_b32 s2, s1
	s_cbranch_execnz .LBB44_2440
	s_branch .LBB44_2441
.LBB44_2460:
	s_mov_b32 s0, -1
.LBB44_2461:
                                        ; implicit-def: $vgpr40
.LBB44_2462:
	s_and_b32 vcc_lo, exec_lo, s1
	s_mov_b32 s1, 0
	s_cbranch_vccz .LBB44_2464
; %bb.2463:
	v_cmp_ne_u16_e64 s0, 11, v47
	s_mov_b32 s1, -1
                                        ; implicit-def: $vgpr40
.LBB44_2464:
	s_delay_alu instid0(VALU_DEP_1)
	s_and_b32 vcc_lo, exec_lo, s0
	s_cbranch_vccnz .LBB44_2529
; %bb.2465:
	s_and_not1_b32 vcc_lo, exec_lo, s1
	s_cbranch_vccnz .LBB44_2467
.LBB44_2466:
	global_load_u8 v2, v[0:1], off
	s_mov_b32 s2, -1
	s_waitcnt vmcnt(0)
	v_cmp_ne_u16_e32 vcc_lo, 0, v2
	v_cndmask_b32_e64 v40, 0, 1.0, vcc_lo
.LBB44_2467:
	s_mov_b32 s0, 0
.LBB44_2468:
	s_delay_alu instid0(SALU_CYCLE_1)
	s_and_b32 vcc_lo, exec_lo, s0
	s_cbranch_vccz .LBB44_2517
; %bb.2469:
	v_cmp_gt_i16_e32 vcc_lo, 5, v47
	s_cbranch_vccnz .LBB44_2474
; %bb.2470:
	v_cmp_gt_i16_e32 vcc_lo, 8, v47
	s_cbranch_vccnz .LBB44_2475
	;; [unrolled: 3-line block ×3, first 2 shown]
; %bb.2472:
	v_cmp_lt_i16_e32 vcc_lo, 9, v47
	s_cbranch_vccz .LBB44_2477
; %bb.2473:
	global_load_b64 v[2:3], v[0:1], off
	s_mov_b32 s0, 0
	s_waitcnt vmcnt(0)
	v_cvt_f32_f64_e32 v40, v[2:3]
	s_branch .LBB44_2478
.LBB44_2474:
	s_mov_b32 s0, -1
                                        ; implicit-def: $vgpr40
	s_branch .LBB44_2496
.LBB44_2475:
	s_mov_b32 s0, -1
                                        ; implicit-def: $vgpr40
	s_branch .LBB44_2484
.LBB44_2476:
	s_mov_b32 s0, -1
                                        ; implicit-def: $vgpr40
	s_branch .LBB44_2481
.LBB44_2477:
	s_mov_b32 s0, -1
                                        ; implicit-def: $vgpr40
.LBB44_2478:
	s_delay_alu instid0(SALU_CYCLE_1)
	s_and_not1_b32 vcc_lo, exec_lo, s0
	s_cbranch_vccnz .LBB44_2480
; %bb.2479:
	global_load_b32 v40, v[0:1], off
.LBB44_2480:
	s_mov_b32 s0, 0
.LBB44_2481:
	s_delay_alu instid0(SALU_CYCLE_1)
	s_and_not1_b32 vcc_lo, exec_lo, s0
	s_cbranch_vccnz .LBB44_2483
; %bb.2482:
	global_load_b32 v2, v[0:1], off
	s_waitcnt vmcnt(0)
	v_cvt_f32_f16_e32 v40, v2
.LBB44_2483:
	s_mov_b32 s0, 0
.LBB44_2484:
	s_delay_alu instid0(SALU_CYCLE_1)
	s_and_not1_b32 vcc_lo, exec_lo, s0
	s_cbranch_vccnz .LBB44_2495
; %bb.2485:
	v_cmp_gt_i16_e32 vcc_lo, 6, v47
	s_cbranch_vccnz .LBB44_2488
; %bb.2486:
	v_cmp_lt_i16_e32 vcc_lo, 6, v47
	s_cbranch_vccz .LBB44_2489
; %bb.2487:
	global_load_b64 v[2:3], v[0:1], off
	s_mov_b32 s0, 0
	s_waitcnt vmcnt(0)
	v_cvt_f32_f64_e32 v40, v[2:3]
	s_branch .LBB44_2490
.LBB44_2488:
	s_mov_b32 s0, -1
                                        ; implicit-def: $vgpr40
	s_branch .LBB44_2493
.LBB44_2489:
	s_mov_b32 s0, -1
                                        ; implicit-def: $vgpr40
.LBB44_2490:
	s_delay_alu instid0(SALU_CYCLE_1)
	s_and_not1_b32 vcc_lo, exec_lo, s0
	s_cbranch_vccnz .LBB44_2492
; %bb.2491:
	global_load_b32 v40, v[0:1], off
.LBB44_2492:
	s_mov_b32 s0, 0
.LBB44_2493:
	s_delay_alu instid0(SALU_CYCLE_1)
	s_and_not1_b32 vcc_lo, exec_lo, s0
	s_cbranch_vccnz .LBB44_2495
; %bb.2494:
	global_load_u16 v2, v[0:1], off
	s_waitcnt vmcnt(0)
	v_cvt_f32_f16_e32 v40, v2
.LBB44_2495:
	s_mov_b32 s0, 0
.LBB44_2496:
	s_delay_alu instid0(SALU_CYCLE_1)
	s_and_not1_b32 vcc_lo, exec_lo, s0
	s_cbranch_vccnz .LBB44_2516
; %bb.2497:
	v_cmp_gt_i16_e32 vcc_lo, 2, v47
	s_cbranch_vccnz .LBB44_2501
; %bb.2498:
	v_cmp_gt_i16_e32 vcc_lo, 3, v47
	s_cbranch_vccnz .LBB44_2502
; %bb.2499:
	v_cmp_lt_i16_e32 vcc_lo, 3, v47
	s_cbranch_vccz .LBB44_2503
; %bb.2500:
	global_load_b64 v[2:3], v[0:1], off
	s_mov_b32 s0, 0
	s_waitcnt vmcnt(0)
	v_xor_b32_e32 v4, v2, v3
	v_cls_i32_e32 v5, v3
	s_delay_alu instid0(VALU_DEP_2) | instskip(NEXT) | instid1(VALU_DEP_2)
	v_ashrrev_i32_e32 v4, 31, v4
	v_add_nc_u32_e32 v5, -1, v5
	s_delay_alu instid0(VALU_DEP_2) | instskip(NEXT) | instid1(VALU_DEP_1)
	v_add_nc_u32_e32 v4, 32, v4
	v_min_u32_e32 v4, v5, v4
	s_delay_alu instid0(VALU_DEP_1) | instskip(NEXT) | instid1(VALU_DEP_1)
	v_lshlrev_b64 v[2:3], v4, v[2:3]
	v_min_u32_e32 v2, 1, v2
	s_delay_alu instid0(VALU_DEP_1) | instskip(SKIP_1) | instid1(VALU_DEP_2)
	v_or_b32_e32 v2, v3, v2
	v_sub_nc_u32_e32 v3, 32, v4
	v_cvt_f32_i32_e32 v2, v2
	s_delay_alu instid0(VALU_DEP_1)
	v_ldexp_f32 v40, v2, v3
	s_branch .LBB44_2504
.LBB44_2501:
	s_mov_b32 s0, -1
                                        ; implicit-def: $vgpr40
	s_branch .LBB44_2510
.LBB44_2502:
	s_mov_b32 s0, -1
                                        ; implicit-def: $vgpr40
	s_branch .LBB44_2507
.LBB44_2503:
	s_mov_b32 s0, -1
                                        ; implicit-def: $vgpr40
.LBB44_2504:
	s_delay_alu instid0(SALU_CYCLE_1)
	s_and_not1_b32 vcc_lo, exec_lo, s0
	s_cbranch_vccnz .LBB44_2506
; %bb.2505:
	global_load_b32 v2, v[0:1], off
	s_waitcnt vmcnt(0)
	v_cvt_f32_i32_e32 v40, v2
.LBB44_2506:
	s_mov_b32 s0, 0
.LBB44_2507:
	s_delay_alu instid0(SALU_CYCLE_1)
	s_and_not1_b32 vcc_lo, exec_lo, s0
	s_cbranch_vccnz .LBB44_2509
; %bb.2508:
	global_load_i16 v2, v[0:1], off
	s_waitcnt vmcnt(0)
	v_cvt_f32_i32_e32 v40, v2
.LBB44_2509:
	s_mov_b32 s0, 0
.LBB44_2510:
	s_delay_alu instid0(SALU_CYCLE_1)
	s_and_not1_b32 vcc_lo, exec_lo, s0
	s_cbranch_vccnz .LBB44_2516
; %bb.2511:
	v_cmp_lt_i16_e32 vcc_lo, 0, v47
	s_mov_b32 s0, 0
	s_cbranch_vccz .LBB44_2513
; %bb.2512:
	global_load_i8 v2, v[0:1], off
	s_waitcnt vmcnt(0)
	v_cvt_f32_i32_e32 v40, v2
	s_branch .LBB44_2514
.LBB44_2513:
	s_mov_b32 s0, -1
                                        ; implicit-def: $vgpr40
.LBB44_2514:
	s_delay_alu instid0(SALU_CYCLE_1)
	s_and_not1_b32 vcc_lo, exec_lo, s0
	s_cbranch_vccnz .LBB44_2516
; %bb.2515:
	global_load_u8 v0, v[0:1], off
	s_waitcnt vmcnt(0)
	v_cvt_f32_ubyte0_e32 v40, v0
.LBB44_2516:
	s_mov_b32 s2, -1
.LBB44_2517:
	s_delay_alu instid0(SALU_CYCLE_1)
	s_and_not1_b32 vcc_lo, exec_lo, s2
	s_cbranch_vccnz .LBB44_2654
; %bb.2518:
	v_add_nc_u32_e32 v0, s42, v57
	v_cmp_lt_i16_e64 s0, s46, 11
	s_delay_alu instid0(VALU_DEP_2) | instskip(SKIP_1) | instid1(VALU_DEP_2)
	v_ashrrev_i32_e32 v1, 31, v0
	v_add_co_u32 v0, vcc_lo, s44, v0
	v_add_co_ci_u32_e32 v1, vcc_lo, s45, v1, vcc_lo
	s_delay_alu instid0(VALU_DEP_4)
	s_and_b32 vcc_lo, exec_lo, s0
	s_cbranch_vccnz .LBB44_2525
; %bb.2519:
	v_cmp_gt_i16_e64 s0, s46, 25
	s_mov_b32 s1, 0
	s_delay_alu instid0(VALU_DEP_1)
	s_and_b32 vcc_lo, exec_lo, s0
	s_cbranch_vccz .LBB44_2526
; %bb.2520:
	v_cmp_gt_i16_e64 s0, s46, 28
	s_delay_alu instid0(VALU_DEP_1)
	s_and_b32 vcc_lo, exec_lo, s0
	s_cbranch_vccz .LBB44_2527
; %bb.2521:
	v_cmp_gt_i16_e64 s0, s46, 43
	;; [unrolled: 5-line block ×3, first 2 shown]
	s_delay_alu instid0(VALU_DEP_1)
	s_and_b32 vcc_lo, exec_lo, s0
	s_cbranch_vccz .LBB44_2531
; %bb.2523:
	v_cmp_eq_u16_e64 s0, s46, 46
	s_mov_b32 s3, 0
	s_delay_alu instid0(VALU_DEP_1)
	s_and_b32 vcc_lo, exec_lo, s0
	s_cbranch_vccz .LBB44_2534
; %bb.2524:
	global_load_b32 v2, v[0:1], off
	s_mov_b32 s0, 0
	s_mov_b32 s2, -1
	s_waitcnt vmcnt(0)
	v_lshlrev_b32_e32 v43, 16, v2
	s_branch .LBB44_2536
.LBB44_2525:
	s_mov_b32 s0, -1
	s_mov_b32 s2, 0
                                        ; implicit-def: $vgpr43
	s_branch .LBB44_2602
.LBB44_2526:
	s_mov_b32 s3, -1
	s_mov_b32 s2, 0
	s_mov_b32 s0, 0
                                        ; implicit-def: $vgpr43
	s_branch .LBB44_2565
.LBB44_2527:
	s_mov_b32 s3, -1
	s_mov_b32 s2, 0
	s_mov_b32 s0, 0
                                        ; implicit-def: $vgpr43
	s_branch .LBB44_2546
.LBB44_2528:
	s_mov_b32 s3, -1
	s_mov_b32 s2, 0
	s_mov_b32 s0, 0
                                        ; implicit-def: $vgpr43
	s_branch .LBB44_2541
.LBB44_2529:
	s_cbranch_execnz .LBB44_2532
; %bb.2530:
	s_or_b32 s48, s48, exec_lo
                                        ; implicit-def: $vgpr40
	s_cbranch_execz .LBB44_2466
	s_branch .LBB44_2467
.LBB44_2531:
	s_mov_b32 s3, -1
	s_mov_b32 s2, 0
	s_mov_b32 s0, 0
	s_branch .LBB44_2535
.LBB44_2532:
	s_trap 2
	s_sendmsg_rtn_b32 s0, sendmsg(MSG_RTN_GET_DOORBELL)
	s_mov_b32 ttmp2, m0
	s_waitcnt lgkmcnt(0)
	s_and_b32 s0, s0, 0x3ff
	s_delay_alu instid0(SALU_CYCLE_1) | instskip(NEXT) | instid1(SALU_CYCLE_1)
	s_bitset1_b32 s0, 10
	s_mov_b32 m0, s0
	s_sendmsg sendmsg(MSG_INTERRUPT)
	s_mov_b32 m0, ttmp2
.LBB44_2533:                            ; =>This Inner Loop Header: Depth=1
	s_sethalt 5
	s_branch .LBB44_2533
.LBB44_2534:
	s_mov_b32 s0, -1
	s_mov_b32 s2, 0
.LBB44_2535:
                                        ; implicit-def: $vgpr43
.LBB44_2536:
	s_and_b32 vcc_lo, exec_lo, s3
	s_cbranch_vccz .LBB44_2540
; %bb.2537:
	v_cmp_eq_u16_e64 s0, s46, 44
	s_delay_alu instid0(VALU_DEP_1)
	s_and_b32 vcc_lo, exec_lo, s0
	s_cbranch_vccz .LBB44_2539
; %bb.2538:
	global_load_u8 v2, v[0:1], off
	s_mov_b32 s0, 0
	s_mov_b32 s2, -1
	s_waitcnt vmcnt(0)
	v_lshlrev_b32_e32 v3, 23, v2
	v_cmp_ne_u32_e32 vcc_lo, 0xff, v2
	s_delay_alu instid0(VALU_DEP_2) | instskip(SKIP_1) | instid1(VALU_DEP_2)
	v_cndmask_b32_e32 v3, 0x7f800001, v3, vcc_lo
	v_cmp_ne_u32_e32 vcc_lo, 0, v2
	v_cndmask_b32_e32 v43, 0x400000, v3, vcc_lo
	s_branch .LBB44_2540
.LBB44_2539:
	s_mov_b32 s0, -1
                                        ; implicit-def: $vgpr43
.LBB44_2540:
	s_mov_b32 s3, 0
.LBB44_2541:
	s_delay_alu instid0(SALU_CYCLE_1)
	s_and_b32 vcc_lo, exec_lo, s3
	s_cbranch_vccz .LBB44_2545
; %bb.2542:
	v_cmp_eq_u16_e64 s0, s46, 29
	s_delay_alu instid0(VALU_DEP_1)
	s_and_b32 vcc_lo, exec_lo, s0
	s_cbranch_vccz .LBB44_2544
; %bb.2543:
	global_load_b64 v[2:3], v[0:1], off
	s_mov_b32 s0, 0
	s_mov_b32 s2, -1
	s_mov_b32 s3, 0
	s_waitcnt vmcnt(0)
	v_clz_i32_u32_e32 v4, v3
	s_delay_alu instid0(VALU_DEP_1) | instskip(NEXT) | instid1(VALU_DEP_1)
	v_min_u32_e32 v4, 32, v4
	v_lshlrev_b64 v[2:3], v4, v[2:3]
	s_delay_alu instid0(VALU_DEP_1) | instskip(NEXT) | instid1(VALU_DEP_1)
	v_min_u32_e32 v2, 1, v2
	v_or_b32_e32 v2, v3, v2
	v_sub_nc_u32_e32 v3, 32, v4
	s_delay_alu instid0(VALU_DEP_2) | instskip(NEXT) | instid1(VALU_DEP_1)
	v_cvt_f32_u32_e32 v2, v2
	v_ldexp_f32 v43, v2, v3
	s_branch .LBB44_2546
.LBB44_2544:
	s_mov_b32 s0, -1
                                        ; implicit-def: $vgpr43
.LBB44_2545:
	s_mov_b32 s3, 0
.LBB44_2546:
	s_delay_alu instid0(SALU_CYCLE_1)
	s_and_b32 vcc_lo, exec_lo, s3
	s_cbranch_vccz .LBB44_2564
; %bb.2547:
	v_cmp_lt_i16_e64 s2, s46, 27
	s_delay_alu instid0(VALU_DEP_1)
	s_and_b32 vcc_lo, exec_lo, s2
	s_cbranch_vccnz .LBB44_2550
; %bb.2548:
	v_cmp_gt_i16_e64 s2, s46, 27
	s_delay_alu instid0(VALU_DEP_1)
	s_and_b32 vcc_lo, exec_lo, s2
	s_cbranch_vccz .LBB44_2551
; %bb.2549:
	global_load_b32 v2, v[0:1], off
	s_mov_b32 s2, 0
	s_waitcnt vmcnt(0)
	v_cvt_f32_u32_e32 v43, v2
	s_branch .LBB44_2552
.LBB44_2550:
	s_mov_b32 s2, -1
                                        ; implicit-def: $vgpr43
	s_branch .LBB44_2555
.LBB44_2551:
	s_mov_b32 s2, -1
                                        ; implicit-def: $vgpr43
.LBB44_2552:
	s_delay_alu instid0(SALU_CYCLE_1)
	s_and_not1_b32 vcc_lo, exec_lo, s2
	s_cbranch_vccnz .LBB44_2554
; %bb.2553:
	global_load_u16 v2, v[0:1], off
	s_waitcnt vmcnt(0)
	v_cvt_f32_u32_e32 v43, v2
.LBB44_2554:
	s_mov_b32 s2, 0
.LBB44_2555:
	s_delay_alu instid0(SALU_CYCLE_1)
	s_and_not1_b32 vcc_lo, exec_lo, s2
	s_cbranch_vccnz .LBB44_2563
; %bb.2556:
	global_load_u8 v2, v[0:1], off
	s_mov_b32 s2, 0
	s_mov_b32 s4, exec_lo
                                        ; implicit-def: $sgpr3
	s_waitcnt vmcnt(0)
	v_cmpx_lt_i16_e32 0x7f, v2
	s_xor_b32 s4, exec_lo, s4
	s_cbranch_execz .LBB44_2577
; %bb.2557:
	s_mov_b32 s2, -1
	s_mov_b32 s5, exec_lo
                                        ; implicit-def: $sgpr3
	v_cmpx_eq_u16_e32 0x80, v2
; %bb.2558:
	s_mov_b32 s3, 0x7f800001
	s_xor_b32 s2, exec_lo, -1
; %bb.2559:
	s_or_b32 exec_lo, exec_lo, s5
	s_delay_alu instid0(SALU_CYCLE_1)
	s_and_b32 s2, s2, exec_lo
	s_or_saveexec_b32 s4, s4
	v_mov_b32_e32 v43, s3
	s_xor_b32 exec_lo, exec_lo, s4
	s_cbranch_execnz .LBB44_2578
.LBB44_2560:
	s_or_b32 exec_lo, exec_lo, s4
	s_and_saveexec_b32 s3, s2
	s_cbranch_execz .LBB44_2562
.LBB44_2561:
	v_and_b32_e32 v3, 0xffff, v2
	v_lshlrev_b32_e32 v2, 24, v2
	s_delay_alu instid0(VALU_DEP_2) | instskip(NEXT) | instid1(VALU_DEP_2)
	v_and_b32_e32 v4, 7, v3
	v_and_b32_e32 v2, 0x80000000, v2
	s_delay_alu instid0(VALU_DEP_2) | instskip(NEXT) | instid1(VALU_DEP_1)
	v_clz_i32_u32_e32 v5, v4
	v_min_u32_e32 v5, 32, v5
	s_delay_alu instid0(VALU_DEP_1) | instskip(SKIP_1) | instid1(VALU_DEP_2)
	v_subrev_nc_u32_e32 v6, 28, v5
	v_sub_nc_u32_e32 v5, 29, v5
	v_lshlrev_b32_e32 v6, v6, v3
	v_bfe_u32 v3, v3, 3, 4
	s_delay_alu instid0(VALU_DEP_2) | instskip(NEXT) | instid1(VALU_DEP_2)
	v_and_b32_e32 v6, 7, v6
	v_cmp_eq_u32_e32 vcc_lo, 0, v3
	s_delay_alu instid0(VALU_DEP_2) | instskip(NEXT) | instid1(VALU_DEP_1)
	v_dual_cndmask_b32 v3, v3, v5 :: v_dual_cndmask_b32 v4, v4, v6
	v_lshl_add_u32 v3, v3, 23, 0x3b800000
	s_delay_alu instid0(VALU_DEP_2) | instskip(NEXT) | instid1(VALU_DEP_1)
	v_lshlrev_b32_e32 v4, 20, v4
	v_or3_b32 v43, v2, v3, v4
.LBB44_2562:
	s_or_b32 exec_lo, exec_lo, s3
.LBB44_2563:
	s_mov_b32 s2, -1
.LBB44_2564:
	s_mov_b32 s3, 0
.LBB44_2565:
	s_delay_alu instid0(SALU_CYCLE_1)
	s_and_b32 vcc_lo, exec_lo, s3
	s_cbranch_vccz .LBB44_2598
; %bb.2566:
	v_cmp_gt_i16_e64 s1, s46, 22
	s_delay_alu instid0(VALU_DEP_1)
	s_and_b32 vcc_lo, exec_lo, s1
	s_cbranch_vccz .LBB44_2576
; %bb.2567:
	v_cmp_lt_i16_e64 s1, s46, 24
	s_delay_alu instid0(VALU_DEP_1)
	s_and_b32 vcc_lo, exec_lo, s1
	s_cbranch_vccnz .LBB44_2579
; %bb.2568:
	v_cmp_gt_i16_e64 s1, s46, 24
	s_delay_alu instid0(VALU_DEP_1)
	s_and_b32 vcc_lo, exec_lo, s1
	s_cbranch_vccz .LBB44_2580
; %bb.2569:
	global_load_u8 v2, v[0:1], off
	s_mov_b32 s1, 0
	s_mov_b32 s3, exec_lo
                                        ; implicit-def: $sgpr2
	s_waitcnt vmcnt(0)
	v_cmpx_lt_i16_e32 0x7f, v2
	s_xor_b32 s3, exec_lo, s3
	s_cbranch_execz .LBB44_2592
; %bb.2570:
	s_mov_b32 s1, -1
	s_mov_b32 s4, exec_lo
                                        ; implicit-def: $sgpr2
	v_cmpx_eq_u16_e32 0x80, v2
; %bb.2571:
	s_mov_b32 s2, 0x7f800001
	s_xor_b32 s1, exec_lo, -1
; %bb.2572:
	s_or_b32 exec_lo, exec_lo, s4
	s_delay_alu instid0(SALU_CYCLE_1)
	s_and_b32 s1, s1, exec_lo
	s_or_saveexec_b32 s3, s3
	v_mov_b32_e32 v43, s2
	s_xor_b32 exec_lo, exec_lo, s3
	s_cbranch_execnz .LBB44_2593
.LBB44_2573:
	s_or_b32 exec_lo, exec_lo, s3
	s_and_saveexec_b32 s2, s1
	s_cbranch_execz .LBB44_2575
.LBB44_2574:
	v_and_b32_e32 v3, 0xffff, v2
	v_lshlrev_b32_e32 v2, 24, v2
	s_delay_alu instid0(VALU_DEP_2) | instskip(NEXT) | instid1(VALU_DEP_2)
	v_and_b32_e32 v4, 3, v3
	v_and_b32_e32 v2, 0x80000000, v2
	s_delay_alu instid0(VALU_DEP_2) | instskip(NEXT) | instid1(VALU_DEP_1)
	v_clz_i32_u32_e32 v5, v4
	v_min_u32_e32 v5, 32, v5
	s_delay_alu instid0(VALU_DEP_1) | instskip(SKIP_1) | instid1(VALU_DEP_2)
	v_subrev_nc_u32_e32 v6, 29, v5
	v_sub_nc_u32_e32 v5, 30, v5
	v_lshlrev_b32_e32 v6, v6, v3
	v_bfe_u32 v3, v3, 2, 5
	s_delay_alu instid0(VALU_DEP_2) | instskip(NEXT) | instid1(VALU_DEP_2)
	v_and_b32_e32 v6, 3, v6
	v_cmp_eq_u32_e32 vcc_lo, 0, v3
	s_delay_alu instid0(VALU_DEP_2) | instskip(NEXT) | instid1(VALU_DEP_1)
	v_dual_cndmask_b32 v3, v3, v5 :: v_dual_cndmask_b32 v4, v4, v6
	v_lshl_add_u32 v3, v3, 23, 0x37800000
	s_delay_alu instid0(VALU_DEP_2) | instskip(NEXT) | instid1(VALU_DEP_1)
	v_lshlrev_b32_e32 v4, 21, v4
	v_or3_b32 v43, v2, v3, v4
.LBB44_2575:
	s_or_b32 exec_lo, exec_lo, s2
	s_mov_b32 s1, 0
	s_branch .LBB44_2581
.LBB44_2576:
	s_mov_b32 s1, -1
                                        ; implicit-def: $vgpr43
	s_branch .LBB44_2587
.LBB44_2577:
	s_or_saveexec_b32 s4, s4
	v_mov_b32_e32 v43, s3
	s_xor_b32 exec_lo, exec_lo, s4
	s_cbranch_execz .LBB44_2560
.LBB44_2578:
	v_cmp_ne_u16_e32 vcc_lo, 0, v2
	v_mov_b32_e32 v43, 0
	s_and_not1_b32 s2, s2, exec_lo
	s_and_b32 s3, vcc_lo, exec_lo
	s_delay_alu instid0(SALU_CYCLE_1)
	s_or_b32 s2, s2, s3
	s_or_b32 exec_lo, exec_lo, s4
	s_and_saveexec_b32 s3, s2
	s_cbranch_execnz .LBB44_2561
	s_branch .LBB44_2562
.LBB44_2579:
	s_mov_b32 s1, -1
                                        ; implicit-def: $vgpr43
	s_branch .LBB44_2584
.LBB44_2580:
	s_mov_b32 s1, -1
                                        ; implicit-def: $vgpr43
.LBB44_2581:
	s_delay_alu instid0(SALU_CYCLE_1)
	s_and_b32 vcc_lo, exec_lo, s1
	s_cbranch_vccz .LBB44_2583
; %bb.2582:
	global_load_u8 v2, v[0:1], off
	s_waitcnt vmcnt(0)
	v_lshlrev_b32_e32 v2, 24, v2
	s_delay_alu instid0(VALU_DEP_1) | instskip(NEXT) | instid1(VALU_DEP_1)
	v_and_b32_e32 v3, 0x7f000000, v2
	v_clz_i32_u32_e32 v4, v3
	v_add_nc_u32_e32 v6, 0x1000000, v3
	v_cmp_ne_u32_e32 vcc_lo, 0, v3
	s_delay_alu instid0(VALU_DEP_3) | instskip(NEXT) | instid1(VALU_DEP_1)
	v_min_u32_e32 v4, 32, v4
	v_sub_nc_u32_e64 v4, v4, 4 clamp
	s_delay_alu instid0(VALU_DEP_1) | instskip(SKIP_1) | instid1(VALU_DEP_2)
	v_lshlrev_b32_e32 v5, v4, v3
	v_lshlrev_b32_e32 v4, 23, v4
	v_lshrrev_b32_e32 v5, 4, v5
	s_delay_alu instid0(VALU_DEP_1) | instskip(SKIP_1) | instid1(VALU_DEP_2)
	v_sub_nc_u32_e32 v4, v5, v4
	v_ashrrev_i32_e32 v5, 8, v6
	v_add_nc_u32_e32 v4, 0x3c000000, v4
	s_delay_alu instid0(VALU_DEP_1) | instskip(NEXT) | instid1(VALU_DEP_1)
	v_and_or_b32 v4, 0x7f800000, v5, v4
	v_cndmask_b32_e32 v3, 0, v4, vcc_lo
	s_delay_alu instid0(VALU_DEP_1)
	v_and_or_b32 v43, 0x80000000, v2, v3
.LBB44_2583:
	s_mov_b32 s1, 0
.LBB44_2584:
	s_delay_alu instid0(SALU_CYCLE_1)
	s_and_not1_b32 vcc_lo, exec_lo, s1
	s_cbranch_vccnz .LBB44_2586
; %bb.2585:
	global_load_u8 v2, v[0:1], off
	s_waitcnt vmcnt(0)
	v_lshlrev_b32_e32 v3, 25, v2
	v_lshlrev_b16 v2, 8, v2
	s_delay_alu instid0(VALU_DEP_2) | instskip(NEXT) | instid1(VALU_DEP_2)
	v_lshrrev_b32_e32 v4, 4, v3
	v_and_or_b32 v5, 0x7f00, v2, 0.5
	v_bfe_i32 v2, v2, 0, 16
	s_delay_alu instid0(VALU_DEP_3) | instskip(NEXT) | instid1(VALU_DEP_1)
	v_or_b32_e32 v4, 0x70000000, v4
	v_dual_add_f32 v5, -0.5, v5 :: v_dual_mul_f32 v4, 0x7800000, v4
	v_cmp_gt_u32_e32 vcc_lo, 0x8000000, v3
	s_delay_alu instid0(VALU_DEP_2) | instskip(NEXT) | instid1(VALU_DEP_1)
	v_cndmask_b32_e32 v3, v4, v5, vcc_lo
	v_and_or_b32 v43, 0x80000000, v2, v3
.LBB44_2586:
	s_mov_b32 s1, 0
	s_mov_b32 s2, -1
.LBB44_2587:
	s_and_not1_b32 vcc_lo, exec_lo, s1
	s_mov_b32 s1, 0
	s_cbranch_vccnz .LBB44_2598
; %bb.2588:
	v_cmp_gt_i16_e64 s1, s46, 14
	s_delay_alu instid0(VALU_DEP_1)
	s_and_b32 vcc_lo, exec_lo, s1
	s_cbranch_vccz .LBB44_2591
; %bb.2589:
	v_cmp_eq_u16_e64 s0, s46, 15
	s_delay_alu instid0(VALU_DEP_1)
	s_and_b32 vcc_lo, exec_lo, s0
	s_cbranch_vccz .LBB44_2594
; %bb.2590:
	global_load_u16 v2, v[0:1], off
	s_mov_b32 s0, 0
	s_mov_b32 s2, -1
	s_waitcnt vmcnt(0)
	v_lshlrev_b32_e32 v43, 16, v2
	s_branch .LBB44_2595
.LBB44_2591:
	s_mov_b32 s1, -1
                                        ; implicit-def: $vgpr43
	s_branch .LBB44_2596
.LBB44_2592:
	s_or_saveexec_b32 s3, s3
	v_mov_b32_e32 v43, s2
	s_xor_b32 exec_lo, exec_lo, s3
	s_cbranch_execz .LBB44_2573
.LBB44_2593:
	v_cmp_ne_u16_e32 vcc_lo, 0, v2
	v_mov_b32_e32 v43, 0
	s_and_not1_b32 s1, s1, exec_lo
	s_and_b32 s2, vcc_lo, exec_lo
	s_delay_alu instid0(SALU_CYCLE_1)
	s_or_b32 s1, s1, s2
	s_or_b32 exec_lo, exec_lo, s3
	s_and_saveexec_b32 s2, s1
	s_cbranch_execnz .LBB44_2574
	s_branch .LBB44_2575
.LBB44_2594:
	s_mov_b32 s0, -1
                                        ; implicit-def: $vgpr43
.LBB44_2595:
	s_mov_b32 s1, 0
.LBB44_2596:
	s_delay_alu instid0(SALU_CYCLE_1)
	s_and_b32 vcc_lo, exec_lo, s1
	s_mov_b32 s1, 0
	s_cbranch_vccz .LBB44_2598
; %bb.2597:
	v_cmp_ne_u16_e64 s0, s46, 11
	s_mov_b32 s1, -1
                                        ; implicit-def: $vgpr43
.LBB44_2598:
	s_delay_alu instid0(VALU_DEP_1)
	s_and_b32 vcc_lo, exec_lo, s0
	s_cbranch_vccnz .LBB44_3137
; %bb.2599:
	s_and_not1_b32 vcc_lo, exec_lo, s1
	s_cbranch_vccnz .LBB44_2601
.LBB44_2600:
	global_load_u8 v2, v[0:1], off
	s_mov_b32 s2, -1
	s_waitcnt vmcnt(0)
	v_cmp_ne_u16_e32 vcc_lo, 0, v2
	v_cndmask_b32_e64 v43, 0, 1.0, vcc_lo
.LBB44_2601:
	s_mov_b32 s0, 0
.LBB44_2602:
	s_delay_alu instid0(SALU_CYCLE_1)
	s_and_b32 vcc_lo, exec_lo, s0
	s_cbranch_vccz .LBB44_2651
; %bb.2603:
	v_cmp_lt_i16_e64 s0, s46, 5
	s_delay_alu instid0(VALU_DEP_1)
	s_and_b32 vcc_lo, exec_lo, s0
	s_cbranch_vccnz .LBB44_2608
; %bb.2604:
	v_cmp_lt_i16_e64 s0, s46, 8
	s_delay_alu instid0(VALU_DEP_1)
	s_and_b32 vcc_lo, exec_lo, s0
	s_cbranch_vccnz .LBB44_2609
	;; [unrolled: 5-line block ×3, first 2 shown]
; %bb.2606:
	v_cmp_gt_i16_e64 s0, s46, 9
	s_delay_alu instid0(VALU_DEP_1)
	s_and_b32 vcc_lo, exec_lo, s0
	s_cbranch_vccz .LBB44_2611
; %bb.2607:
	global_load_b64 v[2:3], v[0:1], off
	s_mov_b32 s0, 0
	s_waitcnt vmcnt(0)
	v_cvt_f32_f64_e32 v43, v[2:3]
	s_branch .LBB44_2612
.LBB44_2608:
	s_mov_b32 s0, -1
                                        ; implicit-def: $vgpr43
	s_branch .LBB44_2630
.LBB44_2609:
	s_mov_b32 s0, -1
                                        ; implicit-def: $vgpr43
	s_branch .LBB44_2618
.LBB44_2610:
	s_mov_b32 s0, -1
                                        ; implicit-def: $vgpr43
	s_branch .LBB44_2615
.LBB44_2611:
	s_mov_b32 s0, -1
                                        ; implicit-def: $vgpr43
.LBB44_2612:
	s_delay_alu instid0(SALU_CYCLE_1)
	s_and_not1_b32 vcc_lo, exec_lo, s0
	s_cbranch_vccnz .LBB44_2614
; %bb.2613:
	global_load_b32 v43, v[0:1], off
.LBB44_2614:
	s_mov_b32 s0, 0
.LBB44_2615:
	s_delay_alu instid0(SALU_CYCLE_1)
	s_and_not1_b32 vcc_lo, exec_lo, s0
	s_cbranch_vccnz .LBB44_2617
; %bb.2616:
	global_load_b32 v2, v[0:1], off
	s_waitcnt vmcnt(0)
	v_cvt_f32_f16_e32 v43, v2
.LBB44_2617:
	s_mov_b32 s0, 0
.LBB44_2618:
	s_delay_alu instid0(SALU_CYCLE_1)
	s_and_not1_b32 vcc_lo, exec_lo, s0
	s_cbranch_vccnz .LBB44_2629
; %bb.2619:
	v_cmp_lt_i16_e64 s0, s46, 6
	s_delay_alu instid0(VALU_DEP_1)
	s_and_b32 vcc_lo, exec_lo, s0
	s_cbranch_vccnz .LBB44_2622
; %bb.2620:
	v_cmp_gt_i16_e64 s0, s46, 6
	s_delay_alu instid0(VALU_DEP_1)
	s_and_b32 vcc_lo, exec_lo, s0
	s_cbranch_vccz .LBB44_2623
; %bb.2621:
	global_load_b64 v[2:3], v[0:1], off
	s_mov_b32 s0, 0
	s_waitcnt vmcnt(0)
	v_cvt_f32_f64_e32 v43, v[2:3]
	s_branch .LBB44_2624
.LBB44_2622:
	s_mov_b32 s0, -1
                                        ; implicit-def: $vgpr43
	s_branch .LBB44_2627
.LBB44_2623:
	s_mov_b32 s0, -1
                                        ; implicit-def: $vgpr43
.LBB44_2624:
	s_delay_alu instid0(SALU_CYCLE_1)
	s_and_not1_b32 vcc_lo, exec_lo, s0
	s_cbranch_vccnz .LBB44_2626
; %bb.2625:
	global_load_b32 v43, v[0:1], off
.LBB44_2626:
	s_mov_b32 s0, 0
.LBB44_2627:
	s_delay_alu instid0(SALU_CYCLE_1)
	s_and_not1_b32 vcc_lo, exec_lo, s0
	s_cbranch_vccnz .LBB44_2629
; %bb.2628:
	global_load_u16 v2, v[0:1], off
	s_waitcnt vmcnt(0)
	v_cvt_f32_f16_e32 v43, v2
.LBB44_2629:
	s_mov_b32 s0, 0
.LBB44_2630:
	s_delay_alu instid0(SALU_CYCLE_1)
	s_and_not1_b32 vcc_lo, exec_lo, s0
	s_cbranch_vccnz .LBB44_2650
; %bb.2631:
	v_cmp_lt_i16_e64 s0, s46, 2
	s_delay_alu instid0(VALU_DEP_1)
	s_and_b32 vcc_lo, exec_lo, s0
	s_cbranch_vccnz .LBB44_2635
; %bb.2632:
	v_cmp_lt_i16_e64 s0, s46, 3
	s_delay_alu instid0(VALU_DEP_1)
	s_and_b32 vcc_lo, exec_lo, s0
	s_cbranch_vccnz .LBB44_2636
; %bb.2633:
	v_cmp_gt_i16_e64 s0, s46, 3
	s_delay_alu instid0(VALU_DEP_1)
	s_and_b32 vcc_lo, exec_lo, s0
	s_cbranch_vccz .LBB44_2637
; %bb.2634:
	global_load_b64 v[2:3], v[0:1], off
	s_mov_b32 s0, 0
	s_waitcnt vmcnt(0)
	v_xor_b32_e32 v4, v2, v3
	v_cls_i32_e32 v5, v3
	s_delay_alu instid0(VALU_DEP_2) | instskip(NEXT) | instid1(VALU_DEP_2)
	v_ashrrev_i32_e32 v4, 31, v4
	v_add_nc_u32_e32 v5, -1, v5
	s_delay_alu instid0(VALU_DEP_2) | instskip(NEXT) | instid1(VALU_DEP_1)
	v_add_nc_u32_e32 v4, 32, v4
	v_min_u32_e32 v4, v5, v4
	s_delay_alu instid0(VALU_DEP_1) | instskip(NEXT) | instid1(VALU_DEP_1)
	v_lshlrev_b64 v[2:3], v4, v[2:3]
	v_min_u32_e32 v2, 1, v2
	s_delay_alu instid0(VALU_DEP_1) | instskip(SKIP_1) | instid1(VALU_DEP_2)
	v_or_b32_e32 v2, v3, v2
	v_sub_nc_u32_e32 v3, 32, v4
	v_cvt_f32_i32_e32 v2, v2
	s_delay_alu instid0(VALU_DEP_1)
	v_ldexp_f32 v43, v2, v3
	s_branch .LBB44_2638
.LBB44_2635:
	s_mov_b32 s0, -1
                                        ; implicit-def: $vgpr43
	s_branch .LBB44_2644
.LBB44_2636:
	s_mov_b32 s0, -1
                                        ; implicit-def: $vgpr43
	s_branch .LBB44_2641
.LBB44_2637:
	s_mov_b32 s0, -1
                                        ; implicit-def: $vgpr43
.LBB44_2638:
	s_delay_alu instid0(SALU_CYCLE_1)
	s_and_not1_b32 vcc_lo, exec_lo, s0
	s_cbranch_vccnz .LBB44_2640
; %bb.2639:
	global_load_b32 v2, v[0:1], off
	s_waitcnt vmcnt(0)
	v_cvt_f32_i32_e32 v43, v2
.LBB44_2640:
	s_mov_b32 s0, 0
.LBB44_2641:
	s_delay_alu instid0(SALU_CYCLE_1)
	s_and_not1_b32 vcc_lo, exec_lo, s0
	s_cbranch_vccnz .LBB44_2643
; %bb.2642:
	global_load_i16 v2, v[0:1], off
	s_waitcnt vmcnt(0)
	v_cvt_f32_i32_e32 v43, v2
.LBB44_2643:
	s_mov_b32 s0, 0
.LBB44_2644:
	s_delay_alu instid0(SALU_CYCLE_1)
	s_and_not1_b32 vcc_lo, exec_lo, s0
	s_cbranch_vccnz .LBB44_2650
; %bb.2645:
	v_cmp_gt_i16_e64 s0, s46, 0
	s_delay_alu instid0(VALU_DEP_1)
	s_and_b32 vcc_lo, exec_lo, s0
	s_mov_b32 s0, 0
	s_cbranch_vccz .LBB44_2647
; %bb.2646:
	global_load_i8 v2, v[0:1], off
	s_waitcnt vmcnt(0)
	v_cvt_f32_i32_e32 v43, v2
	s_branch .LBB44_2648
.LBB44_2647:
	s_mov_b32 s0, -1
                                        ; implicit-def: $vgpr43
.LBB44_2648:
	s_delay_alu instid0(SALU_CYCLE_1)
	s_and_not1_b32 vcc_lo, exec_lo, s0
	s_cbranch_vccnz .LBB44_2650
; %bb.2649:
	global_load_u8 v0, v[0:1], off
	s_waitcnt vmcnt(0)
	v_cvt_f32_ubyte0_e32 v43, v0
.LBB44_2650:
	s_mov_b32 s2, -1
.LBB44_2651:
	s_delay_alu instid0(SALU_CYCLE_1)
	s_and_not1_b32 vcc_lo, exec_lo, s2
	s_cbranch_vccnz .LBB44_2654
; %bb.2652:
	s_and_b32 vcc_lo, exec_lo, s47
	s_cbranch_vccz .LBB44_2699
; %bb.2653:
	s_waitcnt vmcnt(0)
	s_delay_alu instid0(VALU_DEP_1) | instskip(SKIP_3) | instid1(SALU_CYCLE_1)
	v_dual_mov_b32 v0, v40 :: v_dual_mov_b32 v1, v43
	s_getpc_b64 s[0:1]
	s_add_u32 s0, s0, _ZN12_GLOBAL__N_111calc_igammaIfEET_S1_S1_@rel32@lo+4
	s_addc_u32 s1, s1, _ZN12_GLOBAL__N_111calc_igammaIfEET_S1_S1_@rel32@hi+12
	s_swappc_b64 s[30:31], s[0:1]
	s_mov_b32 s0, 0
	s_branch .LBB44_2700
.LBB44_2654:
	s_mov_b32 s0, 0
	s_mov_b32 s1, 0
                                        ; implicit-def: $vgpr4
                                        ; implicit-def: $vgpr2_vgpr3
                                        ; implicit-def: $vgpr0
.LBB44_2655:
	s_and_not1_b32 s2, s51, exec_lo
	s_and_b32 s3, s48, exec_lo
	s_and_b32 s0, s0, exec_lo
	;; [unrolled: 1-line block ×3, first 2 shown]
	s_or_b32 s51, s2, s3
.LBB44_2656:
	s_or_b32 exec_lo, exec_lo, s50
	s_and_saveexec_b32 s1, s51
	s_cbranch_execz .LBB44_2659
; %bb.2657:
	; divergent unreachable
	s_or_b32 exec_lo, exec_lo, s1
	s_and_saveexec_b32 s1, s48
	s_delay_alu instid0(SALU_CYCLE_1)
	s_xor_b32 s1, exec_lo, s1
	s_cbranch_execnz .LBB44_2660
.LBB44_2658:
	s_or_b32 exec_lo, exec_lo, s1
	s_and_saveexec_b32 s1, s0
	s_cbranch_execnz .LBB44_2661
	s_branch .LBB44_2698
.LBB44_2659:
	s_or_b32 exec_lo, exec_lo, s1
	s_and_saveexec_b32 s1, s48
	s_delay_alu instid0(SALU_CYCLE_1)
	s_xor_b32 s1, exec_lo, s1
	s_cbranch_execz .LBB44_2658
.LBB44_2660:
	v_cmp_neq_f32_e32 vcc_lo, 0, v0
	v_cndmask_b32_e64 v1, 0, 1, vcc_lo
	global_store_b8 v[2:3], v1, off
	s_or_b32 exec_lo, exec_lo, s1
	s_and_saveexec_b32 s1, s0
	s_cbranch_execz .LBB44_2698
.LBB44_2661:
	v_cmp_gt_i16_e32 vcc_lo, 5, v4
	s_mov_b32 s0, -1
	s_cbranch_vccnz .LBB44_2682
; %bb.2662:
	v_cmp_gt_i16_e32 vcc_lo, 8, v4
	s_cbranch_vccnz .LBB44_2672
; %bb.2663:
	v_cmp_gt_i16_e32 vcc_lo, 9, v4
	s_cbranch_vccnz .LBB44_2669
; %bb.2664:
	v_cmp_lt_i16_e32 vcc_lo, 9, v4
	s_cbranch_vccz .LBB44_2666
; %bb.2665:
	v_cvt_f64_f32_e32 v[5:6], v0
	v_mov_b32_e32 v7, 0
	s_mov_b32 s0, 0
	s_delay_alu instid0(VALU_DEP_1)
	v_mov_b32_e32 v8, v7
	global_store_b128 v[2:3], v[5:8], off
.LBB44_2666:
	s_and_not1_b32 vcc_lo, exec_lo, s0
	s_cbranch_vccnz .LBB44_2668
; %bb.2667:
	v_mov_b32_e32 v1, 0
	global_store_b64 v[2:3], v[0:1], off
.LBB44_2668:
	s_mov_b32 s0, 0
.LBB44_2669:
	s_delay_alu instid0(SALU_CYCLE_1)
	s_and_not1_b32 vcc_lo, exec_lo, s0
	s_cbranch_vccnz .LBB44_2671
; %bb.2670:
	v_cvt_f16_f32_e32 v1, v0
	s_delay_alu instid0(VALU_DEP_1)
	v_and_b32_e32 v1, 0xffff, v1
	global_store_b32 v[2:3], v1, off
.LBB44_2671:
	s_mov_b32 s0, 0
.LBB44_2672:
	s_delay_alu instid0(SALU_CYCLE_1)
	s_and_not1_b32 vcc_lo, exec_lo, s0
	s_cbranch_vccnz .LBB44_2681
; %bb.2673:
	v_cmp_gt_i16_e32 vcc_lo, 6, v4
	s_mov_b32 s0, -1
	s_cbranch_vccnz .LBB44_2679
; %bb.2674:
	v_cmp_lt_i16_e32 vcc_lo, 6, v4
	s_cbranch_vccz .LBB44_2676
; %bb.2675:
	v_cvt_f64_f32_e32 v[5:6], v0
	s_mov_b32 s0, 0
	global_store_b64 v[2:3], v[5:6], off
.LBB44_2676:
	s_and_not1_b32 vcc_lo, exec_lo, s0
	s_cbranch_vccnz .LBB44_2678
; %bb.2677:
	global_store_b32 v[2:3], v0, off
.LBB44_2678:
	s_mov_b32 s0, 0
.LBB44_2679:
	s_delay_alu instid0(SALU_CYCLE_1)
	s_and_not1_b32 vcc_lo, exec_lo, s0
	s_cbranch_vccnz .LBB44_2681
; %bb.2680:
	v_cvt_f16_f32_e32 v1, v0
	global_store_b16 v[2:3], v1, off
.LBB44_2681:
	s_mov_b32 s0, 0
.LBB44_2682:
	s_delay_alu instid0(SALU_CYCLE_1)
	s_and_not1_b32 vcc_lo, exec_lo, s0
	s_cbranch_vccnz .LBB44_2698
; %bb.2683:
	v_cmp_gt_i16_e32 vcc_lo, 2, v4
	s_mov_b32 s0, -1
	s_cbranch_vccnz .LBB44_2693
; %bb.2684:
	v_cmp_gt_i16_e32 vcc_lo, 3, v4
	s_cbranch_vccnz .LBB44_2690
; %bb.2685:
	v_cmp_lt_i16_e32 vcc_lo, 3, v4
	s_cbranch_vccz .LBB44_2687
; %bb.2686:
	v_trunc_f32_e32 v1, v0
	s_mov_b32 s0, 0
	s_delay_alu instid0(VALU_DEP_1) | instskip(NEXT) | instid1(VALU_DEP_1)
	v_mul_f32_e64 v5, 0x2f800000, |v1|
	v_floor_f32_e32 v5, v5
	s_delay_alu instid0(VALU_DEP_1) | instskip(SKIP_2) | instid1(VALU_DEP_3)
	v_fma_f32 v6, 0xcf800000, v5, |v1|
	v_ashrrev_i32_e32 v1, 31, v1
	v_cvt_u32_f32_e32 v5, v5
	v_cvt_u32_f32_e32 v6, v6
	s_delay_alu instid0(VALU_DEP_2) | instskip(NEXT) | instid1(VALU_DEP_2)
	v_xor_b32_e32 v7, v5, v1
	v_xor_b32_e32 v6, v6, v1
	s_delay_alu instid0(VALU_DEP_1) | instskip(NEXT) | instid1(VALU_DEP_3)
	v_sub_co_u32 v5, vcc_lo, v6, v1
	v_sub_co_ci_u32_e32 v6, vcc_lo, v7, v1, vcc_lo
	global_store_b64 v[2:3], v[5:6], off
.LBB44_2687:
	s_and_not1_b32 vcc_lo, exec_lo, s0
	s_cbranch_vccnz .LBB44_2689
; %bb.2688:
	v_cvt_i32_f32_e32 v1, v0
	global_store_b32 v[2:3], v1, off
.LBB44_2689:
	s_mov_b32 s0, 0
.LBB44_2690:
	s_delay_alu instid0(SALU_CYCLE_1)
	s_and_not1_b32 vcc_lo, exec_lo, s0
	s_cbranch_vccnz .LBB44_2692
; %bb.2691:
	v_cvt_i32_f32_e32 v1, v0
	global_store_b16 v[2:3], v1, off
.LBB44_2692:
	s_mov_b32 s0, 0
.LBB44_2693:
	s_delay_alu instid0(SALU_CYCLE_1)
	s_and_not1_b32 vcc_lo, exec_lo, s0
	s_cbranch_vccnz .LBB44_2698
; %bb.2694:
	v_cmp_lt_i16_e32 vcc_lo, 0, v4
	s_mov_b32 s0, -1
	s_cbranch_vccz .LBB44_2696
; %bb.2695:
	v_cvt_i32_f32_e32 v1, v0
	s_mov_b32 s0, 0
	global_store_b8 v[2:3], v1, off
.LBB44_2696:
	s_and_not1_b32 vcc_lo, exec_lo, s0
	s_cbranch_vccnz .LBB44_2698
; %bb.2697:
	v_trunc_f32_e32 v0, v0
	s_delay_alu instid0(VALU_DEP_1) | instskip(NEXT) | instid1(VALU_DEP_1)
	v_mul_f32_e64 v1, 0x2f800000, |v0|
	v_floor_f32_e32 v1, v1
	s_delay_alu instid0(VALU_DEP_1) | instskip(SKIP_1) | instid1(VALU_DEP_2)
	v_fma_f32 v1, 0xcf800000, v1, |v0|
	v_ashrrev_i32_e32 v0, 31, v0
	v_cvt_u32_f32_e32 v1, v1
	s_delay_alu instid0(VALU_DEP_1) | instskip(NEXT) | instid1(VALU_DEP_1)
	v_xor_b32_e32 v1, v1, v0
	v_sub_nc_u32_e32 v0, v1, v0
	global_store_b8 v[2:3], v0, off
	s_endpgm
.LBB44_2698:
	s_endpgm
.LBB44_2699:
	s_mov_b32 s0, -1
                                        ; implicit-def: $vgpr0
.LBB44_2700:
	s_delay_alu instid0(SALU_CYCLE_1)
	s_and_not1_b32 vcc_lo, exec_lo, s0
	s_cbranch_vccnz .LBB44_2702
; %bb.2701:
	s_waitcnt vmcnt(0)
	s_delay_alu instid0(VALU_DEP_1) | instskip(SKIP_3) | instid1(SALU_CYCLE_1)
	v_dual_mov_b32 v0, v40 :: v_dual_mov_b32 v1, v43
	s_getpc_b64 s[0:1]
	s_add_u32 s0, s0, _ZN12_GLOBAL__N_112calc_igammacIfEET_S1_S1_@rel32@lo+4
	s_addc_u32 s1, s1, _ZN12_GLOBAL__N_112calc_igammacIfEET_S1_S1_@rel32@hi+12
	s_swappc_b64 s[30:31], s[0:1]
.LBB44_2702:
	v_mul_lo_u32 v3, s40, v45
	v_and_b32_e64 v4, 0xff, s43
	s_delay_alu instid0(VALU_DEP_1) | instskip(NEXT) | instid1(VALU_DEP_3)
	v_cmp_gt_i16_e32 vcc_lo, 11, v4
	v_ashrrev_i32_e32 v2, 31, v3
	v_add_co_u32 v1, s0, s36, v3
	s_delay_alu instid0(VALU_DEP_1)
	v_add_co_ci_u32_e64 v2, s0, s37, v2, s0
	s_cbranch_vccnz .LBB44_2780
; %bb.2703:
	v_cmp_lt_i16_e32 vcc_lo, 25, v4
	s_mov_b32 s3, -1
	s_mov_b32 s1, 0
	s_mov_b32 s2, 0
	;; [unrolled: 1-line block ×3, first 2 shown]
	s_cbranch_vccz .LBB44_2736
; %bb.2704:
	v_cmp_lt_i16_e32 vcc_lo, 28, v4
	s_cbranch_vccz .LBB44_2719
; %bb.2705:
	v_cmp_lt_i16_e32 vcc_lo, 43, v4
	;; [unrolled: 3-line block ×3, first 2 shown]
	s_cbranch_vccz .LBB44_2709
; %bb.2707:
	v_cmp_eq_u16_e32 vcc_lo, 46, v4
	s_mov_b32 s0, -1
	s_mov_b32 s3, 0
	s_cbranch_vccz .LBB44_2709
; %bb.2708:
	s_waitcnt vmcnt(0)
	v_bfe_u32 v5, v42, 16, 1
	v_cmp_o_f32_e32 vcc_lo, v42, v42
	s_mov_b32 s0, 0
	s_mov_b32 s2, -1
	s_delay_alu instid0(VALU_DEP_2) | instskip(NEXT) | instid1(VALU_DEP_1)
	v_add3_u32 v5, v42, v5, 0x7fff
	v_lshrrev_b32_e32 v5, 16, v5
	s_delay_alu instid0(VALU_DEP_1)
	v_cndmask_b32_e32 v5, 0x7fc0, v5, vcc_lo
	global_store_b32 v[1:2], v5, off
.LBB44_2709:
	s_and_b32 vcc_lo, exec_lo, s3
	s_cbranch_vccz .LBB44_2714
; %bb.2710:
	v_cmp_eq_u16_e32 vcc_lo, 44, v4
	s_mov_b32 s0, -1
	s_cbranch_vccz .LBB44_2714
; %bb.2711:
	s_waitcnt vmcnt(0)
	v_bfe_u32 v6, v42, 23, 8
	v_mov_b32_e32 v5, 0xff
	s_mov_b32 s2, exec_lo
	s_delay_alu instid0(VALU_DEP_2)
	v_cmpx_ne_u32_e32 0xff, v6
; %bb.2712:
	v_and_b32_e32 v5, 0x400000, v42
	v_and_or_b32 v6, 0x3fffff, v42, v6
	s_delay_alu instid0(VALU_DEP_2) | instskip(NEXT) | instid1(VALU_DEP_2)
	v_cmp_ne_u32_e32 vcc_lo, 0, v5
	v_cmp_ne_u32_e64 s0, 0, v6
	v_lshrrev_b32_e32 v5, 23, v42
	s_delay_alu instid0(VALU_DEP_2) | instskip(NEXT) | instid1(SALU_CYCLE_1)
	s_and_b32 s0, vcc_lo, s0
	v_cndmask_b32_e64 v6, 0, 1, s0
	s_delay_alu instid0(VALU_DEP_1)
	v_add_nc_u32_e32 v5, v5, v6
; %bb.2713:
	s_or_b32 exec_lo, exec_lo, s2
	s_mov_b32 s0, 0
	s_mov_b32 s2, -1
	global_store_b8 v[1:2], v5, off
.LBB44_2714:
	s_mov_b32 s3, 0
.LBB44_2715:
	s_delay_alu instid0(SALU_CYCLE_1)
	s_and_b32 vcc_lo, exec_lo, s3
	s_cbranch_vccz .LBB44_2718
; %bb.2716:
	v_cmp_eq_u16_e32 vcc_lo, 29, v4
	s_mov_b32 s0, -1
	s_cbranch_vccz .LBB44_2718
; %bb.2717:
	s_waitcnt vmcnt(0)
	v_trunc_f32_e32 v5, v42
	s_mov_b32 s0, 0
	s_mov_b32 s2, -1
	s_delay_alu instid0(VALU_DEP_1) | instskip(NEXT) | instid1(VALU_DEP_1)
	v_mul_f32_e32 v6, 0x2f800000, v5
	v_floor_f32_e32 v6, v6
	s_delay_alu instid0(VALU_DEP_1) | instskip(SKIP_1) | instid1(VALU_DEP_2)
	v_fmamk_f32 v5, v6, 0xcf800000, v5
	v_cvt_u32_f32_e32 v6, v6
	v_cvt_u32_f32_e32 v5, v5
	global_store_b64 v[1:2], v[5:6], off
.LBB44_2718:
	s_mov_b32 s3, 0
.LBB44_2719:
	s_delay_alu instid0(SALU_CYCLE_1)
	s_and_b32 vcc_lo, exec_lo, s3
	s_cbranch_vccz .LBB44_2735
; %bb.2720:
	v_cmp_gt_i16_e32 vcc_lo, 27, v4
	s_mov_b32 s2, -1
	s_cbranch_vccnz .LBB44_2726
; %bb.2721:
	v_cmp_lt_i16_e32 vcc_lo, 27, v4
	s_waitcnt vmcnt(0)
	v_cvt_u32_f32_e32 v5, v42
	s_cbranch_vccz .LBB44_2723
; %bb.2722:
	s_mov_b32 s2, 0
	global_store_b32 v[1:2], v5, off
.LBB44_2723:
	s_and_not1_b32 vcc_lo, exec_lo, s2
	s_cbranch_vccnz .LBB44_2725
; %bb.2724:
	global_store_b16 v[1:2], v5, off
.LBB44_2725:
	s_mov_b32 s2, 0
.LBB44_2726:
	s_delay_alu instid0(SALU_CYCLE_1)
	s_and_not1_b32 vcc_lo, exec_lo, s2
	s_cbranch_vccnz .LBB44_2734
; %bb.2727:
	s_waitcnt vmcnt(0)
	v_and_b32_e32 v5, 0x7fffffff, v42
	v_mov_b32_e32 v6, 0x80
	s_mov_b32 s2, exec_lo
	s_delay_alu instid0(VALU_DEP_2)
	v_cmpx_gt_u32_e32 0x43800000, v5
	s_cbranch_execz .LBB44_2733
; %bb.2728:
	v_cmp_lt_u32_e32 vcc_lo, 0x3bffffff, v5
	s_mov_b32 s3, 0
                                        ; implicit-def: $vgpr5
	s_and_saveexec_b32 s4, vcc_lo
	s_delay_alu instid0(SALU_CYCLE_1)
	s_xor_b32 s4, exec_lo, s4
	s_cbranch_execz .LBB44_3139
; %bb.2729:
	v_bfe_u32 v5, v42, 20, 1
	s_mov_b32 s3, exec_lo
	s_delay_alu instid0(VALU_DEP_1) | instskip(NEXT) | instid1(VALU_DEP_1)
	v_add3_u32 v5, v42, v5, 0x487ffff
	v_lshrrev_b32_e32 v5, 20, v5
	s_or_saveexec_b32 s4, s4
                                        ; implicit-def: $sgpr5
	s_delay_alu instid0(SALU_CYCLE_1)
	s_xor_b32 exec_lo, exec_lo, s4
	s_cbranch_execnz .LBB44_3140
.LBB44_2730:
	s_or_b32 exec_lo, exec_lo, s4
	v_mov_b32_e32 v6, s5
	s_and_saveexec_b32 s4, s3
.LBB44_2731:
	v_lshrrev_b32_e32 v6, 24, v42
	s_delay_alu instid0(VALU_DEP_1)
	v_and_or_b32 v6, 0x80, v6, v5
.LBB44_2732:
	s_or_b32 exec_lo, exec_lo, s4
.LBB44_2733:
	s_delay_alu instid0(SALU_CYCLE_1)
	s_or_b32 exec_lo, exec_lo, s2
	global_store_b8 v[1:2], v6, off
.LBB44_2734:
	s_mov_b32 s2, -1
.LBB44_2735:
	s_mov_b32 s3, 0
.LBB44_2736:
	s_delay_alu instid0(SALU_CYCLE_1)
	s_and_b32 vcc_lo, exec_lo, s3
	s_cbranch_vccz .LBB44_2776
; %bb.2737:
	v_cmp_lt_i16_e32 vcc_lo, 22, v4
	s_mov_b32 s1, -1
	s_cbranch_vccz .LBB44_2769
; %bb.2738:
	v_cmp_gt_i16_e32 vcc_lo, 24, v4
	s_cbranch_vccnz .LBB44_2758
; %bb.2739:
	v_cmp_lt_i16_e32 vcc_lo, 24, v4
	s_cbranch_vccz .LBB44_2747
; %bb.2740:
	s_waitcnt vmcnt(0)
	v_and_b32_e32 v5, 0x7fffffff, v42
	v_mov_b32_e32 v6, 0x80
	s_mov_b32 s1, exec_lo
	s_delay_alu instid0(VALU_DEP_2)
	v_cmpx_gt_u32_e32 0x47800000, v5
	s_cbranch_execz .LBB44_2746
; %bb.2741:
	v_cmp_lt_u32_e32 vcc_lo, 0x37ffffff, v5
	s_mov_b32 s2, 0
                                        ; implicit-def: $vgpr5
	s_and_saveexec_b32 s3, vcc_lo
	s_delay_alu instid0(SALU_CYCLE_1)
	s_xor_b32 s3, exec_lo, s3
	s_cbranch_execz .LBB44_3145
; %bb.2742:
	v_bfe_u32 v5, v42, 21, 1
	s_mov_b32 s2, exec_lo
	s_delay_alu instid0(VALU_DEP_1) | instskip(NEXT) | instid1(VALU_DEP_1)
	v_add3_u32 v5, v42, v5, 0x88fffff
	v_lshrrev_b32_e32 v5, 21, v5
	s_or_saveexec_b32 s3, s3
                                        ; implicit-def: $sgpr4
	s_delay_alu instid0(SALU_CYCLE_1)
	s_xor_b32 exec_lo, exec_lo, s3
	s_cbranch_execnz .LBB44_3146
.LBB44_2743:
	s_or_b32 exec_lo, exec_lo, s3
	v_mov_b32_e32 v6, s4
	s_and_saveexec_b32 s3, s2
.LBB44_2744:
	v_lshrrev_b32_e32 v6, 24, v42
	s_delay_alu instid0(VALU_DEP_1)
	v_and_or_b32 v6, 0x80, v6, v5
.LBB44_2745:
	s_or_b32 exec_lo, exec_lo, s3
.LBB44_2746:
	s_delay_alu instid0(SALU_CYCLE_1)
	s_or_b32 exec_lo, exec_lo, s1
	s_mov_b32 s1, 0
	global_store_b8 v[1:2], v6, off
.LBB44_2747:
	s_and_b32 vcc_lo, exec_lo, s1
	s_cbranch_vccz .LBB44_2757
; %bb.2748:
	s_waitcnt vmcnt(0)
	v_and_b32_e32 v6, 0x7fffffff, v42
	s_mov_b32 s1, exec_lo
                                        ; implicit-def: $vgpr5
	s_delay_alu instid0(VALU_DEP_1)
	v_cmpx_gt_u32_e32 0x43f00000, v6
	s_xor_b32 s1, exec_lo, s1
	s_cbranch_execz .LBB44_2754
; %bb.2749:
	s_mov_b32 s2, exec_lo
                                        ; implicit-def: $vgpr5
	v_cmpx_lt_u32_e32 0x3c7fffff, v6
	s_xor_b32 s2, exec_lo, s2
; %bb.2750:
	v_bfe_u32 v5, v42, 20, 1
	s_delay_alu instid0(VALU_DEP_1) | instskip(NEXT) | instid1(VALU_DEP_1)
	v_add3_u32 v5, v42, v5, 0x407ffff
	v_and_b32_e32 v6, 0xff00000, v5
	v_lshrrev_b32_e32 v5, 20, v5
	s_delay_alu instid0(VALU_DEP_2) | instskip(NEXT) | instid1(VALU_DEP_2)
	v_cmp_ne_u32_e32 vcc_lo, 0x7f00000, v6
	v_cndmask_b32_e32 v5, 0x7e, v5, vcc_lo
; %bb.2751:
	s_and_not1_saveexec_b32 s2, s2
; %bb.2752:
	v_add_f32_e64 v5, 0x46800000, |v42|
; %bb.2753:
	s_or_b32 exec_lo, exec_lo, s2
                                        ; implicit-def: $vgpr6
.LBB44_2754:
	s_and_not1_saveexec_b32 s1, s1
; %bb.2755:
	v_mov_b32_e32 v5, 0x7f
	v_cmp_lt_u32_e32 vcc_lo, 0x7f800000, v6
	s_delay_alu instid0(VALU_DEP_2)
	v_cndmask_b32_e32 v5, 0x7e, v5, vcc_lo
; %bb.2756:
	s_or_b32 exec_lo, exec_lo, s1
	v_lshrrev_b32_e32 v6, 24, v42
	s_delay_alu instid0(VALU_DEP_1)
	v_and_or_b32 v5, 0x80, v6, v5
	global_store_b8 v[1:2], v5, off
.LBB44_2757:
	s_mov_b32 s1, 0
.LBB44_2758:
	s_delay_alu instid0(SALU_CYCLE_1)
	s_and_not1_b32 vcc_lo, exec_lo, s1
	s_cbranch_vccnz .LBB44_2768
; %bb.2759:
	s_waitcnt vmcnt(0)
	v_and_b32_e32 v6, 0x7fffffff, v42
	s_mov_b32 s1, exec_lo
                                        ; implicit-def: $vgpr5
	s_delay_alu instid0(VALU_DEP_1)
	v_cmpx_gt_u32_e32 0x47800000, v6
	s_xor_b32 s1, exec_lo, s1
	s_cbranch_execz .LBB44_2765
; %bb.2760:
	s_mov_b32 s2, exec_lo
                                        ; implicit-def: $vgpr5
	v_cmpx_lt_u32_e32 0x387fffff, v6
	s_xor_b32 s2, exec_lo, s2
; %bb.2761:
	v_bfe_u32 v5, v42, 21, 1
	s_delay_alu instid0(VALU_DEP_1) | instskip(NEXT) | instid1(VALU_DEP_1)
	v_add3_u32 v5, v42, v5, 0x80fffff
	v_lshrrev_b32_e32 v5, 21, v5
; %bb.2762:
	s_and_not1_saveexec_b32 s2, s2
; %bb.2763:
	v_add_f32_e64 v5, 0x43000000, |v42|
; %bb.2764:
	s_or_b32 exec_lo, exec_lo, s2
                                        ; implicit-def: $vgpr6
.LBB44_2765:
	s_and_not1_saveexec_b32 s1, s1
; %bb.2766:
	v_mov_b32_e32 v5, 0x7f
	v_cmp_lt_u32_e32 vcc_lo, 0x7f800000, v6
	s_delay_alu instid0(VALU_DEP_2)
	v_cndmask_b32_e32 v5, 0x7c, v5, vcc_lo
; %bb.2767:
	s_or_b32 exec_lo, exec_lo, s1
	v_lshrrev_b32_e32 v6, 24, v42
	s_delay_alu instid0(VALU_DEP_1)
	v_and_or_b32 v5, 0x80, v6, v5
	global_store_b8 v[1:2], v5, off
.LBB44_2768:
	s_mov_b32 s1, 0
	s_mov_b32 s2, -1
.LBB44_2769:
	s_and_not1_b32 vcc_lo, exec_lo, s1
	s_mov_b32 s1, 0
	s_cbranch_vccnz .LBB44_2776
; %bb.2770:
	v_cmp_lt_i16_e32 vcc_lo, 14, v4
	s_mov_b32 s1, -1
	s_cbranch_vccz .LBB44_2774
; %bb.2771:
	v_cmp_eq_u16_e32 vcc_lo, 15, v4
	s_mov_b32 s0, -1
	s_cbranch_vccz .LBB44_2773
; %bb.2772:
	s_waitcnt vmcnt(0)
	v_bfe_u32 v5, v42, 16, 1
	v_cmp_o_f32_e32 vcc_lo, v42, v42
	s_mov_b32 s0, 0
	s_mov_b32 s2, -1
	s_delay_alu instid0(VALU_DEP_2) | instskip(NEXT) | instid1(VALU_DEP_1)
	v_add3_u32 v5, v42, v5, 0x7fff
	v_lshrrev_b32_e32 v5, 16, v5
	s_delay_alu instid0(VALU_DEP_1)
	v_cndmask_b32_e32 v5, 0x7fc0, v5, vcc_lo
	global_store_b16 v[1:2], v5, off
.LBB44_2773:
	s_mov_b32 s1, 0
.LBB44_2774:
	s_delay_alu instid0(SALU_CYCLE_1)
	s_and_b32 vcc_lo, exec_lo, s1
	s_mov_b32 s1, 0
	s_cbranch_vccz .LBB44_2776
; %bb.2775:
	v_cmp_ne_u16_e64 s0, 11, v4
	s_mov_b32 s1, -1
.LBB44_2776:
	s_delay_alu instid0(VALU_DEP_1)
	s_and_b32 vcc_lo, exec_lo, s0
	s_cbranch_vccnz .LBB44_3143
; %bb.2777:
	s_and_not1_b32 vcc_lo, exec_lo, s1
	s_cbranch_vccnz .LBB44_2779
.LBB44_2778:
	s_waitcnt vmcnt(0)
	v_cmp_neq_f32_e32 vcc_lo, 0, v42
	s_mov_b32 s2, -1
	v_cndmask_b32_e64 v5, 0, 1, vcc_lo
	global_store_b8 v[1:2], v5, off
.LBB44_2779:
	s_mov_b32 s0, 0
	s_branch .LBB44_2781
.LBB44_2780:
	s_mov_b32 s0, -1
	s_mov_b32 s2, 0
.LBB44_2781:
	s_and_b32 vcc_lo, exec_lo, s0
	s_cbranch_vccz .LBB44_2820
; %bb.2782:
	v_cmp_gt_i16_e32 vcc_lo, 5, v4
	s_mov_b32 s0, -1
	s_cbranch_vccnz .LBB44_2803
; %bb.2783:
	v_cmp_gt_i16_e32 vcc_lo, 8, v4
	s_cbranch_vccnz .LBB44_2793
; %bb.2784:
	v_cmp_gt_i16_e32 vcc_lo, 9, v4
	s_cbranch_vccnz .LBB44_2790
; %bb.2785:
	v_cmp_lt_i16_e32 vcc_lo, 9, v4
	s_cbranch_vccz .LBB44_2787
; %bb.2786:
	s_waitcnt vmcnt(0)
	v_cvt_f64_f32_e32 v[5:6], v42
	v_mov_b32_e32 v7, 0
	s_mov_b32 s0, 0
	s_delay_alu instid0(VALU_DEP_1)
	v_mov_b32_e32 v8, v7
	global_store_b128 v[1:2], v[5:8], off
.LBB44_2787:
	s_and_not1_b32 vcc_lo, exec_lo, s0
	s_cbranch_vccnz .LBB44_2789
; %bb.2788:
	s_waitcnt vmcnt(0)
	v_mov_b32_e32 v43, 0
	global_store_b64 v[1:2], v[42:43], off
.LBB44_2789:
	s_mov_b32 s0, 0
.LBB44_2790:
	s_delay_alu instid0(SALU_CYCLE_1)
	s_and_not1_b32 vcc_lo, exec_lo, s0
	s_cbranch_vccnz .LBB44_2792
; %bb.2791:
	s_waitcnt vmcnt(0)
	v_cvt_f16_f32_e32 v5, v42
	s_delay_alu instid0(VALU_DEP_1)
	v_and_b32_e32 v5, 0xffff, v5
	global_store_b32 v[1:2], v5, off
.LBB44_2792:
	s_mov_b32 s0, 0
.LBB44_2793:
	s_delay_alu instid0(SALU_CYCLE_1)
	s_and_not1_b32 vcc_lo, exec_lo, s0
	s_cbranch_vccnz .LBB44_2802
; %bb.2794:
	v_cmp_gt_i16_e32 vcc_lo, 6, v4
	s_mov_b32 s0, -1
	s_cbranch_vccnz .LBB44_2800
; %bb.2795:
	v_cmp_lt_i16_e32 vcc_lo, 6, v4
	s_cbranch_vccz .LBB44_2797
; %bb.2796:
	s_waitcnt vmcnt(0)
	v_cvt_f64_f32_e32 v[5:6], v42
	s_mov_b32 s0, 0
	global_store_b64 v[1:2], v[5:6], off
.LBB44_2797:
	s_and_not1_b32 vcc_lo, exec_lo, s0
	s_cbranch_vccnz .LBB44_2799
; %bb.2798:
	s_waitcnt vmcnt(0)
	global_store_b32 v[1:2], v42, off
.LBB44_2799:
	s_mov_b32 s0, 0
.LBB44_2800:
	s_delay_alu instid0(SALU_CYCLE_1)
	s_and_not1_b32 vcc_lo, exec_lo, s0
	s_cbranch_vccnz .LBB44_2802
; %bb.2801:
	s_waitcnt vmcnt(0)
	v_cvt_f16_f32_e32 v5, v42
	global_store_b16 v[1:2], v5, off
.LBB44_2802:
	s_mov_b32 s0, 0
.LBB44_2803:
	s_delay_alu instid0(SALU_CYCLE_1)
	s_and_not1_b32 vcc_lo, exec_lo, s0
	s_cbranch_vccnz .LBB44_2819
; %bb.2804:
	v_cmp_gt_i16_e32 vcc_lo, 2, v4
	s_mov_b32 s0, -1
	s_cbranch_vccnz .LBB44_2814
; %bb.2805:
	v_cmp_gt_i16_e32 vcc_lo, 3, v4
	s_cbranch_vccnz .LBB44_2811
; %bb.2806:
	v_cmp_lt_i16_e32 vcc_lo, 3, v4
	s_cbranch_vccz .LBB44_2808
; %bb.2807:
	s_waitcnt vmcnt(0)
	v_trunc_f32_e32 v5, v42
	s_mov_b32 s0, 0
	s_delay_alu instid0(VALU_DEP_1) | instskip(SKIP_1) | instid1(VALU_DEP_2)
	v_mul_f32_e64 v6, 0x2f800000, |v5|
	v_ashrrev_i32_e32 v8, 31, v5
	v_floor_f32_e32 v6, v6
	s_delay_alu instid0(VALU_DEP_1) | instskip(SKIP_1) | instid1(VALU_DEP_2)
	v_fma_f32 v7, 0xcf800000, v6, |v5|
	v_cvt_u32_f32_e32 v6, v6
	v_cvt_u32_f32_e32 v5, v7
	s_delay_alu instid0(VALU_DEP_2) | instskip(NEXT) | instid1(VALU_DEP_2)
	v_xor_b32_e32 v6, v6, v8
	v_xor_b32_e32 v5, v5, v8
	s_delay_alu instid0(VALU_DEP_1) | instskip(NEXT) | instid1(VALU_DEP_3)
	v_sub_co_u32 v5, vcc_lo, v5, v8
	v_sub_co_ci_u32_e32 v6, vcc_lo, v6, v8, vcc_lo
	global_store_b64 v[1:2], v[5:6], off
.LBB44_2808:
	s_and_not1_b32 vcc_lo, exec_lo, s0
	s_cbranch_vccnz .LBB44_2810
; %bb.2809:
	s_waitcnt vmcnt(0)
	v_cvt_i32_f32_e32 v5, v42
	global_store_b32 v[1:2], v5, off
.LBB44_2810:
	s_mov_b32 s0, 0
.LBB44_2811:
	s_delay_alu instid0(SALU_CYCLE_1)
	s_and_not1_b32 vcc_lo, exec_lo, s0
	s_cbranch_vccnz .LBB44_2813
; %bb.2812:
	s_waitcnt vmcnt(0)
	v_cvt_i32_f32_e32 v5, v42
	global_store_b16 v[1:2], v5, off
.LBB44_2813:
	s_mov_b32 s0, 0
.LBB44_2814:
	s_delay_alu instid0(SALU_CYCLE_1)
	s_and_not1_b32 vcc_lo, exec_lo, s0
	s_cbranch_vccnz .LBB44_2819
; %bb.2815:
	v_cmp_lt_i16_e32 vcc_lo, 0, v4
	s_mov_b32 s0, -1
	s_cbranch_vccz .LBB44_2817
; %bb.2816:
	s_waitcnt vmcnt(0)
	v_cvt_i32_f32_e32 v5, v42
	s_mov_b32 s0, 0
	global_store_b8 v[1:2], v5, off
.LBB44_2817:
	s_and_not1_b32 vcc_lo, exec_lo, s0
	s_cbranch_vccnz .LBB44_2819
; %bb.2818:
	s_waitcnt vmcnt(0)
	v_trunc_f32_e32 v5, v42
	s_delay_alu instid0(VALU_DEP_1) | instskip(NEXT) | instid1(VALU_DEP_1)
	v_mul_f32_e64 v6, 0x2f800000, |v5|
	v_floor_f32_e32 v6, v6
	s_delay_alu instid0(VALU_DEP_1) | instskip(SKIP_1) | instid1(VALU_DEP_2)
	v_fma_f32 v6, 0xcf800000, v6, |v5|
	v_ashrrev_i32_e32 v5, 31, v5
	v_cvt_u32_f32_e32 v6, v6
	s_delay_alu instid0(VALU_DEP_1) | instskip(NEXT) | instid1(VALU_DEP_1)
	v_xor_b32_e32 v6, v6, v5
	v_sub_nc_u32_e32 v5, v6, v5
	global_store_b8 v[1:2], v5, off
.LBB44_2819:
	s_mov_b32 s2, -1
.LBB44_2820:
	s_delay_alu instid0(SALU_CYCLE_1)
	s_and_not1_b32 vcc_lo, exec_lo, s2
	s_cbranch_vccnz .LBB44_3135
; %bb.2821:
	s_lshl_b32 s1, s40, 7
	v_cmp_gt_i16_e32 vcc_lo, 11, v4
	v_add_nc_u32_e32 v3, s1, v3
	s_delay_alu instid0(VALU_DEP_1) | instskip(SKIP_1) | instid1(VALU_DEP_1)
	v_ashrrev_i32_e32 v2, 31, v3
	v_add_co_u32 v1, s0, s36, v3
	v_add_co_ci_u32_e64 v2, s0, s37, v2, s0
	s_cbranch_vccnz .LBB44_2899
; %bb.2822:
	v_cmp_lt_i16_e32 vcc_lo, 25, v4
	s_mov_b32 s4, -1
	s_mov_b32 s2, 0
	s_mov_b32 s3, 0
	;; [unrolled: 1-line block ×3, first 2 shown]
	s_cbranch_vccz .LBB44_2855
; %bb.2823:
	v_cmp_lt_i16_e32 vcc_lo, 28, v4
	s_cbranch_vccz .LBB44_2838
; %bb.2824:
	v_cmp_lt_i16_e32 vcc_lo, 43, v4
	s_cbranch_vccz .LBB44_2834
; %bb.2825:
	v_cmp_lt_i16_e32 vcc_lo, 45, v4
	s_cbranch_vccz .LBB44_2828
; %bb.2826:
	v_cmp_eq_u16_e32 vcc_lo, 46, v4
	s_mov_b32 s0, -1
	s_mov_b32 s4, 0
	s_cbranch_vccz .LBB44_2828
; %bb.2827:
	v_bfe_u32 v5, v44, 16, 1
	v_cmp_o_f32_e32 vcc_lo, v44, v44
	s_mov_b32 s0, 0
	s_mov_b32 s3, -1
	s_delay_alu instid0(VALU_DEP_2) | instskip(NEXT) | instid1(VALU_DEP_1)
	v_add3_u32 v5, v44, v5, 0x7fff
	v_lshrrev_b32_e32 v5, 16, v5
	s_delay_alu instid0(VALU_DEP_1)
	v_cndmask_b32_e32 v5, 0x7fc0, v5, vcc_lo
	global_store_b32 v[1:2], v5, off
.LBB44_2828:
	s_and_b32 vcc_lo, exec_lo, s4
	s_cbranch_vccz .LBB44_2833
; %bb.2829:
	v_cmp_eq_u16_e32 vcc_lo, 44, v4
	s_mov_b32 s0, -1
	s_cbranch_vccz .LBB44_2833
; %bb.2830:
	v_bfe_u32 v6, v44, 23, 8
	v_mov_b32_e32 v5, 0xff
	s_mov_b32 s3, exec_lo
	s_delay_alu instid0(VALU_DEP_2)
	v_cmpx_ne_u32_e32 0xff, v6
; %bb.2831:
	v_and_b32_e32 v5, 0x400000, v44
	v_and_or_b32 v6, 0x3fffff, v44, v6
	s_delay_alu instid0(VALU_DEP_2) | instskip(NEXT) | instid1(VALU_DEP_2)
	v_cmp_ne_u32_e32 vcc_lo, 0, v5
	v_cmp_ne_u32_e64 s0, 0, v6
	v_lshrrev_b32_e32 v5, 23, v44
	s_delay_alu instid0(VALU_DEP_2) | instskip(NEXT) | instid1(SALU_CYCLE_1)
	s_and_b32 s0, vcc_lo, s0
	v_cndmask_b32_e64 v6, 0, 1, s0
	s_delay_alu instid0(VALU_DEP_1)
	v_add_nc_u32_e32 v5, v5, v6
; %bb.2832:
	s_or_b32 exec_lo, exec_lo, s3
	s_mov_b32 s0, 0
	s_mov_b32 s3, -1
	global_store_b8 v[1:2], v5, off
.LBB44_2833:
	s_mov_b32 s4, 0
.LBB44_2834:
	s_delay_alu instid0(SALU_CYCLE_1)
	s_and_b32 vcc_lo, exec_lo, s4
	s_cbranch_vccz .LBB44_2837
; %bb.2835:
	v_cmp_eq_u16_e32 vcc_lo, 29, v4
	s_mov_b32 s0, -1
	s_cbranch_vccz .LBB44_2837
; %bb.2836:
	v_trunc_f32_e32 v5, v44
	s_mov_b32 s0, 0
	s_mov_b32 s3, -1
	s_delay_alu instid0(VALU_DEP_1) | instskip(NEXT) | instid1(VALU_DEP_1)
	v_mul_f32_e32 v6, 0x2f800000, v5
	v_floor_f32_e32 v6, v6
	s_delay_alu instid0(VALU_DEP_1) | instskip(SKIP_1) | instid1(VALU_DEP_2)
	v_fmamk_f32 v5, v6, 0xcf800000, v5
	v_cvt_u32_f32_e32 v6, v6
	v_cvt_u32_f32_e32 v5, v5
	global_store_b64 v[1:2], v[5:6], off
.LBB44_2837:
	s_mov_b32 s4, 0
.LBB44_2838:
	s_delay_alu instid0(SALU_CYCLE_1)
	s_and_b32 vcc_lo, exec_lo, s4
	s_cbranch_vccz .LBB44_2854
; %bb.2839:
	v_cmp_gt_i16_e32 vcc_lo, 27, v4
	s_mov_b32 s3, -1
	s_cbranch_vccnz .LBB44_2845
; %bb.2840:
	v_cmp_lt_i16_e32 vcc_lo, 27, v4
	v_cvt_u32_f32_e32 v5, v44
	s_cbranch_vccz .LBB44_2842
; %bb.2841:
	s_mov_b32 s3, 0
	global_store_b32 v[1:2], v5, off
.LBB44_2842:
	s_and_not1_b32 vcc_lo, exec_lo, s3
	s_cbranch_vccnz .LBB44_2844
; %bb.2843:
	global_store_b16 v[1:2], v5, off
.LBB44_2844:
	s_mov_b32 s3, 0
.LBB44_2845:
	s_delay_alu instid0(SALU_CYCLE_1)
	s_and_not1_b32 vcc_lo, exec_lo, s3
	s_cbranch_vccnz .LBB44_2853
; %bb.2846:
	v_and_b32_e32 v5, 0x7fffffff, v44
	v_mov_b32_e32 v6, 0x80
	s_mov_b32 s3, exec_lo
	s_delay_alu instid0(VALU_DEP_2)
	v_cmpx_gt_u32_e32 0x43800000, v5
	s_cbranch_execz .LBB44_2852
; %bb.2847:
	v_cmp_lt_u32_e32 vcc_lo, 0x3bffffff, v5
	s_mov_b32 s4, 0
                                        ; implicit-def: $vgpr5
	s_and_saveexec_b32 s5, vcc_lo
	s_delay_alu instid0(SALU_CYCLE_1)
	s_xor_b32 s5, exec_lo, s5
	s_cbranch_execz .LBB44_3147
; %bb.2848:
	v_bfe_u32 v5, v44, 20, 1
	s_mov_b32 s4, exec_lo
	s_delay_alu instid0(VALU_DEP_1) | instskip(NEXT) | instid1(VALU_DEP_1)
	v_add3_u32 v5, v44, v5, 0x487ffff
	v_lshrrev_b32_e32 v5, 20, v5
	s_or_saveexec_b32 s5, s5
                                        ; implicit-def: $sgpr6
	s_delay_alu instid0(SALU_CYCLE_1)
	s_xor_b32 exec_lo, exec_lo, s5
	s_cbranch_execnz .LBB44_3148
.LBB44_2849:
	s_or_b32 exec_lo, exec_lo, s5
	v_mov_b32_e32 v6, s6
	s_and_saveexec_b32 s5, s4
.LBB44_2850:
	v_lshrrev_b32_e32 v6, 24, v44
	s_delay_alu instid0(VALU_DEP_1)
	v_and_or_b32 v6, 0x80, v6, v5
.LBB44_2851:
	s_or_b32 exec_lo, exec_lo, s5
.LBB44_2852:
	s_delay_alu instid0(SALU_CYCLE_1)
	s_or_b32 exec_lo, exec_lo, s3
	global_store_b8 v[1:2], v6, off
.LBB44_2853:
	s_mov_b32 s3, -1
.LBB44_2854:
	s_mov_b32 s4, 0
.LBB44_2855:
	s_delay_alu instid0(SALU_CYCLE_1)
	s_and_b32 vcc_lo, exec_lo, s4
	s_cbranch_vccz .LBB44_2895
; %bb.2856:
	v_cmp_lt_i16_e32 vcc_lo, 22, v4
	s_mov_b32 s2, -1
	s_cbranch_vccz .LBB44_2888
; %bb.2857:
	v_cmp_gt_i16_e32 vcc_lo, 24, v4
	s_cbranch_vccnz .LBB44_2877
; %bb.2858:
	v_cmp_lt_i16_e32 vcc_lo, 24, v4
	s_cbranch_vccz .LBB44_2866
; %bb.2859:
	v_and_b32_e32 v5, 0x7fffffff, v44
	v_mov_b32_e32 v6, 0x80
	s_mov_b32 s2, exec_lo
	s_delay_alu instid0(VALU_DEP_2)
	v_cmpx_gt_u32_e32 0x47800000, v5
	s_cbranch_execz .LBB44_2865
; %bb.2860:
	v_cmp_lt_u32_e32 vcc_lo, 0x37ffffff, v5
	s_mov_b32 s3, 0
                                        ; implicit-def: $vgpr5
	s_and_saveexec_b32 s4, vcc_lo
	s_delay_alu instid0(SALU_CYCLE_1)
	s_xor_b32 s4, exec_lo, s4
	s_cbranch_execz .LBB44_3153
; %bb.2861:
	v_bfe_u32 v5, v44, 21, 1
	s_mov_b32 s3, exec_lo
	s_delay_alu instid0(VALU_DEP_1) | instskip(NEXT) | instid1(VALU_DEP_1)
	v_add3_u32 v5, v44, v5, 0x88fffff
	v_lshrrev_b32_e32 v5, 21, v5
	s_or_saveexec_b32 s4, s4
                                        ; implicit-def: $sgpr5
	s_delay_alu instid0(SALU_CYCLE_1)
	s_xor_b32 exec_lo, exec_lo, s4
	s_cbranch_execnz .LBB44_3154
.LBB44_2862:
	s_or_b32 exec_lo, exec_lo, s4
	v_mov_b32_e32 v6, s5
	s_and_saveexec_b32 s4, s3
.LBB44_2863:
	v_lshrrev_b32_e32 v6, 24, v44
	s_delay_alu instid0(VALU_DEP_1)
	v_and_or_b32 v6, 0x80, v6, v5
.LBB44_2864:
	s_or_b32 exec_lo, exec_lo, s4
.LBB44_2865:
	s_delay_alu instid0(SALU_CYCLE_1)
	s_or_b32 exec_lo, exec_lo, s2
	s_mov_b32 s2, 0
	global_store_b8 v[1:2], v6, off
.LBB44_2866:
	s_and_b32 vcc_lo, exec_lo, s2
	s_cbranch_vccz .LBB44_2876
; %bb.2867:
	v_and_b32_e32 v6, 0x7fffffff, v44
	s_mov_b32 s2, exec_lo
                                        ; implicit-def: $vgpr5
	s_delay_alu instid0(VALU_DEP_1)
	v_cmpx_gt_u32_e32 0x43f00000, v6
	s_xor_b32 s2, exec_lo, s2
	s_cbranch_execz .LBB44_2873
; %bb.2868:
	s_mov_b32 s3, exec_lo
                                        ; implicit-def: $vgpr5
	v_cmpx_lt_u32_e32 0x3c7fffff, v6
	s_xor_b32 s3, exec_lo, s3
; %bb.2869:
	v_bfe_u32 v5, v44, 20, 1
	s_delay_alu instid0(VALU_DEP_1) | instskip(NEXT) | instid1(VALU_DEP_1)
	v_add3_u32 v5, v44, v5, 0x407ffff
	v_and_b32_e32 v6, 0xff00000, v5
	v_lshrrev_b32_e32 v5, 20, v5
	s_delay_alu instid0(VALU_DEP_2) | instskip(NEXT) | instid1(VALU_DEP_2)
	v_cmp_ne_u32_e32 vcc_lo, 0x7f00000, v6
	v_cndmask_b32_e32 v5, 0x7e, v5, vcc_lo
; %bb.2870:
	s_and_not1_saveexec_b32 s3, s3
; %bb.2871:
	v_add_f32_e64 v5, 0x46800000, |v44|
; %bb.2872:
	s_or_b32 exec_lo, exec_lo, s3
                                        ; implicit-def: $vgpr6
.LBB44_2873:
	s_and_not1_saveexec_b32 s2, s2
; %bb.2874:
	v_mov_b32_e32 v5, 0x7f
	v_cmp_lt_u32_e32 vcc_lo, 0x7f800000, v6
	s_delay_alu instid0(VALU_DEP_2)
	v_cndmask_b32_e32 v5, 0x7e, v5, vcc_lo
; %bb.2875:
	s_or_b32 exec_lo, exec_lo, s2
	v_lshrrev_b32_e32 v6, 24, v44
	s_delay_alu instid0(VALU_DEP_1)
	v_and_or_b32 v5, 0x80, v6, v5
	global_store_b8 v[1:2], v5, off
.LBB44_2876:
	s_mov_b32 s2, 0
.LBB44_2877:
	s_delay_alu instid0(SALU_CYCLE_1)
	s_and_not1_b32 vcc_lo, exec_lo, s2
	s_cbranch_vccnz .LBB44_2887
; %bb.2878:
	v_and_b32_e32 v6, 0x7fffffff, v44
	s_mov_b32 s2, exec_lo
                                        ; implicit-def: $vgpr5
	s_delay_alu instid0(VALU_DEP_1)
	v_cmpx_gt_u32_e32 0x47800000, v6
	s_xor_b32 s2, exec_lo, s2
	s_cbranch_execz .LBB44_2884
; %bb.2879:
	s_mov_b32 s3, exec_lo
                                        ; implicit-def: $vgpr5
	v_cmpx_lt_u32_e32 0x387fffff, v6
	s_xor_b32 s3, exec_lo, s3
; %bb.2880:
	v_bfe_u32 v5, v44, 21, 1
	s_delay_alu instid0(VALU_DEP_1) | instskip(NEXT) | instid1(VALU_DEP_1)
	v_add3_u32 v5, v44, v5, 0x80fffff
	v_lshrrev_b32_e32 v5, 21, v5
; %bb.2881:
	s_and_not1_saveexec_b32 s3, s3
; %bb.2882:
	v_add_f32_e64 v5, 0x43000000, |v44|
; %bb.2883:
	s_or_b32 exec_lo, exec_lo, s3
                                        ; implicit-def: $vgpr6
.LBB44_2884:
	s_and_not1_saveexec_b32 s2, s2
; %bb.2885:
	v_mov_b32_e32 v5, 0x7f
	v_cmp_lt_u32_e32 vcc_lo, 0x7f800000, v6
	s_delay_alu instid0(VALU_DEP_2)
	v_cndmask_b32_e32 v5, 0x7c, v5, vcc_lo
; %bb.2886:
	s_or_b32 exec_lo, exec_lo, s2
	v_lshrrev_b32_e32 v6, 24, v44
	s_delay_alu instid0(VALU_DEP_1)
	v_and_or_b32 v5, 0x80, v6, v5
	global_store_b8 v[1:2], v5, off
.LBB44_2887:
	s_mov_b32 s2, 0
	s_mov_b32 s3, -1
.LBB44_2888:
	s_and_not1_b32 vcc_lo, exec_lo, s2
	s_mov_b32 s2, 0
	s_cbranch_vccnz .LBB44_2895
; %bb.2889:
	v_cmp_lt_i16_e32 vcc_lo, 14, v4
	s_mov_b32 s2, -1
	s_cbranch_vccz .LBB44_2893
; %bb.2890:
	v_cmp_eq_u16_e32 vcc_lo, 15, v4
	s_mov_b32 s0, -1
	s_cbranch_vccz .LBB44_2892
; %bb.2891:
	v_bfe_u32 v5, v44, 16, 1
	v_cmp_o_f32_e32 vcc_lo, v44, v44
	s_mov_b32 s0, 0
	s_mov_b32 s3, -1
	s_delay_alu instid0(VALU_DEP_2) | instskip(NEXT) | instid1(VALU_DEP_1)
	v_add3_u32 v5, v44, v5, 0x7fff
	v_lshrrev_b32_e32 v5, 16, v5
	s_delay_alu instid0(VALU_DEP_1)
	v_cndmask_b32_e32 v5, 0x7fc0, v5, vcc_lo
	global_store_b16 v[1:2], v5, off
.LBB44_2892:
	s_mov_b32 s2, 0
.LBB44_2893:
	s_delay_alu instid0(SALU_CYCLE_1)
	s_and_b32 vcc_lo, exec_lo, s2
	s_mov_b32 s2, 0
	s_cbranch_vccz .LBB44_2895
; %bb.2894:
	v_cmp_ne_u16_e64 s0, 11, v4
	s_mov_b32 s2, -1
.LBB44_2895:
	s_delay_alu instid0(VALU_DEP_1)
	s_and_b32 vcc_lo, exec_lo, s0
	s_cbranch_vccnz .LBB44_3151
; %bb.2896:
	s_and_not1_b32 vcc_lo, exec_lo, s2
	s_cbranch_vccnz .LBB44_2898
.LBB44_2897:
	v_cmp_neq_f32_e32 vcc_lo, 0, v44
	s_mov_b32 s3, -1
	v_cndmask_b32_e64 v5, 0, 1, vcc_lo
	global_store_b8 v[1:2], v5, off
.LBB44_2898:
	s_mov_b32 s0, 0
	s_branch .LBB44_2900
.LBB44_2899:
	s_mov_b32 s0, -1
	s_mov_b32 s3, 0
.LBB44_2900:
	s_and_b32 vcc_lo, exec_lo, s0
	s_cbranch_vccz .LBB44_2939
; %bb.2901:
	v_cmp_gt_i16_e32 vcc_lo, 5, v4
	s_mov_b32 s0, -1
	s_cbranch_vccnz .LBB44_2922
; %bb.2902:
	v_cmp_gt_i16_e32 vcc_lo, 8, v4
	s_cbranch_vccnz .LBB44_2912
; %bb.2903:
	v_cmp_gt_i16_e32 vcc_lo, 9, v4
	s_cbranch_vccnz .LBB44_2909
; %bb.2904:
	v_cmp_lt_i16_e32 vcc_lo, 9, v4
	s_cbranch_vccz .LBB44_2906
; %bb.2905:
	v_cvt_f64_f32_e32 v[5:6], v44
	v_mov_b32_e32 v7, 0
	s_mov_b32 s0, 0
	s_delay_alu instid0(VALU_DEP_1)
	v_mov_b32_e32 v8, v7
	global_store_b128 v[1:2], v[5:8], off
.LBB44_2906:
	s_and_not1_b32 vcc_lo, exec_lo, s0
	s_cbranch_vccnz .LBB44_2908
; %bb.2907:
	v_mov_b32_e32 v45, 0
	global_store_b64 v[1:2], v[44:45], off
.LBB44_2908:
	s_mov_b32 s0, 0
.LBB44_2909:
	s_delay_alu instid0(SALU_CYCLE_1)
	s_and_not1_b32 vcc_lo, exec_lo, s0
	s_cbranch_vccnz .LBB44_2911
; %bb.2910:
	v_cvt_f16_f32_e32 v5, v44
	s_delay_alu instid0(VALU_DEP_1)
	v_and_b32_e32 v5, 0xffff, v5
	global_store_b32 v[1:2], v5, off
.LBB44_2911:
	s_mov_b32 s0, 0
.LBB44_2912:
	s_delay_alu instid0(SALU_CYCLE_1)
	s_and_not1_b32 vcc_lo, exec_lo, s0
	s_cbranch_vccnz .LBB44_2921
; %bb.2913:
	v_cmp_gt_i16_e32 vcc_lo, 6, v4
	s_mov_b32 s0, -1
	s_cbranch_vccnz .LBB44_2919
; %bb.2914:
	v_cmp_lt_i16_e32 vcc_lo, 6, v4
	s_cbranch_vccz .LBB44_2916
; %bb.2915:
	v_cvt_f64_f32_e32 v[5:6], v44
	s_mov_b32 s0, 0
	global_store_b64 v[1:2], v[5:6], off
.LBB44_2916:
	s_and_not1_b32 vcc_lo, exec_lo, s0
	s_cbranch_vccnz .LBB44_2918
; %bb.2917:
	global_store_b32 v[1:2], v44, off
.LBB44_2918:
	s_mov_b32 s0, 0
.LBB44_2919:
	s_delay_alu instid0(SALU_CYCLE_1)
	s_and_not1_b32 vcc_lo, exec_lo, s0
	s_cbranch_vccnz .LBB44_2921
; %bb.2920:
	v_cvt_f16_f32_e32 v5, v44
	global_store_b16 v[1:2], v5, off
.LBB44_2921:
	s_mov_b32 s0, 0
.LBB44_2922:
	s_delay_alu instid0(SALU_CYCLE_1)
	s_and_not1_b32 vcc_lo, exec_lo, s0
	s_cbranch_vccnz .LBB44_2938
; %bb.2923:
	v_cmp_gt_i16_e32 vcc_lo, 2, v4
	s_mov_b32 s0, -1
	s_cbranch_vccnz .LBB44_2933
; %bb.2924:
	v_cmp_gt_i16_e32 vcc_lo, 3, v4
	s_cbranch_vccnz .LBB44_2930
; %bb.2925:
	v_cmp_lt_i16_e32 vcc_lo, 3, v4
	s_cbranch_vccz .LBB44_2927
; %bb.2926:
	v_trunc_f32_e32 v5, v44
	s_mov_b32 s0, 0
	s_delay_alu instid0(VALU_DEP_1) | instskip(SKIP_1) | instid1(VALU_DEP_2)
	v_mul_f32_e64 v6, 0x2f800000, |v5|
	v_ashrrev_i32_e32 v8, 31, v5
	v_floor_f32_e32 v6, v6
	s_delay_alu instid0(VALU_DEP_1) | instskip(SKIP_1) | instid1(VALU_DEP_2)
	v_fma_f32 v7, 0xcf800000, v6, |v5|
	v_cvt_u32_f32_e32 v6, v6
	v_cvt_u32_f32_e32 v5, v7
	s_delay_alu instid0(VALU_DEP_2) | instskip(NEXT) | instid1(VALU_DEP_2)
	v_xor_b32_e32 v6, v6, v8
	v_xor_b32_e32 v5, v5, v8
	s_delay_alu instid0(VALU_DEP_1) | instskip(NEXT) | instid1(VALU_DEP_3)
	v_sub_co_u32 v5, vcc_lo, v5, v8
	v_sub_co_ci_u32_e32 v6, vcc_lo, v6, v8, vcc_lo
	global_store_b64 v[1:2], v[5:6], off
.LBB44_2927:
	s_and_not1_b32 vcc_lo, exec_lo, s0
	s_cbranch_vccnz .LBB44_2929
; %bb.2928:
	v_cvt_i32_f32_e32 v5, v44
	global_store_b32 v[1:2], v5, off
.LBB44_2929:
	s_mov_b32 s0, 0
.LBB44_2930:
	s_delay_alu instid0(SALU_CYCLE_1)
	s_and_not1_b32 vcc_lo, exec_lo, s0
	s_cbranch_vccnz .LBB44_2932
; %bb.2931:
	v_cvt_i32_f32_e32 v5, v44
	global_store_b16 v[1:2], v5, off
.LBB44_2932:
	s_mov_b32 s0, 0
.LBB44_2933:
	s_delay_alu instid0(SALU_CYCLE_1)
	s_and_not1_b32 vcc_lo, exec_lo, s0
	s_cbranch_vccnz .LBB44_2938
; %bb.2934:
	v_cmp_lt_i16_e32 vcc_lo, 0, v4
	s_mov_b32 s0, -1
	s_cbranch_vccz .LBB44_2936
; %bb.2935:
	v_cvt_i32_f32_e32 v5, v44
	s_mov_b32 s0, 0
	global_store_b8 v[1:2], v5, off
.LBB44_2936:
	s_and_not1_b32 vcc_lo, exec_lo, s0
	s_cbranch_vccnz .LBB44_2938
; %bb.2937:
	v_trunc_f32_e32 v5, v44
	s_delay_alu instid0(VALU_DEP_1) | instskip(NEXT) | instid1(VALU_DEP_1)
	v_mul_f32_e64 v6, 0x2f800000, |v5|
	v_floor_f32_e32 v6, v6
	s_delay_alu instid0(VALU_DEP_1) | instskip(SKIP_1) | instid1(VALU_DEP_2)
	v_fma_f32 v6, 0xcf800000, v6, |v5|
	v_ashrrev_i32_e32 v5, 31, v5
	v_cvt_u32_f32_e32 v6, v6
	s_delay_alu instid0(VALU_DEP_1) | instskip(NEXT) | instid1(VALU_DEP_1)
	v_xor_b32_e32 v6, v6, v5
	v_sub_nc_u32_e32 v5, v6, v5
	global_store_b8 v[1:2], v5, off
.LBB44_2938:
	s_mov_b32 s3, -1
.LBB44_2939:
	s_delay_alu instid0(SALU_CYCLE_1)
	s_and_not1_b32 vcc_lo, exec_lo, s3
	s_cbranch_vccnz .LBB44_3135
; %bb.2940:
	v_add_nc_u32_e32 v3, s1, v3
	v_cmp_gt_i16_e32 vcc_lo, 11, v4
	s_delay_alu instid0(VALU_DEP_2) | instskip(SKIP_1) | instid1(VALU_DEP_1)
	v_ashrrev_i32_e32 v2, 31, v3
	v_add_co_u32 v1, s0, s36, v3
	v_add_co_ci_u32_e64 v2, s0, s37, v2, s0
	s_cbranch_vccnz .LBB44_3018
; %bb.2941:
	v_cmp_lt_i16_e32 vcc_lo, 25, v4
	s_mov_b32 s4, -1
	s_mov_b32 s2, 0
	s_mov_b32 s3, 0
	;; [unrolled: 1-line block ×3, first 2 shown]
	s_cbranch_vccz .LBB44_2974
; %bb.2942:
	v_cmp_lt_i16_e32 vcc_lo, 28, v4
	s_cbranch_vccz .LBB44_2957
; %bb.2943:
	v_cmp_lt_i16_e32 vcc_lo, 43, v4
	;; [unrolled: 3-line block ×3, first 2 shown]
	s_cbranch_vccz .LBB44_2947
; %bb.2945:
	v_cmp_eq_u16_e32 vcc_lo, 46, v4
	s_mov_b32 s0, -1
	s_mov_b32 s4, 0
	s_cbranch_vccz .LBB44_2947
; %bb.2946:
	v_bfe_u32 v5, v46, 16, 1
	v_cmp_o_f32_e32 vcc_lo, v46, v46
	s_mov_b32 s0, 0
	s_mov_b32 s3, -1
	s_delay_alu instid0(VALU_DEP_2) | instskip(NEXT) | instid1(VALU_DEP_1)
	v_add3_u32 v5, v46, v5, 0x7fff
	v_lshrrev_b32_e32 v5, 16, v5
	s_delay_alu instid0(VALU_DEP_1)
	v_cndmask_b32_e32 v5, 0x7fc0, v5, vcc_lo
	global_store_b32 v[1:2], v5, off
.LBB44_2947:
	s_and_b32 vcc_lo, exec_lo, s4
	s_cbranch_vccz .LBB44_2952
; %bb.2948:
	v_cmp_eq_u16_e32 vcc_lo, 44, v4
	s_mov_b32 s0, -1
	s_cbranch_vccz .LBB44_2952
; %bb.2949:
	v_bfe_u32 v6, v46, 23, 8
	v_mov_b32_e32 v5, 0xff
	s_mov_b32 s3, exec_lo
	s_delay_alu instid0(VALU_DEP_2)
	v_cmpx_ne_u32_e32 0xff, v6
; %bb.2950:
	v_and_b32_e32 v5, 0x400000, v46
	v_and_or_b32 v6, 0x3fffff, v46, v6
	s_delay_alu instid0(VALU_DEP_2) | instskip(NEXT) | instid1(VALU_DEP_2)
	v_cmp_ne_u32_e32 vcc_lo, 0, v5
	v_cmp_ne_u32_e64 s0, 0, v6
	v_lshrrev_b32_e32 v5, 23, v46
	s_delay_alu instid0(VALU_DEP_2) | instskip(NEXT) | instid1(SALU_CYCLE_1)
	s_and_b32 s0, vcc_lo, s0
	v_cndmask_b32_e64 v6, 0, 1, s0
	s_delay_alu instid0(VALU_DEP_1)
	v_add_nc_u32_e32 v5, v5, v6
; %bb.2951:
	s_or_b32 exec_lo, exec_lo, s3
	s_mov_b32 s0, 0
	s_mov_b32 s3, -1
	global_store_b8 v[1:2], v5, off
.LBB44_2952:
	s_mov_b32 s4, 0
.LBB44_2953:
	s_delay_alu instid0(SALU_CYCLE_1)
	s_and_b32 vcc_lo, exec_lo, s4
	s_cbranch_vccz .LBB44_2956
; %bb.2954:
	v_cmp_eq_u16_e32 vcc_lo, 29, v4
	s_mov_b32 s0, -1
	s_cbranch_vccz .LBB44_2956
; %bb.2955:
	v_trunc_f32_e32 v5, v46
	s_mov_b32 s0, 0
	s_mov_b32 s3, -1
	s_delay_alu instid0(VALU_DEP_1) | instskip(NEXT) | instid1(VALU_DEP_1)
	v_mul_f32_e32 v6, 0x2f800000, v5
	v_floor_f32_e32 v6, v6
	s_delay_alu instid0(VALU_DEP_1) | instskip(SKIP_1) | instid1(VALU_DEP_2)
	v_fmamk_f32 v5, v6, 0xcf800000, v5
	v_cvt_u32_f32_e32 v6, v6
	v_cvt_u32_f32_e32 v5, v5
	global_store_b64 v[1:2], v[5:6], off
.LBB44_2956:
	s_mov_b32 s4, 0
.LBB44_2957:
	s_delay_alu instid0(SALU_CYCLE_1)
	s_and_b32 vcc_lo, exec_lo, s4
	s_cbranch_vccz .LBB44_2973
; %bb.2958:
	v_cmp_gt_i16_e32 vcc_lo, 27, v4
	s_mov_b32 s3, -1
	s_cbranch_vccnz .LBB44_2964
; %bb.2959:
	v_cmp_lt_i16_e32 vcc_lo, 27, v4
	s_cbranch_vccz .LBB44_2961
; %bb.2960:
	v_cvt_u32_f32_e32 v5, v46
	s_mov_b32 s3, 0
	global_store_b32 v[1:2], v5, off
.LBB44_2961:
	s_and_not1_b32 vcc_lo, exec_lo, s3
	s_cbranch_vccnz .LBB44_2963
; %bb.2962:
	v_cvt_u32_f32_e32 v5, v46
	global_store_b16 v[1:2], v5, off
.LBB44_2963:
	s_mov_b32 s3, 0
.LBB44_2964:
	s_delay_alu instid0(SALU_CYCLE_1)
	s_and_not1_b32 vcc_lo, exec_lo, s3
	s_cbranch_vccnz .LBB44_2972
; %bb.2965:
	v_and_b32_e32 v5, 0x7fffffff, v46
	v_mov_b32_e32 v6, 0x80
	s_mov_b32 s3, exec_lo
	s_delay_alu instid0(VALU_DEP_2)
	v_cmpx_gt_u32_e32 0x43800000, v5
	s_cbranch_execz .LBB44_2971
; %bb.2966:
	v_cmp_lt_u32_e32 vcc_lo, 0x3bffffff, v5
	s_mov_b32 s4, 0
                                        ; implicit-def: $vgpr5
	s_and_saveexec_b32 s5, vcc_lo
	s_delay_alu instid0(SALU_CYCLE_1)
	s_xor_b32 s5, exec_lo, s5
	s_cbranch_execz .LBB44_3155
; %bb.2967:
	v_bfe_u32 v5, v46, 20, 1
	s_mov_b32 s4, exec_lo
	s_delay_alu instid0(VALU_DEP_1) | instskip(NEXT) | instid1(VALU_DEP_1)
	v_add3_u32 v5, v46, v5, 0x487ffff
	v_lshrrev_b32_e32 v5, 20, v5
	s_or_saveexec_b32 s5, s5
                                        ; implicit-def: $sgpr6
	s_delay_alu instid0(SALU_CYCLE_1)
	s_xor_b32 exec_lo, exec_lo, s5
	s_cbranch_execnz .LBB44_3156
.LBB44_2968:
	s_or_b32 exec_lo, exec_lo, s5
	v_mov_b32_e32 v6, s6
	s_and_saveexec_b32 s5, s4
.LBB44_2969:
	v_lshrrev_b32_e32 v6, 24, v46
	s_delay_alu instid0(VALU_DEP_1)
	v_and_or_b32 v6, 0x80, v6, v5
.LBB44_2970:
	s_or_b32 exec_lo, exec_lo, s5
.LBB44_2971:
	s_delay_alu instid0(SALU_CYCLE_1)
	s_or_b32 exec_lo, exec_lo, s3
	global_store_b8 v[1:2], v6, off
.LBB44_2972:
	s_mov_b32 s3, -1
.LBB44_2973:
	s_mov_b32 s4, 0
.LBB44_2974:
	s_delay_alu instid0(SALU_CYCLE_1)
	s_and_b32 vcc_lo, exec_lo, s4
	s_cbranch_vccz .LBB44_3014
; %bb.2975:
	v_cmp_lt_i16_e32 vcc_lo, 22, v4
	s_mov_b32 s2, -1
	s_cbranch_vccz .LBB44_3007
; %bb.2976:
	v_cmp_gt_i16_e32 vcc_lo, 24, v4
	s_cbranch_vccnz .LBB44_2996
; %bb.2977:
	v_cmp_lt_i16_e32 vcc_lo, 24, v4
	s_cbranch_vccz .LBB44_2985
; %bb.2978:
	v_and_b32_e32 v5, 0x7fffffff, v46
	v_mov_b32_e32 v6, 0x80
	s_mov_b32 s2, exec_lo
	s_delay_alu instid0(VALU_DEP_2)
	v_cmpx_gt_u32_e32 0x47800000, v5
	s_cbranch_execz .LBB44_2984
; %bb.2979:
	v_cmp_lt_u32_e32 vcc_lo, 0x37ffffff, v5
	s_mov_b32 s3, 0
                                        ; implicit-def: $vgpr5
	s_and_saveexec_b32 s4, vcc_lo
	s_delay_alu instid0(SALU_CYCLE_1)
	s_xor_b32 s4, exec_lo, s4
	s_cbranch_execz .LBB44_3161
; %bb.2980:
	v_bfe_u32 v5, v46, 21, 1
	s_mov_b32 s3, exec_lo
	s_delay_alu instid0(VALU_DEP_1) | instskip(NEXT) | instid1(VALU_DEP_1)
	v_add3_u32 v5, v46, v5, 0x88fffff
	v_lshrrev_b32_e32 v5, 21, v5
	s_or_saveexec_b32 s4, s4
                                        ; implicit-def: $sgpr5
	s_delay_alu instid0(SALU_CYCLE_1)
	s_xor_b32 exec_lo, exec_lo, s4
	s_cbranch_execnz .LBB44_3162
.LBB44_2981:
	s_or_b32 exec_lo, exec_lo, s4
	v_mov_b32_e32 v6, s5
	s_and_saveexec_b32 s4, s3
.LBB44_2982:
	v_lshrrev_b32_e32 v6, 24, v46
	s_delay_alu instid0(VALU_DEP_1)
	v_and_or_b32 v6, 0x80, v6, v5
.LBB44_2983:
	s_or_b32 exec_lo, exec_lo, s4
.LBB44_2984:
	s_delay_alu instid0(SALU_CYCLE_1)
	s_or_b32 exec_lo, exec_lo, s2
	s_mov_b32 s2, 0
	global_store_b8 v[1:2], v6, off
.LBB44_2985:
	s_and_b32 vcc_lo, exec_lo, s2
	s_cbranch_vccz .LBB44_2995
; %bb.2986:
	v_and_b32_e32 v6, 0x7fffffff, v46
	s_mov_b32 s2, exec_lo
                                        ; implicit-def: $vgpr5
	s_delay_alu instid0(VALU_DEP_1)
	v_cmpx_gt_u32_e32 0x43f00000, v6
	s_xor_b32 s2, exec_lo, s2
	s_cbranch_execz .LBB44_2992
; %bb.2987:
	s_mov_b32 s3, exec_lo
                                        ; implicit-def: $vgpr5
	v_cmpx_lt_u32_e32 0x3c7fffff, v6
	s_xor_b32 s3, exec_lo, s3
; %bb.2988:
	v_bfe_u32 v5, v46, 20, 1
	s_delay_alu instid0(VALU_DEP_1) | instskip(NEXT) | instid1(VALU_DEP_1)
	v_add3_u32 v5, v46, v5, 0x407ffff
	v_and_b32_e32 v6, 0xff00000, v5
	v_lshrrev_b32_e32 v5, 20, v5
	s_delay_alu instid0(VALU_DEP_2) | instskip(NEXT) | instid1(VALU_DEP_2)
	v_cmp_ne_u32_e32 vcc_lo, 0x7f00000, v6
	v_cndmask_b32_e32 v5, 0x7e, v5, vcc_lo
; %bb.2989:
	s_and_not1_saveexec_b32 s3, s3
; %bb.2990:
	v_add_f32_e64 v5, 0x46800000, |v46|
; %bb.2991:
	s_or_b32 exec_lo, exec_lo, s3
                                        ; implicit-def: $vgpr6
.LBB44_2992:
	s_and_not1_saveexec_b32 s2, s2
; %bb.2993:
	v_mov_b32_e32 v5, 0x7f
	v_cmp_lt_u32_e32 vcc_lo, 0x7f800000, v6
	s_delay_alu instid0(VALU_DEP_2)
	v_cndmask_b32_e32 v5, 0x7e, v5, vcc_lo
; %bb.2994:
	s_or_b32 exec_lo, exec_lo, s2
	v_lshrrev_b32_e32 v6, 24, v46
	s_delay_alu instid0(VALU_DEP_1)
	v_and_or_b32 v5, 0x80, v6, v5
	global_store_b8 v[1:2], v5, off
.LBB44_2995:
	s_mov_b32 s2, 0
.LBB44_2996:
	s_delay_alu instid0(SALU_CYCLE_1)
	s_and_not1_b32 vcc_lo, exec_lo, s2
	s_cbranch_vccnz .LBB44_3006
; %bb.2997:
	v_and_b32_e32 v6, 0x7fffffff, v46
	s_mov_b32 s2, exec_lo
                                        ; implicit-def: $vgpr5
	s_delay_alu instid0(VALU_DEP_1)
	v_cmpx_gt_u32_e32 0x47800000, v6
	s_xor_b32 s2, exec_lo, s2
	s_cbranch_execz .LBB44_3003
; %bb.2998:
	s_mov_b32 s3, exec_lo
                                        ; implicit-def: $vgpr5
	v_cmpx_lt_u32_e32 0x387fffff, v6
	s_xor_b32 s3, exec_lo, s3
; %bb.2999:
	v_bfe_u32 v5, v46, 21, 1
	s_delay_alu instid0(VALU_DEP_1) | instskip(NEXT) | instid1(VALU_DEP_1)
	v_add3_u32 v5, v46, v5, 0x80fffff
	v_lshrrev_b32_e32 v5, 21, v5
; %bb.3000:
	s_and_not1_saveexec_b32 s3, s3
; %bb.3001:
	v_add_f32_e64 v5, 0x43000000, |v46|
; %bb.3002:
	s_or_b32 exec_lo, exec_lo, s3
                                        ; implicit-def: $vgpr6
.LBB44_3003:
	s_and_not1_saveexec_b32 s2, s2
; %bb.3004:
	v_mov_b32_e32 v5, 0x7f
	v_cmp_lt_u32_e32 vcc_lo, 0x7f800000, v6
	s_delay_alu instid0(VALU_DEP_2)
	v_cndmask_b32_e32 v5, 0x7c, v5, vcc_lo
; %bb.3005:
	s_or_b32 exec_lo, exec_lo, s2
	v_lshrrev_b32_e32 v6, 24, v46
	s_delay_alu instid0(VALU_DEP_1)
	v_and_or_b32 v5, 0x80, v6, v5
	global_store_b8 v[1:2], v5, off
.LBB44_3006:
	s_mov_b32 s2, 0
	s_mov_b32 s3, -1
.LBB44_3007:
	s_and_not1_b32 vcc_lo, exec_lo, s2
	s_mov_b32 s2, 0
	s_cbranch_vccnz .LBB44_3014
; %bb.3008:
	v_cmp_lt_i16_e32 vcc_lo, 14, v4
	s_mov_b32 s2, -1
	s_cbranch_vccz .LBB44_3012
; %bb.3009:
	v_cmp_eq_u16_e32 vcc_lo, 15, v4
	s_mov_b32 s0, -1
	s_cbranch_vccz .LBB44_3011
; %bb.3010:
	v_bfe_u32 v5, v46, 16, 1
	v_cmp_o_f32_e32 vcc_lo, v46, v46
	s_mov_b32 s0, 0
	s_mov_b32 s3, -1
	s_delay_alu instid0(VALU_DEP_2) | instskip(NEXT) | instid1(VALU_DEP_1)
	v_add3_u32 v5, v46, v5, 0x7fff
	v_lshrrev_b32_e32 v5, 16, v5
	s_delay_alu instid0(VALU_DEP_1)
	v_cndmask_b32_e32 v5, 0x7fc0, v5, vcc_lo
	global_store_b16 v[1:2], v5, off
.LBB44_3011:
	s_mov_b32 s2, 0
.LBB44_3012:
	s_delay_alu instid0(SALU_CYCLE_1)
	s_and_b32 vcc_lo, exec_lo, s2
	s_mov_b32 s2, 0
	s_cbranch_vccz .LBB44_3014
; %bb.3013:
	v_cmp_ne_u16_e64 s0, 11, v4
	s_mov_b32 s2, -1
.LBB44_3014:
	s_delay_alu instid0(VALU_DEP_1)
	s_and_b32 vcc_lo, exec_lo, s0
	s_cbranch_vccnz .LBB44_3159
; %bb.3015:
	s_and_not1_b32 vcc_lo, exec_lo, s2
	s_cbranch_vccnz .LBB44_3017
.LBB44_3016:
	v_cmp_neq_f32_e32 vcc_lo, 0, v46
	s_mov_b32 s3, -1
	v_cndmask_b32_e64 v5, 0, 1, vcc_lo
	global_store_b8 v[1:2], v5, off
.LBB44_3017:
	s_mov_b32 s0, 0
	s_branch .LBB44_3019
.LBB44_3018:
	s_mov_b32 s0, -1
	s_mov_b32 s3, 0
.LBB44_3019:
	s_and_b32 vcc_lo, exec_lo, s0
	s_cbranch_vccz .LBB44_3058
; %bb.3020:
	v_cmp_gt_i16_e32 vcc_lo, 5, v4
	s_mov_b32 s0, -1
	s_cbranch_vccnz .LBB44_3041
; %bb.3021:
	v_cmp_gt_i16_e32 vcc_lo, 8, v4
	s_cbranch_vccnz .LBB44_3031
; %bb.3022:
	v_cmp_gt_i16_e32 vcc_lo, 9, v4
	s_cbranch_vccnz .LBB44_3028
; %bb.3023:
	v_cmp_lt_i16_e32 vcc_lo, 9, v4
	s_cbranch_vccz .LBB44_3025
; %bb.3024:
	v_cvt_f64_f32_e32 v[5:6], v46
	v_mov_b32_e32 v7, 0
	s_mov_b32 s0, 0
	s_delay_alu instid0(VALU_DEP_1)
	v_mov_b32_e32 v8, v7
	global_store_b128 v[1:2], v[5:8], off
.LBB44_3025:
	s_and_not1_b32 vcc_lo, exec_lo, s0
	s_cbranch_vccnz .LBB44_3027
; %bb.3026:
	v_mov_b32_e32 v47, 0
	global_store_b64 v[1:2], v[46:47], off
.LBB44_3027:
	s_mov_b32 s0, 0
.LBB44_3028:
	s_delay_alu instid0(SALU_CYCLE_1)
	s_and_not1_b32 vcc_lo, exec_lo, s0
	s_cbranch_vccnz .LBB44_3030
; %bb.3029:
	v_cvt_f16_f32_e32 v5, v46
	s_delay_alu instid0(VALU_DEP_1)
	v_and_b32_e32 v5, 0xffff, v5
	global_store_b32 v[1:2], v5, off
.LBB44_3030:
	s_mov_b32 s0, 0
.LBB44_3031:
	s_delay_alu instid0(SALU_CYCLE_1)
	s_and_not1_b32 vcc_lo, exec_lo, s0
	s_cbranch_vccnz .LBB44_3040
; %bb.3032:
	v_cmp_gt_i16_e32 vcc_lo, 6, v4
	s_mov_b32 s0, -1
	s_cbranch_vccnz .LBB44_3038
; %bb.3033:
	v_cmp_lt_i16_e32 vcc_lo, 6, v4
	s_cbranch_vccz .LBB44_3035
; %bb.3034:
	v_cvt_f64_f32_e32 v[5:6], v46
	s_mov_b32 s0, 0
	global_store_b64 v[1:2], v[5:6], off
.LBB44_3035:
	s_and_not1_b32 vcc_lo, exec_lo, s0
	s_cbranch_vccnz .LBB44_3037
; %bb.3036:
	global_store_b32 v[1:2], v46, off
.LBB44_3037:
	s_mov_b32 s0, 0
.LBB44_3038:
	s_delay_alu instid0(SALU_CYCLE_1)
	s_and_not1_b32 vcc_lo, exec_lo, s0
	s_cbranch_vccnz .LBB44_3040
; %bb.3039:
	v_cvt_f16_f32_e32 v5, v46
	global_store_b16 v[1:2], v5, off
.LBB44_3040:
	s_mov_b32 s0, 0
.LBB44_3041:
	s_delay_alu instid0(SALU_CYCLE_1)
	s_and_not1_b32 vcc_lo, exec_lo, s0
	s_cbranch_vccnz .LBB44_3057
; %bb.3042:
	v_cmp_gt_i16_e32 vcc_lo, 2, v4
	s_mov_b32 s0, -1
	s_cbranch_vccnz .LBB44_3052
; %bb.3043:
	v_cmp_gt_i16_e32 vcc_lo, 3, v4
	s_cbranch_vccnz .LBB44_3049
; %bb.3044:
	v_cmp_lt_i16_e32 vcc_lo, 3, v4
	s_cbranch_vccz .LBB44_3046
; %bb.3045:
	v_trunc_f32_e32 v5, v46
	s_mov_b32 s0, 0
	s_delay_alu instid0(VALU_DEP_1) | instskip(SKIP_1) | instid1(VALU_DEP_2)
	v_mul_f32_e64 v6, 0x2f800000, |v5|
	v_ashrrev_i32_e32 v8, 31, v5
	v_floor_f32_e32 v6, v6
	s_delay_alu instid0(VALU_DEP_1) | instskip(SKIP_1) | instid1(VALU_DEP_2)
	v_fma_f32 v7, 0xcf800000, v6, |v5|
	v_cvt_u32_f32_e32 v6, v6
	v_cvt_u32_f32_e32 v5, v7
	s_delay_alu instid0(VALU_DEP_2) | instskip(NEXT) | instid1(VALU_DEP_2)
	v_xor_b32_e32 v6, v6, v8
	v_xor_b32_e32 v5, v5, v8
	s_delay_alu instid0(VALU_DEP_1) | instskip(NEXT) | instid1(VALU_DEP_3)
	v_sub_co_u32 v5, vcc_lo, v5, v8
	v_sub_co_ci_u32_e32 v6, vcc_lo, v6, v8, vcc_lo
	global_store_b64 v[1:2], v[5:6], off
.LBB44_3046:
	s_and_not1_b32 vcc_lo, exec_lo, s0
	s_cbranch_vccnz .LBB44_3048
; %bb.3047:
	v_cvt_i32_f32_e32 v5, v46
	global_store_b32 v[1:2], v5, off
.LBB44_3048:
	s_mov_b32 s0, 0
.LBB44_3049:
	s_delay_alu instid0(SALU_CYCLE_1)
	s_and_not1_b32 vcc_lo, exec_lo, s0
	s_cbranch_vccnz .LBB44_3051
; %bb.3050:
	v_cvt_i32_f32_e32 v5, v46
	global_store_b16 v[1:2], v5, off
.LBB44_3051:
	s_mov_b32 s0, 0
.LBB44_3052:
	s_delay_alu instid0(SALU_CYCLE_1)
	s_and_not1_b32 vcc_lo, exec_lo, s0
	s_cbranch_vccnz .LBB44_3057
; %bb.3053:
	v_cmp_lt_i16_e32 vcc_lo, 0, v4
	s_mov_b32 s0, -1
	s_cbranch_vccz .LBB44_3055
; %bb.3054:
	v_cvt_i32_f32_e32 v5, v46
	s_mov_b32 s0, 0
	global_store_b8 v[1:2], v5, off
.LBB44_3055:
	s_and_not1_b32 vcc_lo, exec_lo, s0
	s_cbranch_vccnz .LBB44_3057
; %bb.3056:
	v_trunc_f32_e32 v5, v46
	s_delay_alu instid0(VALU_DEP_1) | instskip(NEXT) | instid1(VALU_DEP_1)
	v_mul_f32_e64 v6, 0x2f800000, |v5|
	v_floor_f32_e32 v6, v6
	s_delay_alu instid0(VALU_DEP_1) | instskip(SKIP_1) | instid1(VALU_DEP_2)
	v_fma_f32 v6, 0xcf800000, v6, |v5|
	v_ashrrev_i32_e32 v5, 31, v5
	v_cvt_u32_f32_e32 v6, v6
	s_delay_alu instid0(VALU_DEP_1) | instskip(NEXT) | instid1(VALU_DEP_1)
	v_xor_b32_e32 v6, v6, v5
	v_sub_nc_u32_e32 v5, v6, v5
	global_store_b8 v[1:2], v5, off
.LBB44_3057:
	s_mov_b32 s3, -1
.LBB44_3058:
	s_delay_alu instid0(SALU_CYCLE_1)
	s_and_not1_b32 vcc_lo, exec_lo, s3
	s_cbranch_vccnz .LBB44_3135
; %bb.3059:
	v_add_nc_u32_e32 v1, s1, v3
	v_cmp_gt_i16_e32 vcc_lo, 11, v4
	s_delay_alu instid0(VALU_DEP_2) | instskip(SKIP_1) | instid1(VALU_DEP_1)
	v_ashrrev_i32_e32 v3, 31, v1
	v_add_co_u32 v2, s0, s36, v1
	v_add_co_ci_u32_e64 v3, s0, s37, v3, s0
	s_cbranch_vccnz .LBB44_3136
; %bb.3060:
	v_cmp_lt_i16_e32 vcc_lo, 25, v4
	s_mov_b32 s2, -1
	s_mov_b32 s1, 0
	s_mov_b32 s0, 0
	s_cbranch_vccz .LBB44_3093
; %bb.3061:
	v_cmp_lt_i16_e32 vcc_lo, 28, v4
	s_cbranch_vccz .LBB44_3077
; %bb.3062:
	v_cmp_lt_i16_e32 vcc_lo, 43, v4
	s_cbranch_vccz .LBB44_3073
; %bb.3063:
	v_cmp_lt_i16_e32 vcc_lo, 45, v4
	s_cbranch_vccz .LBB44_3067
; %bb.3064:
	v_cmp_eq_u16_e32 vcc_lo, 46, v4
	s_mov_b32 s0, -1
	s_cbranch_vccz .LBB44_3066
; %bb.3065:
	v_bfe_u32 v1, v0, 16, 1
	v_cmp_o_f32_e32 vcc_lo, v0, v0
	s_mov_b32 s0, 0
	s_delay_alu instid0(VALU_DEP_2) | instskip(NEXT) | instid1(VALU_DEP_1)
	v_add3_u32 v1, v0, v1, 0x7fff
	v_lshrrev_b32_e32 v1, 16, v1
	s_delay_alu instid0(VALU_DEP_1)
	v_cndmask_b32_e32 v1, 0x7fc0, v1, vcc_lo
	global_store_b32 v[2:3], v1, off
.LBB44_3066:
	s_mov_b32 s2, 0
.LBB44_3067:
	s_delay_alu instid0(SALU_CYCLE_1)
	s_and_b32 vcc_lo, exec_lo, s2
	s_cbranch_vccz .LBB44_3072
; %bb.3068:
	v_cmp_eq_u16_e32 vcc_lo, 44, v4
	s_mov_b32 s0, -1
	s_cbranch_vccz .LBB44_3072
; %bb.3069:
	v_bfe_u32 v5, v0, 23, 8
	v_mov_b32_e32 v1, 0xff
	s_mov_b32 s2, exec_lo
	s_delay_alu instid0(VALU_DEP_2)
	v_cmpx_ne_u32_e32 0xff, v5
; %bb.3070:
	v_and_b32_e32 v1, 0x400000, v0
	v_and_or_b32 v5, 0x3fffff, v0, v5
	s_delay_alu instid0(VALU_DEP_2) | instskip(NEXT) | instid1(VALU_DEP_2)
	v_cmp_ne_u32_e32 vcc_lo, 0, v1
	v_cmp_ne_u32_e64 s0, 0, v5
	v_lshrrev_b32_e32 v1, 23, v0
	s_delay_alu instid0(VALU_DEP_2) | instskip(NEXT) | instid1(SALU_CYCLE_1)
	s_and_b32 s0, vcc_lo, s0
	v_cndmask_b32_e64 v5, 0, 1, s0
	s_delay_alu instid0(VALU_DEP_1)
	v_add_nc_u32_e32 v1, v1, v5
; %bb.3071:
	s_or_b32 exec_lo, exec_lo, s2
	s_mov_b32 s0, 0
	global_store_b8 v[2:3], v1, off
.LBB44_3072:
	s_mov_b32 s2, 0
.LBB44_3073:
	s_delay_alu instid0(SALU_CYCLE_1)
	s_and_b32 vcc_lo, exec_lo, s2
	s_cbranch_vccz .LBB44_3076
; %bb.3074:
	v_cmp_eq_u16_e32 vcc_lo, 29, v4
	s_mov_b32 s0, -1
	s_cbranch_vccz .LBB44_3076
; %bb.3075:
	v_trunc_f32_e32 v1, v0
	s_mov_b32 s0, 0
	s_delay_alu instid0(VALU_DEP_1) | instskip(NEXT) | instid1(VALU_DEP_1)
	v_mul_f32_e32 v5, 0x2f800000, v1
	v_floor_f32_e32 v5, v5
	s_delay_alu instid0(VALU_DEP_1) | instskip(SKIP_1) | instid1(VALU_DEP_2)
	v_fmamk_f32 v1, v5, 0xcf800000, v1
	v_cvt_u32_f32_e32 v6, v5
	v_cvt_u32_f32_e32 v5, v1
	global_store_b64 v[2:3], v[5:6], off
.LBB44_3076:
	s_mov_b32 s2, 0
.LBB44_3077:
	s_delay_alu instid0(SALU_CYCLE_1)
	s_and_b32 vcc_lo, exec_lo, s2
	s_cbranch_vccz .LBB44_3092
; %bb.3078:
	v_cmp_gt_i16_e32 vcc_lo, 27, v4
	s_mov_b32 s2, -1
	s_cbranch_vccnz .LBB44_3084
; %bb.3079:
	v_cmp_lt_i16_e32 vcc_lo, 27, v4
	s_cbranch_vccz .LBB44_3081
; %bb.3080:
	v_cvt_u32_f32_e32 v1, v0
	s_mov_b32 s2, 0
	global_store_b32 v[2:3], v1, off
.LBB44_3081:
	s_and_not1_b32 vcc_lo, exec_lo, s2
	s_cbranch_vccnz .LBB44_3083
; %bb.3082:
	v_cvt_u32_f32_e32 v1, v0
	global_store_b16 v[2:3], v1, off
.LBB44_3083:
	s_mov_b32 s2, 0
.LBB44_3084:
	s_delay_alu instid0(SALU_CYCLE_1)
	s_and_not1_b32 vcc_lo, exec_lo, s2
	s_cbranch_vccnz .LBB44_3092
; %bb.3085:
	v_and_b32_e32 v1, 0x7fffffff, v0
	v_mov_b32_e32 v5, 0x80
	s_mov_b32 s2, exec_lo
	s_delay_alu instid0(VALU_DEP_2)
	v_cmpx_gt_u32_e32 0x43800000, v1
	s_cbranch_execz .LBB44_3091
; %bb.3086:
	v_cmp_lt_u32_e32 vcc_lo, 0x3bffffff, v1
	s_mov_b32 s3, 0
                                        ; implicit-def: $vgpr1
	s_and_saveexec_b32 s4, vcc_lo
	s_delay_alu instid0(SALU_CYCLE_1)
	s_xor_b32 s4, exec_lo, s4
	s_cbranch_execz .LBB44_3163
; %bb.3087:
	v_bfe_u32 v1, v0, 20, 1
	s_mov_b32 s3, exec_lo
	s_delay_alu instid0(VALU_DEP_1) | instskip(NEXT) | instid1(VALU_DEP_1)
	v_add3_u32 v1, v0, v1, 0x487ffff
	v_lshrrev_b32_e32 v1, 20, v1
	s_or_saveexec_b32 s4, s4
                                        ; implicit-def: $sgpr5
	s_delay_alu instid0(SALU_CYCLE_1)
	s_xor_b32 exec_lo, exec_lo, s4
	s_cbranch_execnz .LBB44_3164
.LBB44_3088:
	s_or_b32 exec_lo, exec_lo, s4
	v_mov_b32_e32 v5, s5
	s_and_saveexec_b32 s4, s3
.LBB44_3089:
	v_lshrrev_b32_e32 v5, 24, v0
	s_delay_alu instid0(VALU_DEP_1)
	v_and_or_b32 v5, 0x80, v5, v1
.LBB44_3090:
	s_or_b32 exec_lo, exec_lo, s4
.LBB44_3091:
	s_delay_alu instid0(SALU_CYCLE_1)
	s_or_b32 exec_lo, exec_lo, s2
	global_store_b8 v[2:3], v5, off
.LBB44_3092:
	s_mov_b32 s2, 0
.LBB44_3093:
	s_delay_alu instid0(SALU_CYCLE_1)
	s_and_b32 vcc_lo, exec_lo, s2
	s_cbranch_vccz .LBB44_3133
; %bb.3094:
	v_cmp_lt_i16_e32 vcc_lo, 22, v4
	s_mov_b32 s1, -1
	s_cbranch_vccz .LBB44_3126
; %bb.3095:
	v_cmp_gt_i16_e32 vcc_lo, 24, v4
	s_cbranch_vccnz .LBB44_3115
; %bb.3096:
	v_cmp_lt_i16_e32 vcc_lo, 24, v4
	s_cbranch_vccz .LBB44_3104
; %bb.3097:
	v_and_b32_e32 v1, 0x7fffffff, v0
	v_mov_b32_e32 v5, 0x80
	s_mov_b32 s1, exec_lo
	s_delay_alu instid0(VALU_DEP_2)
	v_cmpx_gt_u32_e32 0x47800000, v1
	s_cbranch_execz .LBB44_3103
; %bb.3098:
	v_cmp_lt_u32_e32 vcc_lo, 0x37ffffff, v1
	s_mov_b32 s2, 0
                                        ; implicit-def: $vgpr1
	s_and_saveexec_b32 s3, vcc_lo
	s_delay_alu instid0(SALU_CYCLE_1)
	s_xor_b32 s3, exec_lo, s3
	s_cbranch_execz .LBB44_3169
; %bb.3099:
	v_bfe_u32 v1, v0, 21, 1
	s_mov_b32 s2, exec_lo
	s_delay_alu instid0(VALU_DEP_1) | instskip(NEXT) | instid1(VALU_DEP_1)
	v_add3_u32 v1, v0, v1, 0x88fffff
	v_lshrrev_b32_e32 v1, 21, v1
	s_or_saveexec_b32 s3, s3
                                        ; implicit-def: $sgpr4
	s_delay_alu instid0(SALU_CYCLE_1)
	s_xor_b32 exec_lo, exec_lo, s3
	s_cbranch_execnz .LBB44_3170
.LBB44_3100:
	s_or_b32 exec_lo, exec_lo, s3
	v_mov_b32_e32 v5, s4
	s_and_saveexec_b32 s3, s2
.LBB44_3101:
	v_lshrrev_b32_e32 v5, 24, v0
	s_delay_alu instid0(VALU_DEP_1)
	v_and_or_b32 v5, 0x80, v5, v1
.LBB44_3102:
	s_or_b32 exec_lo, exec_lo, s3
.LBB44_3103:
	s_delay_alu instid0(SALU_CYCLE_1)
	s_or_b32 exec_lo, exec_lo, s1
	s_mov_b32 s1, 0
	global_store_b8 v[2:3], v5, off
.LBB44_3104:
	s_and_b32 vcc_lo, exec_lo, s1
	s_cbranch_vccz .LBB44_3114
; %bb.3105:
	v_and_b32_e32 v5, 0x7fffffff, v0
	s_mov_b32 s1, exec_lo
                                        ; implicit-def: $vgpr1
	s_delay_alu instid0(VALU_DEP_1)
	v_cmpx_gt_u32_e32 0x43f00000, v5
	s_xor_b32 s1, exec_lo, s1
	s_cbranch_execz .LBB44_3111
; %bb.3106:
	s_mov_b32 s2, exec_lo
                                        ; implicit-def: $vgpr1
	v_cmpx_lt_u32_e32 0x3c7fffff, v5
	s_xor_b32 s2, exec_lo, s2
; %bb.3107:
	v_bfe_u32 v1, v0, 20, 1
	s_delay_alu instid0(VALU_DEP_1) | instskip(NEXT) | instid1(VALU_DEP_1)
	v_add3_u32 v1, v0, v1, 0x407ffff
	v_and_b32_e32 v5, 0xff00000, v1
	v_lshrrev_b32_e32 v1, 20, v1
	s_delay_alu instid0(VALU_DEP_2) | instskip(NEXT) | instid1(VALU_DEP_2)
	v_cmp_ne_u32_e32 vcc_lo, 0x7f00000, v5
	v_cndmask_b32_e32 v1, 0x7e, v1, vcc_lo
; %bb.3108:
	s_and_not1_saveexec_b32 s2, s2
; %bb.3109:
	v_add_f32_e64 v1, 0x46800000, |v0|
; %bb.3110:
	s_or_b32 exec_lo, exec_lo, s2
                                        ; implicit-def: $vgpr5
.LBB44_3111:
	s_and_not1_saveexec_b32 s1, s1
; %bb.3112:
	v_mov_b32_e32 v1, 0x7f
	v_cmp_lt_u32_e32 vcc_lo, 0x7f800000, v5
	s_delay_alu instid0(VALU_DEP_2)
	v_cndmask_b32_e32 v1, 0x7e, v1, vcc_lo
; %bb.3113:
	s_or_b32 exec_lo, exec_lo, s1
	v_lshrrev_b32_e32 v5, 24, v0
	s_delay_alu instid0(VALU_DEP_1)
	v_and_or_b32 v1, 0x80, v5, v1
	global_store_b8 v[2:3], v1, off
.LBB44_3114:
	s_mov_b32 s1, 0
.LBB44_3115:
	s_delay_alu instid0(SALU_CYCLE_1)
	s_and_not1_b32 vcc_lo, exec_lo, s1
	s_cbranch_vccnz .LBB44_3125
; %bb.3116:
	v_and_b32_e32 v5, 0x7fffffff, v0
	s_mov_b32 s1, exec_lo
                                        ; implicit-def: $vgpr1
	s_delay_alu instid0(VALU_DEP_1)
	v_cmpx_gt_u32_e32 0x47800000, v5
	s_xor_b32 s1, exec_lo, s1
	s_cbranch_execz .LBB44_3122
; %bb.3117:
	s_mov_b32 s2, exec_lo
                                        ; implicit-def: $vgpr1
	v_cmpx_lt_u32_e32 0x387fffff, v5
	s_xor_b32 s2, exec_lo, s2
; %bb.3118:
	v_bfe_u32 v1, v0, 21, 1
	s_delay_alu instid0(VALU_DEP_1) | instskip(NEXT) | instid1(VALU_DEP_1)
	v_add3_u32 v1, v0, v1, 0x80fffff
	v_lshrrev_b32_e32 v1, 21, v1
; %bb.3119:
	s_and_not1_saveexec_b32 s2, s2
; %bb.3120:
	v_add_f32_e64 v1, 0x43000000, |v0|
; %bb.3121:
	s_or_b32 exec_lo, exec_lo, s2
                                        ; implicit-def: $vgpr5
.LBB44_3122:
	s_and_not1_saveexec_b32 s1, s1
; %bb.3123:
	v_mov_b32_e32 v1, 0x7f
	v_cmp_lt_u32_e32 vcc_lo, 0x7f800000, v5
	s_delay_alu instid0(VALU_DEP_2)
	v_cndmask_b32_e32 v1, 0x7c, v1, vcc_lo
; %bb.3124:
	s_or_b32 exec_lo, exec_lo, s1
	v_lshrrev_b32_e32 v5, 24, v0
	s_delay_alu instid0(VALU_DEP_1)
	v_and_or_b32 v1, 0x80, v5, v1
	global_store_b8 v[2:3], v1, off
.LBB44_3125:
	s_mov_b32 s1, 0
.LBB44_3126:
	s_delay_alu instid0(SALU_CYCLE_1)
	s_and_not1_b32 vcc_lo, exec_lo, s1
	s_mov_b32 s1, 0
	s_cbranch_vccnz .LBB44_3133
; %bb.3127:
	v_cmp_lt_i16_e32 vcc_lo, 14, v4
	s_mov_b32 s1, -1
	s_cbranch_vccz .LBB44_3131
; %bb.3128:
	v_cmp_eq_u16_e32 vcc_lo, 15, v4
	s_mov_b32 s0, -1
	s_cbranch_vccz .LBB44_3130
; %bb.3129:
	v_bfe_u32 v1, v0, 16, 1
	v_cmp_o_f32_e32 vcc_lo, v0, v0
	s_mov_b32 s0, 0
	s_delay_alu instid0(VALU_DEP_2) | instskip(NEXT) | instid1(VALU_DEP_1)
	v_add3_u32 v1, v0, v1, 0x7fff
	v_lshrrev_b32_e32 v1, 16, v1
	s_delay_alu instid0(VALU_DEP_1)
	v_cndmask_b32_e32 v1, 0x7fc0, v1, vcc_lo
	global_store_b16 v[2:3], v1, off
.LBB44_3130:
	s_mov_b32 s1, 0
.LBB44_3131:
	s_delay_alu instid0(SALU_CYCLE_1)
	s_and_b32 vcc_lo, exec_lo, s1
	s_mov_b32 s1, 0
	s_cbranch_vccz .LBB44_3133
; %bb.3132:
	v_cmp_ne_u16_e64 s0, 11, v4
	s_mov_b32 s1, -1
.LBB44_3133:
	s_delay_alu instid0(VALU_DEP_1)
	s_and_b32 vcc_lo, exec_lo, s0
	s_cbranch_vccnz .LBB44_3167
.LBB44_3134:
	s_mov_b32 s0, 0
	s_branch .LBB44_2655
.LBB44_3135:
	s_mov_b32 s0, 0
	s_mov_b32 s1, 0
                                        ; implicit-def: $vgpr4
                                        ; implicit-def: $vgpr2_vgpr3
	s_branch .LBB44_2655
.LBB44_3136:
	s_mov_b32 s1, 0
	s_mov_b32 s0, -1
	s_branch .LBB44_2655
.LBB44_3137:
	s_cbranch_execnz .LBB44_3141
; %bb.3138:
	s_or_b32 s48, s48, exec_lo
                                        ; implicit-def: $vgpr43
	s_cbranch_execz .LBB44_2600
	s_branch .LBB44_2601
.LBB44_3139:
	s_or_saveexec_b32 s4, s4
                                        ; implicit-def: $sgpr5
	s_delay_alu instid0(SALU_CYCLE_1)
	s_xor_b32 exec_lo, exec_lo, s4
	s_cbranch_execz .LBB44_2730
.LBB44_3140:
	v_add_f32_e64 v5, 0x46000000, |v42|
	s_and_not1_b32 s3, s3, exec_lo
	s_mov_b32 s5, 0
	s_delay_alu instid0(VALU_DEP_1) | instskip(NEXT) | instid1(VALU_DEP_1)
	v_and_b32_e32 v5, 0xff, v5
	v_cmp_ne_u32_e32 vcc_lo, 0, v5
	s_and_b32 s6, vcc_lo, exec_lo
	s_delay_alu instid0(SALU_CYCLE_1)
	s_or_b32 s3, s3, s6
	s_or_b32 exec_lo, exec_lo, s4
	v_mov_b32_e32 v6, s5
	s_and_saveexec_b32 s4, s3
	s_cbranch_execnz .LBB44_2731
	s_branch .LBB44_2732
.LBB44_3141:
	s_trap 2
	s_sendmsg_rtn_b32 s0, sendmsg(MSG_RTN_GET_DOORBELL)
	s_mov_b32 ttmp2, m0
	s_waitcnt lgkmcnt(0)
	s_and_b32 s0, s0, 0x3ff
	s_delay_alu instid0(SALU_CYCLE_1) | instskip(NEXT) | instid1(SALU_CYCLE_1)
	s_bitset1_b32 s0, 10
	s_mov_b32 m0, s0
	s_sendmsg sendmsg(MSG_INTERRUPT)
	s_mov_b32 m0, ttmp2
.LBB44_3142:                            ; =>This Inner Loop Header: Depth=1
	s_sethalt 5
	s_branch .LBB44_3142
.LBB44_3143:
	s_cbranch_execnz .LBB44_3149
; %bb.3144:
	s_or_b32 s48, s48, exec_lo
	s_cbranch_execz .LBB44_2778
	s_branch .LBB44_2779
.LBB44_3145:
	s_or_saveexec_b32 s3, s3
                                        ; implicit-def: $sgpr4
	s_delay_alu instid0(SALU_CYCLE_1)
	s_xor_b32 exec_lo, exec_lo, s3
	s_cbranch_execz .LBB44_2743
.LBB44_3146:
	v_add_f32_e64 v5, 0x42800000, |v42|
	s_and_not1_b32 s2, s2, exec_lo
	s_mov_b32 s4, 0
	s_delay_alu instid0(VALU_DEP_1) | instskip(NEXT) | instid1(VALU_DEP_1)
	v_and_b32_e32 v5, 0xff, v5
	v_cmp_ne_u32_e32 vcc_lo, 0, v5
	s_and_b32 s5, vcc_lo, exec_lo
	s_delay_alu instid0(SALU_CYCLE_1)
	s_or_b32 s2, s2, s5
	s_or_b32 exec_lo, exec_lo, s3
	v_mov_b32_e32 v6, s4
	s_and_saveexec_b32 s3, s2
	s_cbranch_execnz .LBB44_2744
	s_branch .LBB44_2745
.LBB44_3147:
	s_or_saveexec_b32 s5, s5
                                        ; implicit-def: $sgpr6
	s_delay_alu instid0(SALU_CYCLE_1)
	s_xor_b32 exec_lo, exec_lo, s5
	s_cbranch_execz .LBB44_2849
.LBB44_3148:
	v_add_f32_e64 v5, 0x46000000, |v44|
	s_and_not1_b32 s4, s4, exec_lo
	s_mov_b32 s6, 0
	s_delay_alu instid0(VALU_DEP_1) | instskip(NEXT) | instid1(VALU_DEP_1)
	v_and_b32_e32 v5, 0xff, v5
	v_cmp_ne_u32_e32 vcc_lo, 0, v5
	s_and_b32 s7, vcc_lo, exec_lo
	s_delay_alu instid0(SALU_CYCLE_1)
	s_or_b32 s4, s4, s7
	s_or_b32 exec_lo, exec_lo, s5
	v_mov_b32_e32 v6, s6
	s_and_saveexec_b32 s5, s4
	s_cbranch_execnz .LBB44_2850
	s_branch .LBB44_2851
.LBB44_3149:
	s_trap 2
	s_sendmsg_rtn_b32 s0, sendmsg(MSG_RTN_GET_DOORBELL)
	s_mov_b32 ttmp2, m0
	s_waitcnt lgkmcnt(0)
	s_and_b32 s0, s0, 0x3ff
	s_delay_alu instid0(SALU_CYCLE_1) | instskip(NEXT) | instid1(SALU_CYCLE_1)
	s_bitset1_b32 s0, 10
	s_mov_b32 m0, s0
	s_sendmsg sendmsg(MSG_INTERRUPT)
	s_mov_b32 m0, ttmp2
.LBB44_3150:                            ; =>This Inner Loop Header: Depth=1
	s_sethalt 5
	s_branch .LBB44_3150
.LBB44_3151:
	s_cbranch_execnz .LBB44_3157
; %bb.3152:
	s_or_b32 s48, s48, exec_lo
	s_cbranch_execz .LBB44_2897
	s_branch .LBB44_2898
.LBB44_3153:
	s_or_saveexec_b32 s4, s4
                                        ; implicit-def: $sgpr5
	s_delay_alu instid0(SALU_CYCLE_1)
	s_xor_b32 exec_lo, exec_lo, s4
	s_cbranch_execz .LBB44_2862
.LBB44_3154:
	v_add_f32_e64 v5, 0x42800000, |v44|
	s_and_not1_b32 s3, s3, exec_lo
	s_mov_b32 s5, 0
	s_delay_alu instid0(VALU_DEP_1) | instskip(NEXT) | instid1(VALU_DEP_1)
	v_and_b32_e32 v5, 0xff, v5
	v_cmp_ne_u32_e32 vcc_lo, 0, v5
	s_and_b32 s6, vcc_lo, exec_lo
	s_delay_alu instid0(SALU_CYCLE_1)
	s_or_b32 s3, s3, s6
	s_or_b32 exec_lo, exec_lo, s4
	v_mov_b32_e32 v6, s5
	s_and_saveexec_b32 s4, s3
	s_cbranch_execnz .LBB44_2863
	s_branch .LBB44_2864
.LBB44_3155:
	s_or_saveexec_b32 s5, s5
                                        ; implicit-def: $sgpr6
	s_delay_alu instid0(SALU_CYCLE_1)
	s_xor_b32 exec_lo, exec_lo, s5
	s_cbranch_execz .LBB44_2968
.LBB44_3156:
	v_add_f32_e64 v5, 0x46000000, |v46|
	s_and_not1_b32 s4, s4, exec_lo
	s_mov_b32 s6, 0
	s_delay_alu instid0(VALU_DEP_1) | instskip(NEXT) | instid1(VALU_DEP_1)
	v_and_b32_e32 v5, 0xff, v5
	v_cmp_ne_u32_e32 vcc_lo, 0, v5
	s_and_b32 s7, vcc_lo, exec_lo
	s_delay_alu instid0(SALU_CYCLE_1)
	s_or_b32 s4, s4, s7
	s_or_b32 exec_lo, exec_lo, s5
	v_mov_b32_e32 v6, s6
	s_and_saveexec_b32 s5, s4
	s_cbranch_execnz .LBB44_2969
	s_branch .LBB44_2970
.LBB44_3157:
	s_trap 2
	s_sendmsg_rtn_b32 s0, sendmsg(MSG_RTN_GET_DOORBELL)
	s_mov_b32 ttmp2, m0
	s_waitcnt lgkmcnt(0)
	s_and_b32 s0, s0, 0x3ff
	s_delay_alu instid0(SALU_CYCLE_1) | instskip(NEXT) | instid1(SALU_CYCLE_1)
	s_bitset1_b32 s0, 10
	s_mov_b32 m0, s0
	s_sendmsg sendmsg(MSG_INTERRUPT)
	s_mov_b32 m0, ttmp2
.LBB44_3158:                            ; =>This Inner Loop Header: Depth=1
	s_sethalt 5
	s_branch .LBB44_3158
.LBB44_3159:
	s_cbranch_execnz .LBB44_3165
; %bb.3160:
	s_or_b32 s48, s48, exec_lo
	s_cbranch_execz .LBB44_3016
	s_branch .LBB44_3017
.LBB44_3161:
	s_or_saveexec_b32 s4, s4
                                        ; implicit-def: $sgpr5
	s_delay_alu instid0(SALU_CYCLE_1)
	s_xor_b32 exec_lo, exec_lo, s4
	s_cbranch_execz .LBB44_2981
.LBB44_3162:
	v_add_f32_e64 v5, 0x42800000, |v46|
	s_and_not1_b32 s3, s3, exec_lo
	s_mov_b32 s5, 0
	s_delay_alu instid0(VALU_DEP_1) | instskip(NEXT) | instid1(VALU_DEP_1)
	v_and_b32_e32 v5, 0xff, v5
	v_cmp_ne_u32_e32 vcc_lo, 0, v5
	s_and_b32 s6, vcc_lo, exec_lo
	s_delay_alu instid0(SALU_CYCLE_1)
	s_or_b32 s3, s3, s6
	s_or_b32 exec_lo, exec_lo, s4
	v_mov_b32_e32 v6, s5
	s_and_saveexec_b32 s4, s3
	s_cbranch_execnz .LBB44_2982
	s_branch .LBB44_2983
.LBB44_3163:
	s_or_saveexec_b32 s4, s4
                                        ; implicit-def: $sgpr5
	s_delay_alu instid0(SALU_CYCLE_1)
	s_xor_b32 exec_lo, exec_lo, s4
	s_cbranch_execz .LBB44_3088
.LBB44_3164:
	v_add_f32_e64 v1, 0x46000000, |v0|
	s_and_not1_b32 s3, s3, exec_lo
	s_mov_b32 s5, 0
	s_delay_alu instid0(VALU_DEP_1) | instskip(NEXT) | instid1(VALU_DEP_1)
	v_and_b32_e32 v1, 0xff, v1
	v_cmp_ne_u32_e32 vcc_lo, 0, v1
	s_and_b32 s6, vcc_lo, exec_lo
	s_delay_alu instid0(SALU_CYCLE_1)
	s_or_b32 s3, s3, s6
	s_or_b32 exec_lo, exec_lo, s4
	v_mov_b32_e32 v5, s5
	s_and_saveexec_b32 s4, s3
	s_cbranch_execnz .LBB44_3089
	s_branch .LBB44_3090
.LBB44_3165:
	s_trap 2
	s_sendmsg_rtn_b32 s0, sendmsg(MSG_RTN_GET_DOORBELL)
	s_mov_b32 ttmp2, m0
	s_waitcnt lgkmcnt(0)
	s_and_b32 s0, s0, 0x3ff
	s_delay_alu instid0(SALU_CYCLE_1) | instskip(NEXT) | instid1(SALU_CYCLE_1)
	s_bitset1_b32 s0, 10
	s_mov_b32 m0, s0
	s_sendmsg sendmsg(MSG_INTERRUPT)
	s_mov_b32 m0, ttmp2
.LBB44_3166:                            ; =>This Inner Loop Header: Depth=1
	s_sethalt 5
	s_branch .LBB44_3166
.LBB44_3167:
	s_cbranch_execnz .LBB44_3171
; %bb.3168:
	s_mov_b32 s1, 0
	s_or_b32 s48, s48, exec_lo
	s_branch .LBB44_3134
.LBB44_3169:
	s_or_saveexec_b32 s3, s3
                                        ; implicit-def: $sgpr4
	s_delay_alu instid0(SALU_CYCLE_1)
	s_xor_b32 exec_lo, exec_lo, s3
	s_cbranch_execz .LBB44_3100
.LBB44_3170:
	v_add_f32_e64 v1, 0x42800000, |v0|
	s_and_not1_b32 s2, s2, exec_lo
	s_mov_b32 s4, 0
	s_delay_alu instid0(VALU_DEP_1) | instskip(NEXT) | instid1(VALU_DEP_1)
	v_and_b32_e32 v1, 0xff, v1
	v_cmp_ne_u32_e32 vcc_lo, 0, v1
	s_and_b32 s5, vcc_lo, exec_lo
	s_delay_alu instid0(SALU_CYCLE_1)
	s_or_b32 s2, s2, s5
	s_or_b32 exec_lo, exec_lo, s3
	v_mov_b32_e32 v5, s4
	s_and_saveexec_b32 s3, s2
	s_cbranch_execnz .LBB44_3101
	s_branch .LBB44_3102
.LBB44_3171:
	s_trap 2
	s_sendmsg_rtn_b32 s0, sendmsg(MSG_RTN_GET_DOORBELL)
	s_mov_b32 ttmp2, m0
	s_waitcnt lgkmcnt(0)
	s_and_b32 s0, s0, 0x3ff
	s_delay_alu instid0(SALU_CYCLE_1) | instskip(NEXT) | instid1(SALU_CYCLE_1)
	s_bitset1_b32 s0, 10
	s_mov_b32 m0, s0
	s_sendmsg sendmsg(MSG_INTERRUPT)
	s_mov_b32 m0, ttmp2
.LBB44_3172:                            ; =>This Inner Loop Header: Depth=1
	s_sethalt 5
	s_branch .LBB44_3172
	.section	.rodata,"a",@progbits
	.p2align	6, 0x0
	.amdhsa_kernel _ZN2at6native32elementwise_kernel_manual_unrollILi128ELi4EZNS0_15gpu_kernel_implIN12_GLOBAL__N_110CalcIgammaIfEEEEvRNS_18TensorIteratorBaseERKT_EUlibE_EEviT1_
		.amdhsa_group_segment_fixed_size 0
		.amdhsa_private_segment_fixed_size 144
		.amdhsa_kernarg_size 48
		.amdhsa_user_sgpr_count 15
		.amdhsa_user_sgpr_dispatch_ptr 0
		.amdhsa_user_sgpr_queue_ptr 0
		.amdhsa_user_sgpr_kernarg_segment_ptr 1
		.amdhsa_user_sgpr_dispatch_id 0
		.amdhsa_user_sgpr_private_segment_size 0
		.amdhsa_wavefront_size32 1
		.amdhsa_uses_dynamic_stack 0
		.amdhsa_enable_private_segment 1
		.amdhsa_system_sgpr_workgroup_id_x 1
		.amdhsa_system_sgpr_workgroup_id_y 0
		.amdhsa_system_sgpr_workgroup_id_z 0
		.amdhsa_system_sgpr_workgroup_info 0
		.amdhsa_system_vgpr_workitem_id 0
		.amdhsa_next_free_vgpr 66
		.amdhsa_next_free_sgpr 64
		.amdhsa_reserve_vcc 1
		.amdhsa_float_round_mode_32 0
		.amdhsa_float_round_mode_16_64 0
		.amdhsa_float_denorm_mode_32 3
		.amdhsa_float_denorm_mode_16_64 3
		.amdhsa_dx10_clamp 1
		.amdhsa_ieee_mode 1
		.amdhsa_fp16_overflow 0
		.amdhsa_workgroup_processor_mode 1
		.amdhsa_memory_ordered 1
		.amdhsa_forward_progress 0
		.amdhsa_shared_vgpr_count 0
		.amdhsa_exception_fp_ieee_invalid_op 0
		.amdhsa_exception_fp_denorm_src 0
		.amdhsa_exception_fp_ieee_div_zero 0
		.amdhsa_exception_fp_ieee_overflow 0
		.amdhsa_exception_fp_ieee_underflow 0
		.amdhsa_exception_fp_ieee_inexact 0
		.amdhsa_exception_int_div_zero 0
	.end_amdhsa_kernel
	.section	.text._ZN2at6native32elementwise_kernel_manual_unrollILi128ELi4EZNS0_15gpu_kernel_implIN12_GLOBAL__N_110CalcIgammaIfEEEEvRNS_18TensorIteratorBaseERKT_EUlibE_EEviT1_,"axG",@progbits,_ZN2at6native32elementwise_kernel_manual_unrollILi128ELi4EZNS0_15gpu_kernel_implIN12_GLOBAL__N_110CalcIgammaIfEEEEvRNS_18TensorIteratorBaseERKT_EUlibE_EEviT1_,comdat
.Lfunc_end44:
	.size	_ZN2at6native32elementwise_kernel_manual_unrollILi128ELi4EZNS0_15gpu_kernel_implIN12_GLOBAL__N_110CalcIgammaIfEEEEvRNS_18TensorIteratorBaseERKT_EUlibE_EEviT1_, .Lfunc_end44-_ZN2at6native32elementwise_kernel_manual_unrollILi128ELi4EZNS0_15gpu_kernel_implIN12_GLOBAL__N_110CalcIgammaIfEEEEvRNS_18TensorIteratorBaseERKT_EUlibE_EEviT1_
                                        ; -- End function
	.section	.AMDGPU.csdata,"",@progbits
; Kernel info:
; codeLenInByte = 56296
; NumSgprs: 66
; NumVgprs: 66
; ScratchSize: 144
; MemoryBound: 1
; FloatMode: 240
; IeeeMode: 1
; LDSByteSize: 0 bytes/workgroup (compile time only)
; SGPRBlocks: 8
; VGPRBlocks: 8
; NumSGPRsForWavesPerEU: 66
; NumVGPRsForWavesPerEU: 66
; Occupancy: 16
; WaveLimiterHint : 0
; COMPUTE_PGM_RSRC2:SCRATCH_EN: 1
; COMPUTE_PGM_RSRC2:USER_SGPR: 15
; COMPUTE_PGM_RSRC2:TRAP_HANDLER: 0
; COMPUTE_PGM_RSRC2:TGID_X_EN: 1
; COMPUTE_PGM_RSRC2:TGID_Y_EN: 0
; COMPUTE_PGM_RSRC2:TGID_Z_EN: 0
; COMPUTE_PGM_RSRC2:TIDIG_COMP_CNT: 0
	.section	.text._ZN2at6native32elementwise_kernel_manual_unrollILi128ELi4EZNS0_12_GLOBAL__N_142type_specialized_broadcast_kernel_launcherILi0EE5applyIN12_GLOBAL__N_110CalcIgammaIfEESt5arrayIPcLm3EES9_IN3c1010ScalarTypeELm3EE16OffsetCalculatorILi3EjLb0EEEEvlT_T0_T1_T2_EUlibE_EEviSJ_,"axG",@progbits,_ZN2at6native32elementwise_kernel_manual_unrollILi128ELi4EZNS0_12_GLOBAL__N_142type_specialized_broadcast_kernel_launcherILi0EE5applyIN12_GLOBAL__N_110CalcIgammaIfEESt5arrayIPcLm3EES9_IN3c1010ScalarTypeELm3EE16OffsetCalculatorILi3EjLb0EEEEvlT_T0_T1_T2_EUlibE_EEviSJ_,comdat
	.globl	_ZN2at6native32elementwise_kernel_manual_unrollILi128ELi4EZNS0_12_GLOBAL__N_142type_specialized_broadcast_kernel_launcherILi0EE5applyIN12_GLOBAL__N_110CalcIgammaIfEESt5arrayIPcLm3EES9_IN3c1010ScalarTypeELm3EE16OffsetCalculatorILi3EjLb0EEEEvlT_T0_T1_T2_EUlibE_EEviSJ_ ; -- Begin function _ZN2at6native32elementwise_kernel_manual_unrollILi128ELi4EZNS0_12_GLOBAL__N_142type_specialized_broadcast_kernel_launcherILi0EE5applyIN12_GLOBAL__N_110CalcIgammaIfEESt5arrayIPcLm3EES9_IN3c1010ScalarTypeELm3EE16OffsetCalculatorILi3EjLb0EEEEvlT_T0_T1_T2_EUlibE_EEviSJ_
	.p2align	8
	.type	_ZN2at6native32elementwise_kernel_manual_unrollILi128ELi4EZNS0_12_GLOBAL__N_142type_specialized_broadcast_kernel_launcherILi0EE5applyIN12_GLOBAL__N_110CalcIgammaIfEESt5arrayIPcLm3EES9_IN3c1010ScalarTypeELm3EE16OffsetCalculatorILi3EjLb0EEEEvlT_T0_T1_T2_EUlibE_EEviSJ_,@function
_ZN2at6native32elementwise_kernel_manual_unrollILi128ELi4EZNS0_12_GLOBAL__N_142type_specialized_broadcast_kernel_launcherILi0EE5applyIN12_GLOBAL__N_110CalcIgammaIfEESt5arrayIPcLm3EES9_IN3c1010ScalarTypeELm3EE16OffsetCalculatorILi3EjLb0EEEEvlT_T0_T1_T2_EUlibE_EEviSJ_: ; @_ZN2at6native32elementwise_kernel_manual_unrollILi128ELi4EZNS0_12_GLOBAL__N_142type_specialized_broadcast_kernel_launcherILi0EE5applyIN12_GLOBAL__N_110CalcIgammaIfEESt5arrayIPcLm3EES9_IN3c1010ScalarTypeELm3EE16OffsetCalculatorILi3EjLb0EEEEvlT_T0_T1_T2_EUlibE_EEviSJ_
; %bb.0:
	s_clause 0x1
	s_load_b32 s56, s[0:1], 0x8
	s_load_b32 s63, s[0:1], 0x0
	v_lshl_or_b32 v47, s15, 9, v0
	s_mov_b64 s[36:37], s[0:1]
	s_mov_b32 s32, 0
	s_or_b32 s36, s36, 8
	s_mov_b32 s0, exec_lo
	v_or_b32_e32 v2, 0x180, v47
	s_waitcnt lgkmcnt(0)
	s_add_i32 s57, s56, -1
	s_delay_alu instid0(SALU_CYCLE_1)
	s_cmp_gt_u32 s57, 1
	s_cselect_b32 s58, -1, 0
	v_cmpx_le_i32_e64 s63, v2
	s_xor_b32 s59, exec_lo, s0
	s_cbranch_execz .LBB45_66
; %bb.1:
	s_clause 0x6
	s_load_b32 s0, s[36:37], 0x1a0
	s_load_b128 s[48:51], s[36:37], 0x4
	s_load_b64 s[54:55], s[36:37], 0x14
	s_load_b128 s[44:47], s[36:37], 0xc4
	s_load_b64 s[52:53], s[36:37], 0xd4
	s_load_b64 s[38:39], s[36:37], 0x198
	s_load_b128 s[40:43], s[36:37], 0x188
	s_cmp_lg_u32 s56, 0
	s_mov_b32 s65, exec_lo
	s_cselect_b32 s64, -1, 0
	s_min_u32 s62, s57, 15
	s_cmp_gt_u32 s56, 1
	s_cselect_b32 s61, -1, 0
	s_waitcnt lgkmcnt(0)
	s_bitcmp1_b32 s0, 0
	s_cselect_b32 s0, -1, 0
	s_delay_alu instid0(SALU_CYCLE_1)
	s_xor_b32 s60, s0, -1
	v_cmpx_gt_i32_e64 s63, v47
	s_cbranch_execnz .LBB45_5
; %bb.2:
	s_or_b32 exec_lo, exec_lo, s65
	s_delay_alu instid0(SALU_CYCLE_1)
	s_mov_b32 s65, exec_lo
	v_cmpx_gt_i32_e64 s63, v47
	s_cbranch_execnz .LBB45_20
.LBB45_3:
	s_or_b32 exec_lo, exec_lo, s65
	s_delay_alu instid0(SALU_CYCLE_1)
	s_mov_b32 s65, exec_lo
	v_cmpx_gt_i32_e64 s63, v47
	s_cbranch_execnz .LBB45_35
.LBB45_4:
	s_or_b32 exec_lo, exec_lo, s65
	v_cmp_gt_i32_e32 vcc_lo, s63, v47
	s_and_saveexec_b32 s63, vcc_lo
	s_cbranch_execnz .LBB45_50
	s_branch .LBB45_65
.LBB45_5:
	s_and_not1_b32 vcc_lo, exec_lo, s58
	s_cbranch_vccnz .LBB45_11
; %bb.6:
	v_dual_mov_b32 v43, 0 :: v_dual_mov_b32 v0, 0
	v_mov_b32_e32 v1, 0
	s_and_not1_b32 vcc_lo, exec_lo, s64
	s_mov_b32 s2, 0
	s_cbranch_vccnz .LBB45_12
; %bb.7:
	s_add_i32 s0, s62, 1
	v_dual_mov_b32 v0, 0 :: v_dual_mov_b32 v1, 0
	v_dual_mov_b32 v43, 0 :: v_dual_mov_b32 v2, v47
	s_and_b32 s3, s0, 30
	s_add_u32 s0, s36, 0xffffffec
	s_addc_u32 s1, s37, -1
	s_set_inst_prefetch_distance 0x1
	.p2align	6
.LBB45_8:                               ; =>This Inner Loop Header: Depth=1
	s_clause 0x2
	s_load_b128 s[4:7], s[0:1], 0x18
	s_load_b64 s[12:13], s[0:1], 0x28
	s_load_b128 s[8:11], s[0:1], 0xd8
	s_waitcnt lgkmcnt(0)
	v_mul_hi_u32 v3, s5, v2
	s_delay_alu instid0(VALU_DEP_1) | instskip(NEXT) | instid1(VALU_DEP_1)
	v_add_nc_u32_e32 v3, v2, v3
	v_lshrrev_b32_e32 v3, s6, v3
	s_delay_alu instid0(VALU_DEP_1)
	v_mul_hi_u32 v4, s12, v3
	v_mul_lo_u32 v5, v3, s4
	s_load_b64 s[4:5], s[0:1], 0xe8
	s_add_u32 s0, s0, 24
	s_addc_u32 s1, s1, 0
	s_add_i32 s3, s3, -2
	s_delay_alu instid0(SALU_CYCLE_1) | instskip(NEXT) | instid1(VALU_DEP_2)
	s_cmp_lg_u32 s3, 0
	v_add_nc_u32_e32 v4, v3, v4
	s_delay_alu instid0(VALU_DEP_2) | instskip(NEXT) | instid1(VALU_DEP_2)
	v_sub_nc_u32_e32 v5, v2, v5
	v_lshrrev_b32_e32 v2, s13, v4
	s_delay_alu instid0(VALU_DEP_2) | instskip(NEXT) | instid1(VALU_DEP_2)
	v_mul_lo_u32 v6, v5, s8
	v_mul_lo_u32 v4, v2, s7
	s_delay_alu instid0(VALU_DEP_1) | instskip(SKIP_2) | instid1(VALU_DEP_3)
	v_sub_nc_u32_e32 v3, v3, v4
	v_mul_lo_u32 v4, v5, s9
	v_mul_lo_u32 v5, v5, s10
	;; [unrolled: 1-line block ×3, first 2 shown]
	s_waitcnt lgkmcnt(0)
	v_mul_lo_u32 v8, v3, s4
	v_mul_lo_u32 v3, v3, s5
	s_delay_alu instid0(VALU_DEP_3) | instskip(NEXT) | instid1(VALU_DEP_3)
	v_add3_u32 v43, v6, v43, v7
	v_add3_u32 v1, v4, v1, v8
	s_delay_alu instid0(VALU_DEP_3)
	v_add3_u32 v0, v5, v0, v3
	s_cbranch_scc1 .LBB45_8
; %bb.9:
	s_set_inst_prefetch_distance 0x2
	s_bitcmp1_b32 s62, 0
	s_cselect_b32 s3, -1, 0
	s_delay_alu instid0(SALU_CYCLE_1)
	s_and_b32 vcc_lo, exec_lo, s3
	s_cbranch_vccnz .LBB45_12
; %bb.10:
	s_clause 0x3
	s_load_b64 s[4:5], s[0:1], 0x18
	s_load_b32 s3, s[0:1], 0x20
	s_load_b64 s[6:7], s[0:1], 0xd8
	s_load_b32 s0, s[0:1], 0xe0
	s_waitcnt lgkmcnt(0)
	v_mul_hi_u32 v3, s5, v2
	s_delay_alu instid0(VALU_DEP_1) | instskip(NEXT) | instid1(VALU_DEP_1)
	v_add_nc_u32_e32 v3, v2, v3
	v_lshrrev_b32_e32 v3, s3, v3
	s_delay_alu instid0(VALU_DEP_1) | instskip(NEXT) | instid1(VALU_DEP_1)
	v_mul_lo_u32 v3, v3, s4
	v_sub_nc_u32_e32 v6, v2, v3
	s_delay_alu instid0(VALU_DEP_1) | instskip(NEXT) | instid1(VALU_DEP_1)
	v_mad_u64_u32 v[2:3], null, v6, s6, v[43:44]
	v_mad_u64_u32 v[3:4], null, v6, s7, v[1:2]
	;; [unrolled: 1-line block ×3, first 2 shown]
	v_mov_b32_e32 v43, v2
	s_delay_alu instid0(VALU_DEP_2)
	v_dual_mov_b32 v1, v3 :: v_dual_mov_b32 v0, v4
	s_branch .LBB45_12
.LBB45_11:
	s_mov_b32 s2, -1
                                        ; implicit-def: $vgpr43
                                        ; implicit-def: $vgpr1
                                        ; implicit-def: $vgpr0
.LBB45_12:
	s_delay_alu instid0(SALU_CYCLE_1)
	s_and_not1_b32 vcc_lo, exec_lo, s2
	s_cbranch_vccnz .LBB45_15
; %bb.13:
	v_mul_hi_u32 v0, s49, v47
	s_and_not1_b32 vcc_lo, exec_lo, s61
	s_delay_alu instid0(VALU_DEP_1) | instskip(NEXT) | instid1(VALU_DEP_1)
	v_add_nc_u32_e32 v0, v47, v0
	v_lshrrev_b32_e32 v2, s50, v0
	s_delay_alu instid0(VALU_DEP_1) | instskip(NEXT) | instid1(VALU_DEP_1)
	v_mul_lo_u32 v0, v2, s48
	v_sub_nc_u32_e32 v0, v47, v0
	s_delay_alu instid0(VALU_DEP_1)
	v_mul_lo_u32 v43, v0, s44
	v_mul_lo_u32 v1, v0, s45
	;; [unrolled: 1-line block ×3, first 2 shown]
	s_cbranch_vccnz .LBB45_15
; %bb.14:
	v_mul_hi_u32 v3, s54, v2
	s_delay_alu instid0(VALU_DEP_1) | instskip(NEXT) | instid1(VALU_DEP_1)
	v_add_nc_u32_e32 v3, v2, v3
	v_lshrrev_b32_e32 v3, s55, v3
	s_delay_alu instid0(VALU_DEP_1) | instskip(NEXT) | instid1(VALU_DEP_1)
	v_mul_lo_u32 v3, v3, s51
	v_sub_nc_u32_e32 v6, v2, v3
	s_delay_alu instid0(VALU_DEP_1) | instskip(NEXT) | instid1(VALU_DEP_1)
	v_mad_u64_u32 v[2:3], null, v6, s47, v[43:44]
	v_mad_u64_u32 v[3:4], null, v6, s52, v[1:2]
	;; [unrolled: 1-line block ×3, first 2 shown]
	v_mov_b32_e32 v43, v2
	s_delay_alu instid0(VALU_DEP_2)
	v_dual_mov_b32 v1, v3 :: v_dual_mov_b32 v0, v4
.LBB45_15:
	global_load_u16 v0, v0, s[38:39]
	global_load_b32 v40, v1, s[42:43]
	s_and_b32 vcc_lo, exec_lo, s60
	s_waitcnt vmcnt(1)
	v_lshlrev_b32_e32 v42, 16, v0
	s_cbranch_vccz .LBB45_17
; %bb.16:
	s_waitcnt vmcnt(0)
	s_delay_alu instid0(VALU_DEP_1) | instskip(SKIP_3) | instid1(SALU_CYCLE_1)
	v_dual_mov_b32 v0, v40 :: v_dual_mov_b32 v1, v42
	s_getpc_b64 s[0:1]
	s_add_u32 s0, s0, _ZN12_GLOBAL__N_111calc_igammaIfEET_S1_S1_@rel32@lo+4
	s_addc_u32 s1, s1, _ZN12_GLOBAL__N_111calc_igammaIfEET_S1_S1_@rel32@hi+12
	s_swappc_b64 s[30:31], s[0:1]
	s_cbranch_execz .LBB45_18
	s_branch .LBB45_19
.LBB45_17:
                                        ; implicit-def: $vgpr0
.LBB45_18:
	s_waitcnt vmcnt(0)
	s_delay_alu instid0(VALU_DEP_1) | instskip(SKIP_3) | instid1(SALU_CYCLE_1)
	v_dual_mov_b32 v0, v40 :: v_dual_mov_b32 v1, v42
	s_getpc_b64 s[0:1]
	s_add_u32 s0, s0, _ZN12_GLOBAL__N_112calc_igammacIfEET_S1_S1_@rel32@lo+4
	s_addc_u32 s1, s1, _ZN12_GLOBAL__N_112calc_igammacIfEET_S1_S1_@rel32@hi+12
	s_swappc_b64 s[30:31], s[0:1]
.LBB45_19:
	v_add_nc_u32_e32 v47, 0x80, v47
	global_store_b32 v43, v0, s[40:41]
	s_or_b32 exec_lo, exec_lo, s65
	s_delay_alu instid0(SALU_CYCLE_1)
	s_mov_b32 s65, exec_lo
	v_cmpx_gt_i32_e64 s63, v47
	s_cbranch_execz .LBB45_3
.LBB45_20:
	s_and_not1_b32 vcc_lo, exec_lo, s58
	s_cbranch_vccnz .LBB45_26
; %bb.21:
	v_dual_mov_b32 v43, 0 :: v_dual_mov_b32 v0, 0
	v_mov_b32_e32 v1, 0
	s_and_not1_b32 vcc_lo, exec_lo, s64
	s_mov_b32 s2, 0
	s_cbranch_vccnz .LBB45_27
; %bb.22:
	s_add_i32 s0, s62, 1
	v_dual_mov_b32 v0, 0 :: v_dual_mov_b32 v1, 0
	v_dual_mov_b32 v43, 0 :: v_dual_mov_b32 v2, v47
	s_and_b32 s3, s0, 30
	s_add_u32 s0, s36, 0xffffffec
	s_addc_u32 s1, s37, -1
	s_set_inst_prefetch_distance 0x1
	.p2align	6
.LBB45_23:                              ; =>This Inner Loop Header: Depth=1
	s_clause 0x2
	s_load_b128 s[4:7], s[0:1], 0x18
	s_load_b64 s[12:13], s[0:1], 0x28
	s_load_b128 s[8:11], s[0:1], 0xd8
	s_waitcnt lgkmcnt(0)
	v_mul_hi_u32 v3, s5, v2
	s_delay_alu instid0(VALU_DEP_1) | instskip(NEXT) | instid1(VALU_DEP_1)
	v_add_nc_u32_e32 v3, v2, v3
	v_lshrrev_b32_e32 v3, s6, v3
	s_delay_alu instid0(VALU_DEP_1)
	v_mul_hi_u32 v4, s12, v3
	v_mul_lo_u32 v5, v3, s4
	s_load_b64 s[4:5], s[0:1], 0xe8
	s_add_u32 s0, s0, 24
	s_addc_u32 s1, s1, 0
	s_add_i32 s3, s3, -2
	s_delay_alu instid0(SALU_CYCLE_1) | instskip(NEXT) | instid1(VALU_DEP_2)
	s_cmp_eq_u32 s3, 0
	v_add_nc_u32_e32 v4, v3, v4
	s_delay_alu instid0(VALU_DEP_2) | instskip(NEXT) | instid1(VALU_DEP_2)
	v_sub_nc_u32_e32 v5, v2, v5
	v_lshrrev_b32_e32 v2, s13, v4
	s_delay_alu instid0(VALU_DEP_2) | instskip(NEXT) | instid1(VALU_DEP_2)
	v_mul_lo_u32 v6, v5, s8
	v_mul_lo_u32 v4, v2, s7
	s_delay_alu instid0(VALU_DEP_1) | instskip(SKIP_2) | instid1(VALU_DEP_3)
	v_sub_nc_u32_e32 v3, v3, v4
	v_mul_lo_u32 v4, v5, s9
	v_mul_lo_u32 v5, v5, s10
	;; [unrolled: 1-line block ×3, first 2 shown]
	s_waitcnt lgkmcnt(0)
	v_mul_lo_u32 v8, v3, s4
	v_mul_lo_u32 v3, v3, s5
	s_delay_alu instid0(VALU_DEP_3) | instskip(NEXT) | instid1(VALU_DEP_3)
	v_add3_u32 v43, v6, v43, v7
	v_add3_u32 v1, v4, v1, v8
	s_delay_alu instid0(VALU_DEP_3)
	v_add3_u32 v0, v5, v0, v3
	s_cbranch_scc0 .LBB45_23
; %bb.24:
	s_set_inst_prefetch_distance 0x2
	s_bitcmp1_b32 s62, 0
	s_cselect_b32 s3, -1, 0
	s_delay_alu instid0(SALU_CYCLE_1)
	s_and_b32 vcc_lo, exec_lo, s3
	s_cbranch_vccnz .LBB45_27
; %bb.25:
	s_clause 0x3
	s_load_b64 s[4:5], s[0:1], 0x18
	s_load_b32 s3, s[0:1], 0x20
	s_load_b64 s[6:7], s[0:1], 0xd8
	s_load_b32 s0, s[0:1], 0xe0
	s_waitcnt lgkmcnt(0)
	v_mul_hi_u32 v3, s5, v2
	s_delay_alu instid0(VALU_DEP_1) | instskip(NEXT) | instid1(VALU_DEP_1)
	v_add_nc_u32_e32 v3, v2, v3
	v_lshrrev_b32_e32 v3, s3, v3
	s_delay_alu instid0(VALU_DEP_1) | instskip(NEXT) | instid1(VALU_DEP_1)
	v_mul_lo_u32 v3, v3, s4
	v_sub_nc_u32_e32 v6, v2, v3
	s_delay_alu instid0(VALU_DEP_1) | instskip(NEXT) | instid1(VALU_DEP_1)
	v_mad_u64_u32 v[2:3], null, v6, s6, v[43:44]
	v_mad_u64_u32 v[3:4], null, v6, s7, v[1:2]
	;; [unrolled: 1-line block ×3, first 2 shown]
	v_mov_b32_e32 v43, v2
	s_delay_alu instid0(VALU_DEP_2)
	v_dual_mov_b32 v1, v3 :: v_dual_mov_b32 v0, v4
	s_branch .LBB45_27
.LBB45_26:
	s_mov_b32 s2, -1
                                        ; implicit-def: $vgpr43
                                        ; implicit-def: $vgpr1
                                        ; implicit-def: $vgpr0
.LBB45_27:
	s_delay_alu instid0(SALU_CYCLE_1)
	s_and_not1_b32 vcc_lo, exec_lo, s2
	s_cbranch_vccnz .LBB45_30
; %bb.28:
	v_mul_hi_u32 v0, s49, v47
	s_and_not1_b32 vcc_lo, exec_lo, s61
	s_delay_alu instid0(VALU_DEP_1) | instskip(NEXT) | instid1(VALU_DEP_1)
	v_add_nc_u32_e32 v0, v47, v0
	v_lshrrev_b32_e32 v2, s50, v0
	s_delay_alu instid0(VALU_DEP_1) | instskip(NEXT) | instid1(VALU_DEP_1)
	v_mul_lo_u32 v0, v2, s48
	v_sub_nc_u32_e32 v0, v47, v0
	s_delay_alu instid0(VALU_DEP_1)
	v_mul_lo_u32 v43, v0, s44
	v_mul_lo_u32 v1, v0, s45
	;; [unrolled: 1-line block ×3, first 2 shown]
	s_cbranch_vccnz .LBB45_30
; %bb.29:
	v_mul_hi_u32 v3, s54, v2
	s_delay_alu instid0(VALU_DEP_1) | instskip(NEXT) | instid1(VALU_DEP_1)
	v_add_nc_u32_e32 v3, v2, v3
	v_lshrrev_b32_e32 v3, s55, v3
	s_delay_alu instid0(VALU_DEP_1) | instskip(NEXT) | instid1(VALU_DEP_1)
	v_mul_lo_u32 v3, v3, s51
	v_sub_nc_u32_e32 v6, v2, v3
	s_delay_alu instid0(VALU_DEP_1) | instskip(NEXT) | instid1(VALU_DEP_1)
	v_mad_u64_u32 v[2:3], null, v6, s47, v[43:44]
	v_mad_u64_u32 v[3:4], null, v6, s52, v[1:2]
	;; [unrolled: 1-line block ×3, first 2 shown]
	v_mov_b32_e32 v43, v2
	s_delay_alu instid0(VALU_DEP_2)
	v_dual_mov_b32 v1, v3 :: v_dual_mov_b32 v0, v4
.LBB45_30:
	global_load_u16 v0, v0, s[38:39]
	global_load_b32 v40, v1, s[42:43]
	s_and_not1_b32 vcc_lo, exec_lo, s60
	s_waitcnt vmcnt(1)
	v_lshlrev_b32_e32 v42, 16, v0
	s_cbranch_vccnz .LBB45_32
; %bb.31:
	s_waitcnt vmcnt(0)
	s_delay_alu instid0(VALU_DEP_1) | instskip(SKIP_3) | instid1(SALU_CYCLE_1)
	v_dual_mov_b32 v0, v40 :: v_dual_mov_b32 v1, v42
	s_getpc_b64 s[0:1]
	s_add_u32 s0, s0, _ZN12_GLOBAL__N_111calc_igammaIfEET_S1_S1_@rel32@lo+4
	s_addc_u32 s1, s1, _ZN12_GLOBAL__N_111calc_igammaIfEET_S1_S1_@rel32@hi+12
	s_swappc_b64 s[30:31], s[0:1]
	s_cbranch_execz .LBB45_33
	s_branch .LBB45_34
.LBB45_32:
                                        ; implicit-def: $vgpr0
.LBB45_33:
	s_waitcnt vmcnt(0)
	s_delay_alu instid0(VALU_DEP_1) | instskip(SKIP_3) | instid1(SALU_CYCLE_1)
	v_dual_mov_b32 v0, v40 :: v_dual_mov_b32 v1, v42
	s_getpc_b64 s[0:1]
	s_add_u32 s0, s0, _ZN12_GLOBAL__N_112calc_igammacIfEET_S1_S1_@rel32@lo+4
	s_addc_u32 s1, s1, _ZN12_GLOBAL__N_112calc_igammacIfEET_S1_S1_@rel32@hi+12
	s_swappc_b64 s[30:31], s[0:1]
.LBB45_34:
	v_add_nc_u32_e32 v47, 0x80, v47
	global_store_b32 v43, v0, s[40:41]
	s_or_b32 exec_lo, exec_lo, s65
	s_delay_alu instid0(SALU_CYCLE_1)
	s_mov_b32 s65, exec_lo
	v_cmpx_gt_i32_e64 s63, v47
	s_cbranch_execz .LBB45_4
.LBB45_35:
	s_and_not1_b32 vcc_lo, exec_lo, s58
	s_cbranch_vccnz .LBB45_41
; %bb.36:
	v_dual_mov_b32 v43, 0 :: v_dual_mov_b32 v0, 0
	v_mov_b32_e32 v1, 0
	s_and_not1_b32 vcc_lo, exec_lo, s64
	s_mov_b32 s2, 0
	s_cbranch_vccnz .LBB45_42
; %bb.37:
	s_add_i32 s0, s62, 1
	v_dual_mov_b32 v0, 0 :: v_dual_mov_b32 v1, 0
	v_dual_mov_b32 v43, 0 :: v_dual_mov_b32 v2, v47
	s_and_b32 s3, s0, 30
	s_add_u32 s0, s36, 0xffffffec
	s_addc_u32 s1, s37, -1
	s_set_inst_prefetch_distance 0x1
	.p2align	6
.LBB45_38:                              ; =>This Inner Loop Header: Depth=1
	s_clause 0x2
	s_load_b128 s[4:7], s[0:1], 0x18
	s_load_b64 s[12:13], s[0:1], 0x28
	s_load_b128 s[8:11], s[0:1], 0xd8
	s_waitcnt lgkmcnt(0)
	v_mul_hi_u32 v3, s5, v2
	s_delay_alu instid0(VALU_DEP_1) | instskip(NEXT) | instid1(VALU_DEP_1)
	v_add_nc_u32_e32 v3, v2, v3
	v_lshrrev_b32_e32 v3, s6, v3
	s_delay_alu instid0(VALU_DEP_1)
	v_mul_hi_u32 v4, s12, v3
	v_mul_lo_u32 v5, v3, s4
	s_load_b64 s[4:5], s[0:1], 0xe8
	s_add_u32 s0, s0, 24
	s_addc_u32 s1, s1, 0
	s_add_i32 s3, s3, -2
	s_delay_alu instid0(SALU_CYCLE_1) | instskip(NEXT) | instid1(VALU_DEP_2)
	s_cmp_eq_u32 s3, 0
	v_add_nc_u32_e32 v4, v3, v4
	s_delay_alu instid0(VALU_DEP_2) | instskip(NEXT) | instid1(VALU_DEP_2)
	v_sub_nc_u32_e32 v5, v2, v5
	v_lshrrev_b32_e32 v2, s13, v4
	s_delay_alu instid0(VALU_DEP_2) | instskip(NEXT) | instid1(VALU_DEP_2)
	v_mul_lo_u32 v6, v5, s8
	v_mul_lo_u32 v4, v2, s7
	s_delay_alu instid0(VALU_DEP_1) | instskip(SKIP_2) | instid1(VALU_DEP_3)
	v_sub_nc_u32_e32 v3, v3, v4
	v_mul_lo_u32 v4, v5, s9
	v_mul_lo_u32 v5, v5, s10
	;; [unrolled: 1-line block ×3, first 2 shown]
	s_waitcnt lgkmcnt(0)
	v_mul_lo_u32 v8, v3, s4
	v_mul_lo_u32 v3, v3, s5
	s_delay_alu instid0(VALU_DEP_3) | instskip(NEXT) | instid1(VALU_DEP_3)
	v_add3_u32 v43, v6, v43, v7
	v_add3_u32 v1, v4, v1, v8
	s_delay_alu instid0(VALU_DEP_3)
	v_add3_u32 v0, v5, v0, v3
	s_cbranch_scc0 .LBB45_38
; %bb.39:
	s_set_inst_prefetch_distance 0x2
	s_bitcmp1_b32 s62, 0
	s_cselect_b32 s3, -1, 0
	s_delay_alu instid0(SALU_CYCLE_1)
	s_and_b32 vcc_lo, exec_lo, s3
	s_cbranch_vccnz .LBB45_42
; %bb.40:
	s_clause 0x3
	s_load_b64 s[4:5], s[0:1], 0x18
	s_load_b32 s3, s[0:1], 0x20
	s_load_b64 s[6:7], s[0:1], 0xd8
	s_load_b32 s0, s[0:1], 0xe0
	s_waitcnt lgkmcnt(0)
	v_mul_hi_u32 v3, s5, v2
	s_delay_alu instid0(VALU_DEP_1) | instskip(NEXT) | instid1(VALU_DEP_1)
	v_add_nc_u32_e32 v3, v2, v3
	v_lshrrev_b32_e32 v3, s3, v3
	s_delay_alu instid0(VALU_DEP_1) | instskip(NEXT) | instid1(VALU_DEP_1)
	v_mul_lo_u32 v3, v3, s4
	v_sub_nc_u32_e32 v6, v2, v3
	s_delay_alu instid0(VALU_DEP_1) | instskip(NEXT) | instid1(VALU_DEP_1)
	v_mad_u64_u32 v[2:3], null, v6, s6, v[43:44]
	v_mad_u64_u32 v[3:4], null, v6, s7, v[1:2]
	;; [unrolled: 1-line block ×3, first 2 shown]
	v_mov_b32_e32 v43, v2
	s_delay_alu instid0(VALU_DEP_2)
	v_dual_mov_b32 v1, v3 :: v_dual_mov_b32 v0, v4
	s_branch .LBB45_42
.LBB45_41:
	s_mov_b32 s2, -1
                                        ; implicit-def: $vgpr43
                                        ; implicit-def: $vgpr1
                                        ; implicit-def: $vgpr0
.LBB45_42:
	s_delay_alu instid0(SALU_CYCLE_1)
	s_and_not1_b32 vcc_lo, exec_lo, s2
	s_cbranch_vccnz .LBB45_45
; %bb.43:
	v_mul_hi_u32 v0, s49, v47
	s_and_not1_b32 vcc_lo, exec_lo, s61
	s_delay_alu instid0(VALU_DEP_1) | instskip(NEXT) | instid1(VALU_DEP_1)
	v_add_nc_u32_e32 v0, v47, v0
	v_lshrrev_b32_e32 v2, s50, v0
	s_delay_alu instid0(VALU_DEP_1) | instskip(NEXT) | instid1(VALU_DEP_1)
	v_mul_lo_u32 v0, v2, s48
	v_sub_nc_u32_e32 v0, v47, v0
	s_delay_alu instid0(VALU_DEP_1)
	v_mul_lo_u32 v43, v0, s44
	v_mul_lo_u32 v1, v0, s45
	;; [unrolled: 1-line block ×3, first 2 shown]
	s_cbranch_vccnz .LBB45_45
; %bb.44:
	v_mul_hi_u32 v3, s54, v2
	s_delay_alu instid0(VALU_DEP_1) | instskip(NEXT) | instid1(VALU_DEP_1)
	v_add_nc_u32_e32 v3, v2, v3
	v_lshrrev_b32_e32 v3, s55, v3
	s_delay_alu instid0(VALU_DEP_1) | instskip(NEXT) | instid1(VALU_DEP_1)
	v_mul_lo_u32 v3, v3, s51
	v_sub_nc_u32_e32 v6, v2, v3
	s_delay_alu instid0(VALU_DEP_1) | instskip(NEXT) | instid1(VALU_DEP_1)
	v_mad_u64_u32 v[2:3], null, v6, s47, v[43:44]
	v_mad_u64_u32 v[3:4], null, v6, s52, v[1:2]
	;; [unrolled: 1-line block ×3, first 2 shown]
	v_mov_b32_e32 v43, v2
	s_delay_alu instid0(VALU_DEP_2)
	v_dual_mov_b32 v1, v3 :: v_dual_mov_b32 v0, v4
.LBB45_45:
	global_load_u16 v0, v0, s[38:39]
	global_load_b32 v40, v1, s[42:43]
	s_and_not1_b32 vcc_lo, exec_lo, s60
	s_waitcnt vmcnt(1)
	v_lshlrev_b32_e32 v42, 16, v0
	s_cbranch_vccnz .LBB45_47
; %bb.46:
	s_waitcnt vmcnt(0)
	s_delay_alu instid0(VALU_DEP_1) | instskip(SKIP_3) | instid1(SALU_CYCLE_1)
	v_dual_mov_b32 v0, v40 :: v_dual_mov_b32 v1, v42
	s_getpc_b64 s[0:1]
	s_add_u32 s0, s0, _ZN12_GLOBAL__N_111calc_igammaIfEET_S1_S1_@rel32@lo+4
	s_addc_u32 s1, s1, _ZN12_GLOBAL__N_111calc_igammaIfEET_S1_S1_@rel32@hi+12
	s_swappc_b64 s[30:31], s[0:1]
	s_cbranch_execz .LBB45_48
	s_branch .LBB45_49
.LBB45_47:
                                        ; implicit-def: $vgpr0
.LBB45_48:
	s_waitcnt vmcnt(0)
	s_delay_alu instid0(VALU_DEP_1) | instskip(SKIP_3) | instid1(SALU_CYCLE_1)
	v_dual_mov_b32 v0, v40 :: v_dual_mov_b32 v1, v42
	s_getpc_b64 s[0:1]
	s_add_u32 s0, s0, _ZN12_GLOBAL__N_112calc_igammacIfEET_S1_S1_@rel32@lo+4
	s_addc_u32 s1, s1, _ZN12_GLOBAL__N_112calc_igammacIfEET_S1_S1_@rel32@hi+12
	s_swappc_b64 s[30:31], s[0:1]
.LBB45_49:
	v_add_nc_u32_e32 v47, 0x80, v47
	global_store_b32 v43, v0, s[40:41]
	s_or_b32 exec_lo, exec_lo, s65
	v_cmp_gt_i32_e32 vcc_lo, s63, v47
	s_and_saveexec_b32 s63, vcc_lo
	s_cbranch_execz .LBB45_65
.LBB45_50:
	s_and_not1_b32 vcc_lo, exec_lo, s58
	s_cbranch_vccnz .LBB45_56
; %bb.51:
	v_dual_mov_b32 v43, 0 :: v_dual_mov_b32 v0, 0
	v_mov_b32_e32 v1, 0
	s_and_not1_b32 vcc_lo, exec_lo, s64
	s_mov_b32 s2, 0
	s_cbranch_vccnz .LBB45_57
; %bb.52:
	s_add_i32 s0, s62, 1
	v_dual_mov_b32 v0, 0 :: v_dual_mov_b32 v1, 0
	v_dual_mov_b32 v43, 0 :: v_dual_mov_b32 v2, v47
	s_and_b32 s3, s0, 30
	s_add_u32 s0, s36, 0xffffffec
	s_addc_u32 s1, s37, -1
	s_set_inst_prefetch_distance 0x1
	.p2align	6
.LBB45_53:                              ; =>This Inner Loop Header: Depth=1
	s_clause 0x2
	s_load_b128 s[4:7], s[0:1], 0x18
	s_load_b64 s[12:13], s[0:1], 0x28
	s_load_b128 s[8:11], s[0:1], 0xd8
	s_waitcnt lgkmcnt(0)
	v_mul_hi_u32 v3, s5, v2
	s_delay_alu instid0(VALU_DEP_1) | instskip(NEXT) | instid1(VALU_DEP_1)
	v_add_nc_u32_e32 v3, v2, v3
	v_lshrrev_b32_e32 v3, s6, v3
	s_delay_alu instid0(VALU_DEP_1)
	v_mul_hi_u32 v4, s12, v3
	v_mul_lo_u32 v5, v3, s4
	s_load_b64 s[4:5], s[0:1], 0xe8
	s_add_u32 s0, s0, 24
	s_addc_u32 s1, s1, 0
	s_add_i32 s3, s3, -2
	s_delay_alu instid0(SALU_CYCLE_1) | instskip(NEXT) | instid1(VALU_DEP_2)
	s_cmp_eq_u32 s3, 0
	v_add_nc_u32_e32 v4, v3, v4
	s_delay_alu instid0(VALU_DEP_2) | instskip(NEXT) | instid1(VALU_DEP_2)
	v_sub_nc_u32_e32 v5, v2, v5
	v_lshrrev_b32_e32 v2, s13, v4
	s_delay_alu instid0(VALU_DEP_2) | instskip(NEXT) | instid1(VALU_DEP_2)
	v_mul_lo_u32 v6, v5, s8
	v_mul_lo_u32 v4, v2, s7
	s_delay_alu instid0(VALU_DEP_1) | instskip(SKIP_2) | instid1(VALU_DEP_3)
	v_sub_nc_u32_e32 v3, v3, v4
	v_mul_lo_u32 v4, v5, s9
	v_mul_lo_u32 v5, v5, s10
	;; [unrolled: 1-line block ×3, first 2 shown]
	s_waitcnt lgkmcnt(0)
	v_mul_lo_u32 v8, v3, s4
	v_mul_lo_u32 v3, v3, s5
	s_delay_alu instid0(VALU_DEP_3) | instskip(NEXT) | instid1(VALU_DEP_3)
	v_add3_u32 v43, v6, v43, v7
	v_add3_u32 v1, v4, v1, v8
	s_delay_alu instid0(VALU_DEP_3)
	v_add3_u32 v0, v5, v0, v3
	s_cbranch_scc0 .LBB45_53
; %bb.54:
	s_set_inst_prefetch_distance 0x2
	s_bitcmp1_b32 s62, 0
	s_cselect_b32 s3, -1, 0
	s_delay_alu instid0(SALU_CYCLE_1)
	s_and_b32 vcc_lo, exec_lo, s3
	s_cbranch_vccnz .LBB45_57
; %bb.55:
	s_clause 0x3
	s_load_b64 s[4:5], s[0:1], 0x18
	s_load_b32 s3, s[0:1], 0x20
	s_load_b64 s[6:7], s[0:1], 0xd8
	s_load_b32 s0, s[0:1], 0xe0
	s_waitcnt lgkmcnt(0)
	v_mul_hi_u32 v3, s5, v2
	s_delay_alu instid0(VALU_DEP_1) | instskip(NEXT) | instid1(VALU_DEP_1)
	v_add_nc_u32_e32 v3, v2, v3
	v_lshrrev_b32_e32 v3, s3, v3
	s_delay_alu instid0(VALU_DEP_1) | instskip(NEXT) | instid1(VALU_DEP_1)
	v_mul_lo_u32 v3, v3, s4
	v_sub_nc_u32_e32 v6, v2, v3
	s_delay_alu instid0(VALU_DEP_1) | instskip(NEXT) | instid1(VALU_DEP_1)
	v_mad_u64_u32 v[2:3], null, v6, s6, v[43:44]
	v_mad_u64_u32 v[3:4], null, v6, s7, v[1:2]
	v_mad_u64_u32 v[4:5], null, v6, s0, v[0:1]
	v_mov_b32_e32 v43, v2
	s_delay_alu instid0(VALU_DEP_2)
	v_dual_mov_b32 v1, v3 :: v_dual_mov_b32 v0, v4
	s_branch .LBB45_57
.LBB45_56:
	s_mov_b32 s2, -1
                                        ; implicit-def: $vgpr43
                                        ; implicit-def: $vgpr1
                                        ; implicit-def: $vgpr0
.LBB45_57:
	s_delay_alu instid0(SALU_CYCLE_1)
	s_and_not1_b32 vcc_lo, exec_lo, s2
	s_cbranch_vccnz .LBB45_60
; %bb.58:
	v_mul_hi_u32 v0, s49, v47
	s_and_not1_b32 vcc_lo, exec_lo, s61
	s_delay_alu instid0(VALU_DEP_1) | instskip(NEXT) | instid1(VALU_DEP_1)
	v_add_nc_u32_e32 v0, v47, v0
	v_lshrrev_b32_e32 v2, s50, v0
	s_delay_alu instid0(VALU_DEP_1) | instskip(NEXT) | instid1(VALU_DEP_1)
	v_mul_lo_u32 v0, v2, s48
	v_sub_nc_u32_e32 v0, v47, v0
	s_delay_alu instid0(VALU_DEP_1)
	v_mul_lo_u32 v43, v0, s44
	v_mul_lo_u32 v1, v0, s45
	;; [unrolled: 1-line block ×3, first 2 shown]
	s_cbranch_vccnz .LBB45_60
; %bb.59:
	v_mul_hi_u32 v3, s54, v2
	s_delay_alu instid0(VALU_DEP_1) | instskip(NEXT) | instid1(VALU_DEP_1)
	v_add_nc_u32_e32 v3, v2, v3
	v_lshrrev_b32_e32 v3, s55, v3
	s_delay_alu instid0(VALU_DEP_1) | instskip(NEXT) | instid1(VALU_DEP_1)
	v_mul_lo_u32 v3, v3, s51
	v_sub_nc_u32_e32 v6, v2, v3
	s_delay_alu instid0(VALU_DEP_1) | instskip(NEXT) | instid1(VALU_DEP_1)
	v_mad_u64_u32 v[2:3], null, v6, s47, v[43:44]
	v_mad_u64_u32 v[3:4], null, v6, s52, v[1:2]
	v_mad_u64_u32 v[4:5], null, v6, s53, v[0:1]
	v_mov_b32_e32 v43, v2
	s_delay_alu instid0(VALU_DEP_2)
	v_dual_mov_b32 v1, v3 :: v_dual_mov_b32 v0, v4
.LBB45_60:
	global_load_u16 v0, v0, s[38:39]
	global_load_b32 v40, v1, s[42:43]
	s_and_not1_b32 vcc_lo, exec_lo, s60
	s_waitcnt vmcnt(1)
	v_lshlrev_b32_e32 v42, 16, v0
	s_cbranch_vccnz .LBB45_62
; %bb.61:
	s_waitcnt vmcnt(0)
	s_delay_alu instid0(VALU_DEP_1) | instskip(SKIP_3) | instid1(SALU_CYCLE_1)
	v_dual_mov_b32 v0, v40 :: v_dual_mov_b32 v1, v42
	s_getpc_b64 s[0:1]
	s_add_u32 s0, s0, _ZN12_GLOBAL__N_111calc_igammaIfEET_S1_S1_@rel32@lo+4
	s_addc_u32 s1, s1, _ZN12_GLOBAL__N_111calc_igammaIfEET_S1_S1_@rel32@hi+12
	s_swappc_b64 s[30:31], s[0:1]
	s_cbranch_execz .LBB45_63
	s_branch .LBB45_64
.LBB45_62:
                                        ; implicit-def: $vgpr0
.LBB45_63:
	s_waitcnt vmcnt(0)
	s_delay_alu instid0(VALU_DEP_1) | instskip(SKIP_3) | instid1(SALU_CYCLE_1)
	v_dual_mov_b32 v0, v40 :: v_dual_mov_b32 v1, v42
	s_getpc_b64 s[0:1]
	s_add_u32 s0, s0, _ZN12_GLOBAL__N_112calc_igammacIfEET_S1_S1_@rel32@lo+4
	s_addc_u32 s1, s1, _ZN12_GLOBAL__N_112calc_igammacIfEET_S1_S1_@rel32@hi+12
	s_swappc_b64 s[30:31], s[0:1]
.LBB45_64:
	global_store_b32 v43, v0, s[40:41]
.LBB45_65:
	s_or_b32 exec_lo, exec_lo, s63
                                        ; implicit-def: $vgpr2
                                        ; implicit-def: $vgpr47
.LBB45_66:
	s_and_not1_saveexec_b32 s0, s59
	s_cbranch_execz .LBB45_73
; %bb.67:
	v_cndmask_b32_e64 v3, 0, 1, s58
	s_and_not1_b32 vcc_lo, exec_lo, s58
	s_cbranch_vccnz .LBB45_74
; %bb.68:
	v_dual_mov_b32 v46, 0 :: v_dual_mov_b32 v1, 0
	v_mov_b32_e32 v0, 0
	s_cmp_lg_u32 s56, 0
	s_mov_b32 s2, 0
	s_cbranch_scc0 .LBB45_75
; %bb.69:
	s_min_u32 s3, s57, 15
	v_dual_mov_b32 v0, 0 :: v_dual_mov_b32 v1, 0
	s_add_i32 s0, s3, 1
	v_mov_b32_e32 v46, 0
	v_mov_b32_e32 v4, v47
	s_and_b32 s4, s0, 30
	s_add_u32 s0, s36, 0xffffffec
	s_addc_u32 s1, s37, -1
	s_set_inst_prefetch_distance 0x1
	.p2align	6
.LBB45_70:                              ; =>This Inner Loop Header: Depth=1
	s_clause 0x2
	s_load_b128 s[8:11], s[0:1], 0x18
	s_load_b64 s[6:7], s[0:1], 0x28
	s_load_b128 s[12:15], s[0:1], 0xd8
	s_waitcnt lgkmcnt(0)
	v_mul_hi_u32 v5, s9, v4
	s_delay_alu instid0(VALU_DEP_1) | instskip(NEXT) | instid1(VALU_DEP_1)
	v_add_nc_u32_e32 v5, v4, v5
	v_lshrrev_b32_e32 v5, s10, v5
	s_delay_alu instid0(VALU_DEP_1)
	v_mul_hi_u32 v6, s6, v5
	v_mul_lo_u32 v7, v5, s8
	s_load_b64 s[8:9], s[0:1], 0xe8
	s_add_u32 s0, s0, 24
	s_addc_u32 s1, s1, 0
	s_add_i32 s4, s4, -2
	s_delay_alu instid0(SALU_CYCLE_1) | instskip(NEXT) | instid1(VALU_DEP_2)
	s_cmp_lg_u32 s4, 0
	v_add_nc_u32_e32 v6, v5, v6
	s_delay_alu instid0(VALU_DEP_2) | instskip(NEXT) | instid1(VALU_DEP_2)
	v_sub_nc_u32_e32 v7, v4, v7
	v_lshrrev_b32_e32 v4, s7, v6
	s_delay_alu instid0(VALU_DEP_2) | instskip(NEXT) | instid1(VALU_DEP_2)
	v_mul_lo_u32 v8, v7, s12
	v_mul_lo_u32 v6, v4, s11
	s_delay_alu instid0(VALU_DEP_1) | instskip(SKIP_2) | instid1(VALU_DEP_3)
	v_sub_nc_u32_e32 v5, v5, v6
	v_mul_lo_u32 v6, v7, s13
	v_mul_lo_u32 v7, v7, s14
	;; [unrolled: 1-line block ×3, first 2 shown]
	s_waitcnt lgkmcnt(0)
	v_mul_lo_u32 v10, v5, s8
	v_mul_lo_u32 v5, v5, s9
	s_delay_alu instid0(VALU_DEP_3) | instskip(NEXT) | instid1(VALU_DEP_3)
	v_add3_u32 v46, v8, v46, v9
	v_add3_u32 v1, v6, v1, v10
	s_delay_alu instid0(VALU_DEP_3)
	v_add3_u32 v0, v7, v0, v5
	s_cbranch_scc1 .LBB45_70
; %bb.71:
	s_set_inst_prefetch_distance 0x2
	s_bitcmp1_b32 s3, 0
	s_cselect_b32 s3, -1, 0
	s_delay_alu instid0(SALU_CYCLE_1)
	s_and_b32 vcc_lo, exec_lo, s3
	s_cbranch_vccnz .LBB45_75
; %bb.72:
	s_clause 0x3
	s_load_b64 s[4:5], s[0:1], 0x18
	s_load_b32 s3, s[0:1], 0x20
	s_load_b64 s[6:7], s[0:1], 0xd8
	s_load_b32 s0, s[0:1], 0xe0
	s_waitcnt lgkmcnt(0)
	v_mul_hi_u32 v5, s5, v4
	s_delay_alu instid0(VALU_DEP_1) | instskip(NEXT) | instid1(VALU_DEP_1)
	v_add_nc_u32_e32 v5, v4, v5
	v_lshrrev_b32_e32 v5, s3, v5
	s_delay_alu instid0(VALU_DEP_1) | instskip(NEXT) | instid1(VALU_DEP_1)
	v_mul_lo_u32 v5, v5, s4
	v_sub_nc_u32_e32 v8, v4, v5
	s_delay_alu instid0(VALU_DEP_1) | instskip(SKIP_2) | instid1(VALU_DEP_2)
	v_mad_u64_u32 v[4:5], null, v8, s6, v[46:47]
	v_mad_u64_u32 v[5:6], null, v8, s7, v[1:2]
	;; [unrolled: 1-line block ×3, first 2 shown]
	v_dual_mov_b32 v46, v4 :: v_dual_mov_b32 v1, v5
	s_delay_alu instid0(VALU_DEP_2)
	v_mov_b32_e32 v0, v6
	s_branch .LBB45_75
.LBB45_73:
	s_endpgm
.LBB45_74:
	s_mov_b32 s2, -1
                                        ; implicit-def: $vgpr46
                                        ; implicit-def: $vgpr1
                                        ; implicit-def: $vgpr0
.LBB45_75:
	s_delay_alu instid0(SALU_CYCLE_1)
	s_and_not1_b32 vcc_lo, exec_lo, s2
	s_cbranch_vccnz .LBB45_78
; %bb.76:
	s_clause 0x1
	s_load_b128 s[0:3], s[36:37], 0x4
	s_load_b128 s[4:7], s[36:37], 0xc4
	s_cmp_lt_u32 s56, 2
	s_waitcnt lgkmcnt(0)
	v_mul_hi_u32 v0, s1, v47
	s_delay_alu instid0(VALU_DEP_1) | instskip(NEXT) | instid1(VALU_DEP_1)
	v_add_nc_u32_e32 v0, v47, v0
	v_lshrrev_b32_e32 v4, s2, v0
	s_delay_alu instid0(VALU_DEP_1) | instskip(NEXT) | instid1(VALU_DEP_1)
	v_mul_lo_u32 v0, v4, s0
	v_sub_nc_u32_e32 v0, v47, v0
	s_delay_alu instid0(VALU_DEP_1)
	v_mul_lo_u32 v46, v0, s4
	v_mul_lo_u32 v1, v0, s5
	;; [unrolled: 1-line block ×3, first 2 shown]
	s_cbranch_scc1 .LBB45_78
; %bb.77:
	s_clause 0x1
	s_load_b128 s[0:3], s[36:37], 0x10
	s_load_b128 s[4:7], s[36:37], 0xd0
	s_waitcnt lgkmcnt(0)
	v_mul_hi_u32 v5, s1, v4
	s_delay_alu instid0(VALU_DEP_1) | instskip(NEXT) | instid1(VALU_DEP_1)
	v_add_nc_u32_e32 v5, v4, v5
	v_lshrrev_b32_e32 v5, s2, v5
	s_delay_alu instid0(VALU_DEP_1) | instskip(NEXT) | instid1(VALU_DEP_1)
	v_mul_lo_u32 v5, v5, s0
	v_sub_nc_u32_e32 v8, v4, v5
	s_delay_alu instid0(VALU_DEP_1) | instskip(SKIP_2) | instid1(VALU_DEP_2)
	v_mad_u64_u32 v[4:5], null, v8, s4, v[46:47]
	v_mad_u64_u32 v[5:6], null, v8, s5, v[1:2]
	;; [unrolled: 1-line block ×3, first 2 shown]
	v_dual_mov_b32 v46, v4 :: v_dual_mov_b32 v1, v5
	s_delay_alu instid0(VALU_DEP_2)
	v_mov_b32_e32 v0, v6
.LBB45_78:
	v_cmp_ne_u32_e32 vcc_lo, 1, v3
	v_add_nc_u32_e32 v4, 0x80, v47
	s_cbranch_vccnz .LBB45_84
; %bb.79:
	v_dual_mov_b32 v56, 0 :: v_dual_mov_b32 v45, 0
	v_mov_b32_e32 v44, 0
	s_cmp_lg_u32 s56, 0
	s_mov_b32 s2, 0
	s_cbranch_scc0 .LBB45_85
; %bb.80:
	s_min_u32 s3, s57, 15
	v_dual_mov_b32 v44, 0 :: v_dual_mov_b32 v45, 0
	s_add_i32 s0, s3, 1
	v_dual_mov_b32 v56, 0 :: v_dual_mov_b32 v5, v4
	s_and_b32 s4, s0, 30
	s_add_u32 s0, s36, 0xffffffec
	s_addc_u32 s1, s37, -1
	s_set_inst_prefetch_distance 0x1
	.p2align	6
.LBB45_81:                              ; =>This Inner Loop Header: Depth=1
	s_clause 0x2
	s_load_b128 s[8:11], s[0:1], 0x18
	s_load_b64 s[6:7], s[0:1], 0x28
	s_load_b128 s[12:15], s[0:1], 0xd8
	s_waitcnt lgkmcnt(0)
	v_mul_hi_u32 v6, s9, v5
	s_delay_alu instid0(VALU_DEP_1) | instskip(NEXT) | instid1(VALU_DEP_1)
	v_add_nc_u32_e32 v6, v5, v6
	v_lshrrev_b32_e32 v6, s10, v6
	s_delay_alu instid0(VALU_DEP_1)
	v_mul_hi_u32 v7, s6, v6
	v_mul_lo_u32 v8, v6, s8
	s_load_b64 s[8:9], s[0:1], 0xe8
	s_add_u32 s0, s0, 24
	s_addc_u32 s1, s1, 0
	s_add_i32 s4, s4, -2
	s_delay_alu instid0(SALU_CYCLE_1) | instskip(NEXT) | instid1(VALU_DEP_2)
	s_cmp_lg_u32 s4, 0
	v_add_nc_u32_e32 v7, v6, v7
	s_delay_alu instid0(VALU_DEP_2) | instskip(NEXT) | instid1(VALU_DEP_2)
	v_sub_nc_u32_e32 v8, v5, v8
	v_lshrrev_b32_e32 v5, s7, v7
	s_delay_alu instid0(VALU_DEP_2) | instskip(NEXT) | instid1(VALU_DEP_2)
	v_mul_lo_u32 v9, v8, s12
	v_mul_lo_u32 v7, v5, s11
	s_delay_alu instid0(VALU_DEP_1) | instskip(SKIP_2) | instid1(VALU_DEP_3)
	v_sub_nc_u32_e32 v6, v6, v7
	v_mul_lo_u32 v7, v8, s13
	v_mul_lo_u32 v8, v8, s14
	;; [unrolled: 1-line block ×3, first 2 shown]
	s_waitcnt lgkmcnt(0)
	v_mul_lo_u32 v11, v6, s8
	v_mul_lo_u32 v6, v6, s9
	s_delay_alu instid0(VALU_DEP_3) | instskip(NEXT) | instid1(VALU_DEP_3)
	v_add3_u32 v56, v9, v56, v10
	v_add3_u32 v45, v7, v45, v11
	s_delay_alu instid0(VALU_DEP_3)
	v_add3_u32 v44, v8, v44, v6
	s_cbranch_scc1 .LBB45_81
; %bb.82:
	s_set_inst_prefetch_distance 0x2
	s_bitcmp1_b32 s3, 0
	s_cselect_b32 s3, -1, 0
	s_delay_alu instid0(SALU_CYCLE_1)
	s_and_b32 vcc_lo, exec_lo, s3
	s_cbranch_vccnz .LBB45_85
; %bb.83:
	s_clause 0x3
	s_load_b64 s[4:5], s[0:1], 0x18
	s_load_b32 s3, s[0:1], 0x20
	s_load_b64 s[6:7], s[0:1], 0xd8
	s_load_b32 s0, s[0:1], 0xe0
	s_waitcnt lgkmcnt(0)
	v_mul_hi_u32 v6, s5, v5
	s_delay_alu instid0(VALU_DEP_1) | instskip(NEXT) | instid1(VALU_DEP_1)
	v_add_nc_u32_e32 v6, v5, v6
	v_lshrrev_b32_e32 v6, s3, v6
	s_delay_alu instid0(VALU_DEP_1) | instskip(NEXT) | instid1(VALU_DEP_1)
	v_mul_lo_u32 v6, v6, s4
	v_sub_nc_u32_e32 v9, v5, v6
	s_delay_alu instid0(VALU_DEP_1) | instskip(SKIP_2) | instid1(VALU_DEP_2)
	v_mad_u64_u32 v[5:6], null, v9, s6, v[56:57]
	v_mad_u64_u32 v[6:7], null, v9, s7, v[45:46]
	;; [unrolled: 1-line block ×3, first 2 shown]
	v_dual_mov_b32 v56, v5 :: v_dual_mov_b32 v45, v6
	s_delay_alu instid0(VALU_DEP_2)
	v_mov_b32_e32 v44, v7
	s_branch .LBB45_85
.LBB45_84:
	s_mov_b32 s2, -1
                                        ; implicit-def: $vgpr56
                                        ; implicit-def: $vgpr45
                                        ; implicit-def: $vgpr44
.LBB45_85:
	s_delay_alu instid0(SALU_CYCLE_1)
	s_and_not1_b32 vcc_lo, exec_lo, s2
	s_cbranch_vccnz .LBB45_88
; %bb.86:
	s_clause 0x1
	s_load_b128 s[0:3], s[36:37], 0x4
	s_load_b128 s[4:7], s[36:37], 0xc4
	s_cmp_lt_u32 s56, 2
	s_waitcnt lgkmcnt(0)
	v_mul_hi_u32 v5, s1, v4
	s_delay_alu instid0(VALU_DEP_1) | instskip(NEXT) | instid1(VALU_DEP_1)
	v_add_nc_u32_e32 v5, v4, v5
	v_lshrrev_b32_e32 v5, s2, v5
	s_delay_alu instid0(VALU_DEP_1) | instskip(NEXT) | instid1(VALU_DEP_1)
	v_mul_lo_u32 v6, v5, s0
	v_sub_nc_u32_e32 v4, v4, v6
	s_delay_alu instid0(VALU_DEP_1)
	v_mul_lo_u32 v56, v4, s4
	v_mul_lo_u32 v45, v4, s5
	v_mul_lo_u32 v44, v4, s6
	s_cbranch_scc1 .LBB45_88
; %bb.87:
	s_clause 0x1
	s_load_b128 s[0:3], s[36:37], 0x10
	s_load_b128 s[4:7], s[36:37], 0xd0
	s_waitcnt lgkmcnt(0)
	v_mul_hi_u32 v4, s1, v5
	s_delay_alu instid0(VALU_DEP_1) | instskip(NEXT) | instid1(VALU_DEP_1)
	v_add_nc_u32_e32 v4, v5, v4
	v_lshrrev_b32_e32 v4, s2, v4
	s_delay_alu instid0(VALU_DEP_1) | instskip(NEXT) | instid1(VALU_DEP_1)
	v_mul_lo_u32 v4, v4, s0
	v_sub_nc_u32_e32 v8, v5, v4
	s_delay_alu instid0(VALU_DEP_1) | instskip(SKIP_2) | instid1(VALU_DEP_2)
	v_mad_u64_u32 v[4:5], null, v8, s4, v[56:57]
	v_mad_u64_u32 v[5:6], null, v8, s5, v[45:46]
	;; [unrolled: 1-line block ×3, first 2 shown]
	v_dual_mov_b32 v56, v4 :: v_dual_mov_b32 v45, v5
	s_delay_alu instid0(VALU_DEP_2)
	v_mov_b32_e32 v44, v6
.LBB45_88:
	v_cmp_ne_u32_e32 vcc_lo, 1, v3
	v_add_nc_u32_e32 v4, 0x100, v47
	s_cbranch_vccnz .LBB45_94
; %bb.89:
	v_dual_mov_b32 v57, 0 :: v_dual_mov_b32 v58, 0
	v_mov_b32_e32 v59, 0
	s_cmp_lg_u32 s56, 0
	s_mov_b32 s2, 0
	s_cbranch_scc0 .LBB45_95
; %bb.90:
	s_min_u32 s3, s57, 15
	v_dual_mov_b32 v58, 0 :: v_dual_mov_b32 v59, 0
	s_add_i32 s0, s3, 1
	v_mov_b32_e32 v57, 0
	v_mov_b32_e32 v5, v4
	s_and_b32 s4, s0, 30
	s_add_u32 s0, s36, 0xffffffec
	s_addc_u32 s1, s37, -1
	s_set_inst_prefetch_distance 0x1
	.p2align	6
.LBB45_91:                              ; =>This Inner Loop Header: Depth=1
	s_clause 0x2
	s_load_b128 s[8:11], s[0:1], 0x18
	s_load_b64 s[6:7], s[0:1], 0x28
	s_load_b128 s[12:15], s[0:1], 0xd8
	s_waitcnt lgkmcnt(0)
	v_mul_hi_u32 v6, s9, v5
	s_delay_alu instid0(VALU_DEP_1) | instskip(NEXT) | instid1(VALU_DEP_1)
	v_add_nc_u32_e32 v6, v5, v6
	v_lshrrev_b32_e32 v6, s10, v6
	s_delay_alu instid0(VALU_DEP_1)
	v_mul_hi_u32 v7, s6, v6
	v_mul_lo_u32 v8, v6, s8
	s_load_b64 s[8:9], s[0:1], 0xe8
	s_add_u32 s0, s0, 24
	s_addc_u32 s1, s1, 0
	s_add_i32 s4, s4, -2
	s_delay_alu instid0(SALU_CYCLE_1) | instskip(NEXT) | instid1(VALU_DEP_2)
	s_cmp_lg_u32 s4, 0
	v_add_nc_u32_e32 v7, v6, v7
	s_delay_alu instid0(VALU_DEP_2) | instskip(NEXT) | instid1(VALU_DEP_2)
	v_sub_nc_u32_e32 v8, v5, v8
	v_lshrrev_b32_e32 v5, s7, v7
	s_delay_alu instid0(VALU_DEP_2) | instskip(NEXT) | instid1(VALU_DEP_2)
	v_mul_lo_u32 v9, v8, s12
	v_mul_lo_u32 v7, v5, s11
	s_delay_alu instid0(VALU_DEP_1) | instskip(SKIP_2) | instid1(VALU_DEP_3)
	v_sub_nc_u32_e32 v6, v6, v7
	v_mul_lo_u32 v7, v8, s13
	v_mul_lo_u32 v8, v8, s14
	;; [unrolled: 1-line block ×3, first 2 shown]
	s_waitcnt lgkmcnt(0)
	v_mul_lo_u32 v11, v6, s8
	v_mul_lo_u32 v6, v6, s9
	s_delay_alu instid0(VALU_DEP_3) | instskip(NEXT) | instid1(VALU_DEP_3)
	v_add3_u32 v57, v9, v57, v10
	v_add3_u32 v59, v7, v59, v11
	s_delay_alu instid0(VALU_DEP_3)
	v_add3_u32 v58, v8, v58, v6
	s_cbranch_scc1 .LBB45_91
; %bb.92:
	s_set_inst_prefetch_distance 0x2
	s_bitcmp1_b32 s3, 0
	s_cselect_b32 s3, -1, 0
	s_delay_alu instid0(SALU_CYCLE_1)
	s_and_b32 vcc_lo, exec_lo, s3
	s_cbranch_vccnz .LBB45_95
; %bb.93:
	s_clause 0x3
	s_load_b64 s[4:5], s[0:1], 0x18
	s_load_b32 s3, s[0:1], 0x20
	s_load_b64 s[6:7], s[0:1], 0xd8
	s_load_b32 s0, s[0:1], 0xe0
	s_waitcnt lgkmcnt(0)
	v_mul_hi_u32 v6, s5, v5
	s_delay_alu instid0(VALU_DEP_1) | instskip(NEXT) | instid1(VALU_DEP_1)
	v_add_nc_u32_e32 v6, v5, v6
	v_lshrrev_b32_e32 v6, s3, v6
	s_delay_alu instid0(VALU_DEP_1) | instskip(NEXT) | instid1(VALU_DEP_1)
	v_mul_lo_u32 v6, v6, s4
	v_sub_nc_u32_e32 v9, v5, v6
	s_delay_alu instid0(VALU_DEP_1) | instskip(SKIP_2) | instid1(VALU_DEP_3)
	v_mad_u64_u32 v[5:6], null, v9, s6, v[57:58]
	v_mad_u64_u32 v[6:7], null, v9, s7, v[59:60]
	v_mad_u64_u32 v[7:8], null, v9, s0, v[58:59]
	v_mov_b32_e32 v57, v5
	s_delay_alu instid0(VALU_DEP_2)
	v_dual_mov_b32 v59, v6 :: v_dual_mov_b32 v58, v7
	s_branch .LBB45_95
.LBB45_94:
	s_mov_b32 s2, -1
                                        ; implicit-def: $vgpr57
                                        ; implicit-def: $vgpr59
                                        ; implicit-def: $vgpr58
.LBB45_95:
	s_delay_alu instid0(SALU_CYCLE_1)
	s_and_not1_b32 vcc_lo, exec_lo, s2
	s_cbranch_vccnz .LBB45_98
; %bb.96:
	s_clause 0x1
	s_load_b128 s[0:3], s[36:37], 0x4
	s_load_b128 s[4:7], s[36:37], 0xc4
	s_cmp_lt_u32 s56, 2
	s_waitcnt lgkmcnt(0)
	v_mul_hi_u32 v5, s1, v4
	s_delay_alu instid0(VALU_DEP_1) | instskip(NEXT) | instid1(VALU_DEP_1)
	v_add_nc_u32_e32 v5, v4, v5
	v_lshrrev_b32_e32 v5, s2, v5
	s_delay_alu instid0(VALU_DEP_1) | instskip(NEXT) | instid1(VALU_DEP_1)
	v_mul_lo_u32 v6, v5, s0
	v_sub_nc_u32_e32 v4, v4, v6
	s_delay_alu instid0(VALU_DEP_1)
	v_mul_lo_u32 v57, v4, s4
	v_mul_lo_u32 v59, v4, s5
	;; [unrolled: 1-line block ×3, first 2 shown]
	s_cbranch_scc1 .LBB45_98
; %bb.97:
	s_clause 0x1
	s_load_b128 s[0:3], s[36:37], 0x10
	s_load_b128 s[4:7], s[36:37], 0xd0
	s_waitcnt lgkmcnt(0)
	v_mul_hi_u32 v4, s1, v5
	s_delay_alu instid0(VALU_DEP_1) | instskip(NEXT) | instid1(VALU_DEP_1)
	v_add_nc_u32_e32 v4, v5, v4
	v_lshrrev_b32_e32 v4, s2, v4
	s_delay_alu instid0(VALU_DEP_1) | instskip(NEXT) | instid1(VALU_DEP_1)
	v_mul_lo_u32 v4, v4, s0
	v_sub_nc_u32_e32 v8, v5, v4
	s_delay_alu instid0(VALU_DEP_1) | instskip(SKIP_2) | instid1(VALU_DEP_3)
	v_mad_u64_u32 v[4:5], null, v8, s4, v[57:58]
	v_mad_u64_u32 v[5:6], null, v8, s5, v[59:60]
	;; [unrolled: 1-line block ×3, first 2 shown]
	v_mov_b32_e32 v57, v4
	s_delay_alu instid0(VALU_DEP_2)
	v_dual_mov_b32 v59, v5 :: v_dual_mov_b32 v58, v6
.LBB45_98:
	v_cmp_ne_u32_e32 vcc_lo, 1, v3
	s_cbranch_vccnz .LBB45_104
; %bb.99:
	v_dual_mov_b32 v60, 0 :: v_dual_mov_b32 v61, 0
	v_mov_b32_e32 v62, 0
	s_cmp_lg_u32 s56, 0
	s_mov_b32 s2, 0
	s_cbranch_scc0 .LBB45_105
; %bb.100:
	s_min_u32 s3, s57, 15
	v_dual_mov_b32 v61, 0 :: v_dual_mov_b32 v62, 0
	s_add_i32 s0, s3, 1
	v_dual_mov_b32 v60, 0 :: v_dual_mov_b32 v3, v2
	s_and_b32 s4, s0, 30
	s_add_u32 s0, s36, 0xffffffec
	s_addc_u32 s1, s37, -1
	s_set_inst_prefetch_distance 0x1
	.p2align	6
.LBB45_101:                             ; =>This Inner Loop Header: Depth=1
	s_clause 0x2
	s_load_b128 s[8:11], s[0:1], 0x18
	s_load_b64 s[6:7], s[0:1], 0x28
	s_load_b128 s[12:15], s[0:1], 0xd8
	s_waitcnt lgkmcnt(0)
	v_mul_hi_u32 v4, s9, v3
	s_delay_alu instid0(VALU_DEP_1) | instskip(NEXT) | instid1(VALU_DEP_1)
	v_add_nc_u32_e32 v4, v3, v4
	v_lshrrev_b32_e32 v4, s10, v4
	s_delay_alu instid0(VALU_DEP_1)
	v_mul_hi_u32 v5, s6, v4
	v_mul_lo_u32 v6, v4, s8
	s_load_b64 s[8:9], s[0:1], 0xe8
	s_add_u32 s0, s0, 24
	s_addc_u32 s1, s1, 0
	s_add_i32 s4, s4, -2
	s_delay_alu instid0(SALU_CYCLE_1) | instskip(NEXT) | instid1(VALU_DEP_2)
	s_cmp_lg_u32 s4, 0
	v_add_nc_u32_e32 v5, v4, v5
	s_delay_alu instid0(VALU_DEP_2) | instskip(NEXT) | instid1(VALU_DEP_2)
	v_sub_nc_u32_e32 v6, v3, v6
	v_lshrrev_b32_e32 v3, s7, v5
	s_delay_alu instid0(VALU_DEP_2) | instskip(NEXT) | instid1(VALU_DEP_2)
	v_mul_lo_u32 v7, v6, s12
	v_mul_lo_u32 v5, v3, s11
	s_delay_alu instid0(VALU_DEP_1) | instskip(SKIP_2) | instid1(VALU_DEP_3)
	v_sub_nc_u32_e32 v4, v4, v5
	v_mul_lo_u32 v5, v6, s13
	v_mul_lo_u32 v6, v6, s14
	;; [unrolled: 1-line block ×3, first 2 shown]
	s_waitcnt lgkmcnt(0)
	v_mul_lo_u32 v9, v4, s8
	v_mul_lo_u32 v4, v4, s9
	s_delay_alu instid0(VALU_DEP_3) | instskip(NEXT) | instid1(VALU_DEP_3)
	v_add3_u32 v60, v7, v60, v8
	v_add3_u32 v62, v5, v62, v9
	s_delay_alu instid0(VALU_DEP_3)
	v_add3_u32 v61, v6, v61, v4
	s_cbranch_scc1 .LBB45_101
; %bb.102:
	s_set_inst_prefetch_distance 0x2
	s_bitcmp1_b32 s3, 0
	s_cselect_b32 s3, -1, 0
	s_delay_alu instid0(SALU_CYCLE_1)
	s_and_b32 vcc_lo, exec_lo, s3
	s_cbranch_vccnz .LBB45_105
; %bb.103:
	s_clause 0x3
	s_load_b64 s[4:5], s[0:1], 0x18
	s_load_b32 s3, s[0:1], 0x20
	s_load_b64 s[6:7], s[0:1], 0xd8
	s_load_b32 s0, s[0:1], 0xe0
	s_waitcnt lgkmcnt(0)
	v_mul_hi_u32 v4, s5, v3
	s_delay_alu instid0(VALU_DEP_1) | instskip(NEXT) | instid1(VALU_DEP_1)
	v_add_nc_u32_e32 v4, v3, v4
	v_lshrrev_b32_e32 v4, s3, v4
	s_delay_alu instid0(VALU_DEP_1) | instskip(NEXT) | instid1(VALU_DEP_1)
	v_mul_lo_u32 v4, v4, s4
	v_sub_nc_u32_e32 v7, v3, v4
	s_delay_alu instid0(VALU_DEP_1) | instskip(SKIP_2) | instid1(VALU_DEP_3)
	v_mad_u64_u32 v[3:4], null, v7, s6, v[60:61]
	v_mad_u64_u32 v[4:5], null, v7, s7, v[62:63]
	;; [unrolled: 1-line block ×3, first 2 shown]
	v_mov_b32_e32 v60, v3
	s_delay_alu instid0(VALU_DEP_2)
	v_dual_mov_b32 v62, v4 :: v_dual_mov_b32 v61, v5
	s_branch .LBB45_105
.LBB45_104:
	s_mov_b32 s2, -1
                                        ; implicit-def: $vgpr60
                                        ; implicit-def: $vgpr62
                                        ; implicit-def: $vgpr61
.LBB45_105:
	s_delay_alu instid0(SALU_CYCLE_1)
	s_and_not1_b32 vcc_lo, exec_lo, s2
	s_cbranch_vccnz .LBB45_108
; %bb.106:
	s_clause 0x1
	s_load_b128 s[0:3], s[36:37], 0x4
	s_load_b128 s[4:7], s[36:37], 0xc4
	s_cmp_lt_u32 s56, 2
	s_waitcnt lgkmcnt(0)
	v_mul_hi_u32 v3, s1, v2
	s_delay_alu instid0(VALU_DEP_1) | instskip(NEXT) | instid1(VALU_DEP_1)
	v_add_nc_u32_e32 v3, v2, v3
	v_lshrrev_b32_e32 v3, s2, v3
	s_delay_alu instid0(VALU_DEP_1) | instskip(NEXT) | instid1(VALU_DEP_1)
	v_mul_lo_u32 v4, v3, s0
	v_sub_nc_u32_e32 v2, v2, v4
	s_delay_alu instid0(VALU_DEP_1)
	v_mul_lo_u32 v60, v2, s4
	v_mul_lo_u32 v62, v2, s5
	v_mul_lo_u32 v61, v2, s6
	s_cbranch_scc1 .LBB45_108
; %bb.107:
	s_clause 0x1
	s_load_b128 s[0:3], s[36:37], 0x10
	s_load_b128 s[4:7], s[36:37], 0xd0
	s_waitcnt lgkmcnt(0)
	v_mul_hi_u32 v2, s1, v3
	s_delay_alu instid0(VALU_DEP_1) | instskip(NEXT) | instid1(VALU_DEP_1)
	v_add_nc_u32_e32 v2, v3, v2
	v_lshrrev_b32_e32 v2, s2, v2
	s_delay_alu instid0(VALU_DEP_1) | instskip(NEXT) | instid1(VALU_DEP_1)
	v_mul_lo_u32 v2, v2, s0
	v_sub_nc_u32_e32 v6, v3, v2
	s_delay_alu instid0(VALU_DEP_1) | instskip(SKIP_2) | instid1(VALU_DEP_3)
	v_mad_u64_u32 v[2:3], null, v6, s4, v[60:61]
	v_mad_u64_u32 v[3:4], null, v6, s5, v[62:63]
	;; [unrolled: 1-line block ×3, first 2 shown]
	v_mov_b32_e32 v60, v2
	s_delay_alu instid0(VALU_DEP_2)
	v_dual_mov_b32 v62, v3 :: v_dual_mov_b32 v61, v4
.LBB45_108:
	s_clause 0x2
	s_load_b64 s[38:39], s[36:37], 0x198
	s_load_b128 s[40:43], s[36:37], 0x188
	s_load_b32 s0, s[36:37], 0x1a0
	s_waitcnt lgkmcnt(0)
	global_load_u16 v0, v0, s[38:39]
	global_load_b32 v40, v1, s[42:43]
	s_bitcmp1_b32 s0, 0
	s_cselect_b32 s0, -1, 0
	s_delay_alu instid0(SALU_CYCLE_1)
	s_xor_b32 s36, s0, -1
	s_mov_b32 s0, -1
	s_and_b32 vcc_lo, exec_lo, s36
	s_waitcnt vmcnt(1)
	v_lshlrev_b32_e32 v43, 16, v0
	s_cbranch_vccz .LBB45_110
; %bb.109:
	s_waitcnt vmcnt(0)
	s_delay_alu instid0(VALU_DEP_1) | instskip(SKIP_3) | instid1(SALU_CYCLE_1)
	v_dual_mov_b32 v0, v40 :: v_dual_mov_b32 v1, v43
	s_getpc_b64 s[0:1]
	s_add_u32 s0, s0, _ZN12_GLOBAL__N_111calc_igammaIfEET_S1_S1_@rel32@lo+4
	s_addc_u32 s1, s1, _ZN12_GLOBAL__N_111calc_igammaIfEET_S1_S1_@rel32@hi+12
	s_swappc_b64 s[30:31], s[0:1]
	v_mov_b32_e32 v42, v0
	s_cbranch_execz .LBB45_111
	s_branch .LBB45_112
.LBB45_110:
                                        ; implicit-def: $vgpr42
	s_and_not1_b32 vcc_lo, exec_lo, s0
	s_cbranch_vccnz .LBB45_112
.LBB45_111:
	s_waitcnt vmcnt(0)
	v_dual_mov_b32 v0, v40 :: v_dual_mov_b32 v1, v43
	s_getpc_b64 s[0:1]
	s_add_u32 s0, s0, _ZN12_GLOBAL__N_112calc_igammacIfEET_S1_S1_@rel32@lo+4
	s_addc_u32 s1, s1, _ZN12_GLOBAL__N_112calc_igammacIfEET_S1_S1_@rel32@hi+12
	s_delay_alu instid0(SALU_CYCLE_1)
	s_swappc_b64 s[30:31], s[0:1]
	v_mov_b32_e32 v42, v0
.LBB45_112:
	global_load_u16 v0, v44, s[38:39]
	global_load_b32 v40, v45, s[42:43]
	s_and_b32 vcc_lo, exec_lo, s36
	s_waitcnt vmcnt(1)
	v_lshlrev_b32_e32 v44, 16, v0
	s_cbranch_vccz .LBB45_114
; %bb.113:
	s_waitcnt vmcnt(0)
	v_mov_b32_e32 v0, v40
	s_delay_alu instid0(VALU_DEP_2) | instskip(SKIP_3) | instid1(SALU_CYCLE_1)
	v_mov_b32_e32 v1, v44
	s_getpc_b64 s[0:1]
	s_add_u32 s0, s0, _ZN12_GLOBAL__N_111calc_igammaIfEET_S1_S1_@rel32@lo+4
	s_addc_u32 s1, s1, _ZN12_GLOBAL__N_111calc_igammaIfEET_S1_S1_@rel32@hi+12
	s_swappc_b64 s[30:31], s[0:1]
	v_mov_b32_e32 v43, v0
	s_cbranch_execz .LBB45_115
	s_branch .LBB45_116
.LBB45_114:
                                        ; implicit-def: $vgpr43
.LBB45_115:
	s_waitcnt vmcnt(0)
	v_mov_b32_e32 v0, v40
	s_delay_alu instid0(VALU_DEP_2) | instskip(SKIP_3) | instid1(SALU_CYCLE_1)
	v_mov_b32_e32 v1, v44
	s_getpc_b64 s[0:1]
	s_add_u32 s0, s0, _ZN12_GLOBAL__N_112calc_igammacIfEET_S1_S1_@rel32@lo+4
	s_addc_u32 s1, s1, _ZN12_GLOBAL__N_112calc_igammacIfEET_S1_S1_@rel32@hi+12
	s_swappc_b64 s[30:31], s[0:1]
	v_mov_b32_e32 v43, v0
.LBB45_116:
	global_load_u16 v0, v58, s[38:39]
	global_load_b32 v40, v59, s[42:43]
	s_and_b32 vcc_lo, exec_lo, s36
	s_waitcnt vmcnt(1)
	v_lshlrev_b32_e32 v45, 16, v0
	s_cbranch_vccz .LBB45_118
; %bb.117:
	s_waitcnt vmcnt(0)
	s_delay_alu instid0(VALU_DEP_1) | instskip(SKIP_3) | instid1(SALU_CYCLE_1)
	v_dual_mov_b32 v0, v40 :: v_dual_mov_b32 v1, v45
	s_getpc_b64 s[0:1]
	s_add_u32 s0, s0, _ZN12_GLOBAL__N_111calc_igammaIfEET_S1_S1_@rel32@lo+4
	s_addc_u32 s1, s1, _ZN12_GLOBAL__N_111calc_igammaIfEET_S1_S1_@rel32@hi+12
	s_swappc_b64 s[30:31], s[0:1]
	v_mov_b32_e32 v44, v0
	s_cbranch_execz .LBB45_119
	s_branch .LBB45_120
.LBB45_118:
                                        ; implicit-def: $vgpr44
.LBB45_119:
	s_waitcnt vmcnt(0)
	s_delay_alu instid0(VALU_DEP_1) | instskip(SKIP_3) | instid1(SALU_CYCLE_1)
	v_dual_mov_b32 v0, v40 :: v_dual_mov_b32 v1, v45
	s_getpc_b64 s[0:1]
	s_add_u32 s0, s0, _ZN12_GLOBAL__N_112calc_igammacIfEET_S1_S1_@rel32@lo+4
	s_addc_u32 s1, s1, _ZN12_GLOBAL__N_112calc_igammacIfEET_S1_S1_@rel32@hi+12
	s_swappc_b64 s[30:31], s[0:1]
	v_mov_b32_e32 v44, v0
.LBB45_120:
	global_load_u16 v0, v61, s[38:39]
	global_load_b32 v40, v62, s[42:43]
	s_and_b32 vcc_lo, exec_lo, s36
	s_waitcnt vmcnt(1)
	v_lshlrev_b32_e32 v45, 16, v0
	s_cbranch_vccz .LBB45_122
; %bb.121:
	s_waitcnt vmcnt(0)
	s_delay_alu instid0(VALU_DEP_1) | instskip(SKIP_3) | instid1(SALU_CYCLE_1)
	v_dual_mov_b32 v0, v40 :: v_dual_mov_b32 v1, v45
	s_getpc_b64 s[0:1]
	s_add_u32 s0, s0, _ZN12_GLOBAL__N_111calc_igammaIfEET_S1_S1_@rel32@lo+4
	s_addc_u32 s1, s1, _ZN12_GLOBAL__N_111calc_igammaIfEET_S1_S1_@rel32@hi+12
	s_swappc_b64 s[30:31], s[0:1]
	s_cbranch_execz .LBB45_123
	s_branch .LBB45_124
.LBB45_122:
                                        ; implicit-def: $vgpr0
.LBB45_123:
	s_waitcnt vmcnt(0)
	s_delay_alu instid0(VALU_DEP_1) | instskip(SKIP_3) | instid1(SALU_CYCLE_1)
	v_dual_mov_b32 v0, v40 :: v_dual_mov_b32 v1, v45
	s_getpc_b64 s[0:1]
	s_add_u32 s0, s0, _ZN12_GLOBAL__N_112calc_igammacIfEET_S1_S1_@rel32@lo+4
	s_addc_u32 s1, s1, _ZN12_GLOBAL__N_112calc_igammacIfEET_S1_S1_@rel32@hi+12
	s_swappc_b64 s[30:31], s[0:1]
.LBB45_124:
	s_clause 0x3
	global_store_b32 v46, v42, s[40:41]
	global_store_b32 v56, v43, s[40:41]
	;; [unrolled: 1-line block ×4, first 2 shown]
	s_endpgm
	.section	.rodata,"a",@progbits
	.p2align	6, 0x0
	.amdhsa_kernel _ZN2at6native32elementwise_kernel_manual_unrollILi128ELi4EZNS0_12_GLOBAL__N_142type_specialized_broadcast_kernel_launcherILi0EE5applyIN12_GLOBAL__N_110CalcIgammaIfEESt5arrayIPcLm3EES9_IN3c1010ScalarTypeELm3EE16OffsetCalculatorILi3EjLb0EEEEvlT_T0_T1_T2_EUlibE_EEviSJ_
		.amdhsa_group_segment_fixed_size 0
		.amdhsa_private_segment_fixed_size 144
		.amdhsa_kernarg_size 432
		.amdhsa_user_sgpr_count 15
		.amdhsa_user_sgpr_dispatch_ptr 0
		.amdhsa_user_sgpr_queue_ptr 0
		.amdhsa_user_sgpr_kernarg_segment_ptr 1
		.amdhsa_user_sgpr_dispatch_id 0
		.amdhsa_user_sgpr_private_segment_size 0
		.amdhsa_wavefront_size32 1
		.amdhsa_uses_dynamic_stack 0
		.amdhsa_enable_private_segment 1
		.amdhsa_system_sgpr_workgroup_id_x 1
		.amdhsa_system_sgpr_workgroup_id_y 0
		.amdhsa_system_sgpr_workgroup_id_z 0
		.amdhsa_system_sgpr_workgroup_info 0
		.amdhsa_system_vgpr_workitem_id 0
		.amdhsa_next_free_vgpr 66
		.amdhsa_next_free_sgpr 66
		.amdhsa_reserve_vcc 1
		.amdhsa_float_round_mode_32 0
		.amdhsa_float_round_mode_16_64 0
		.amdhsa_float_denorm_mode_32 3
		.amdhsa_float_denorm_mode_16_64 3
		.amdhsa_dx10_clamp 1
		.amdhsa_ieee_mode 1
		.amdhsa_fp16_overflow 0
		.amdhsa_workgroup_processor_mode 1
		.amdhsa_memory_ordered 1
		.amdhsa_forward_progress 0
		.amdhsa_shared_vgpr_count 0
		.amdhsa_exception_fp_ieee_invalid_op 0
		.amdhsa_exception_fp_denorm_src 0
		.amdhsa_exception_fp_ieee_div_zero 0
		.amdhsa_exception_fp_ieee_overflow 0
		.amdhsa_exception_fp_ieee_underflow 0
		.amdhsa_exception_fp_ieee_inexact 0
		.amdhsa_exception_int_div_zero 0
	.end_amdhsa_kernel
	.section	.text._ZN2at6native32elementwise_kernel_manual_unrollILi128ELi4EZNS0_12_GLOBAL__N_142type_specialized_broadcast_kernel_launcherILi0EE5applyIN12_GLOBAL__N_110CalcIgammaIfEESt5arrayIPcLm3EES9_IN3c1010ScalarTypeELm3EE16OffsetCalculatorILi3EjLb0EEEEvlT_T0_T1_T2_EUlibE_EEviSJ_,"axG",@progbits,_ZN2at6native32elementwise_kernel_manual_unrollILi128ELi4EZNS0_12_GLOBAL__N_142type_specialized_broadcast_kernel_launcherILi0EE5applyIN12_GLOBAL__N_110CalcIgammaIfEESt5arrayIPcLm3EES9_IN3c1010ScalarTypeELm3EE16OffsetCalculatorILi3EjLb0EEEEvlT_T0_T1_T2_EUlibE_EEviSJ_,comdat
.Lfunc_end45:
	.size	_ZN2at6native32elementwise_kernel_manual_unrollILi128ELi4EZNS0_12_GLOBAL__N_142type_specialized_broadcast_kernel_launcherILi0EE5applyIN12_GLOBAL__N_110CalcIgammaIfEESt5arrayIPcLm3EES9_IN3c1010ScalarTypeELm3EE16OffsetCalculatorILi3EjLb0EEEEvlT_T0_T1_T2_EUlibE_EEviSJ_, .Lfunc_end45-_ZN2at6native32elementwise_kernel_manual_unrollILi128ELi4EZNS0_12_GLOBAL__N_142type_specialized_broadcast_kernel_launcherILi0EE5applyIN12_GLOBAL__N_110CalcIgammaIfEESt5arrayIPcLm3EES9_IN3c1010ScalarTypeELm3EE16OffsetCalculatorILi3EjLb0EEEEvlT_T0_T1_T2_EUlibE_EEviSJ_
                                        ; -- End function
	.section	.AMDGPU.csdata,"",@progbits
; Kernel info:
; codeLenInByte = 6620
; NumSgprs: 68
; NumVgprs: 66
; ScratchSize: 144
; MemoryBound: 0
; FloatMode: 240
; IeeeMode: 1
; LDSByteSize: 0 bytes/workgroup (compile time only)
; SGPRBlocks: 8
; VGPRBlocks: 8
; NumSGPRsForWavesPerEU: 68
; NumVGPRsForWavesPerEU: 66
; Occupancy: 16
; WaveLimiterHint : 1
; COMPUTE_PGM_RSRC2:SCRATCH_EN: 1
; COMPUTE_PGM_RSRC2:USER_SGPR: 15
; COMPUTE_PGM_RSRC2:TRAP_HANDLER: 0
; COMPUTE_PGM_RSRC2:TGID_X_EN: 1
; COMPUTE_PGM_RSRC2:TGID_Y_EN: 0
; COMPUTE_PGM_RSRC2:TGID_Z_EN: 0
; COMPUTE_PGM_RSRC2:TIDIG_COMP_CNT: 0
	.section	.text._ZN2at6native32elementwise_kernel_manual_unrollILi128ELi4EZNS0_12_GLOBAL__N_142type_specialized_broadcast_kernel_launcherILi1EE5applyIN12_GLOBAL__N_110CalcIgammaIfEESt5arrayIPcLm3EES9_IN3c1010ScalarTypeELm3EE16OffsetCalculatorILi3EjLb0EEEEvlT_T0_T1_T2_EUlibE_EEviSJ_,"axG",@progbits,_ZN2at6native32elementwise_kernel_manual_unrollILi128ELi4EZNS0_12_GLOBAL__N_142type_specialized_broadcast_kernel_launcherILi1EE5applyIN12_GLOBAL__N_110CalcIgammaIfEESt5arrayIPcLm3EES9_IN3c1010ScalarTypeELm3EE16OffsetCalculatorILi3EjLb0EEEEvlT_T0_T1_T2_EUlibE_EEviSJ_,comdat
	.globl	_ZN2at6native32elementwise_kernel_manual_unrollILi128ELi4EZNS0_12_GLOBAL__N_142type_specialized_broadcast_kernel_launcherILi1EE5applyIN12_GLOBAL__N_110CalcIgammaIfEESt5arrayIPcLm3EES9_IN3c1010ScalarTypeELm3EE16OffsetCalculatorILi3EjLb0EEEEvlT_T0_T1_T2_EUlibE_EEviSJ_ ; -- Begin function _ZN2at6native32elementwise_kernel_manual_unrollILi128ELi4EZNS0_12_GLOBAL__N_142type_specialized_broadcast_kernel_launcherILi1EE5applyIN12_GLOBAL__N_110CalcIgammaIfEESt5arrayIPcLm3EES9_IN3c1010ScalarTypeELm3EE16OffsetCalculatorILi3EjLb0EEEEvlT_T0_T1_T2_EUlibE_EEviSJ_
	.p2align	8
	.type	_ZN2at6native32elementwise_kernel_manual_unrollILi128ELi4EZNS0_12_GLOBAL__N_142type_specialized_broadcast_kernel_launcherILi1EE5applyIN12_GLOBAL__N_110CalcIgammaIfEESt5arrayIPcLm3EES9_IN3c1010ScalarTypeELm3EE16OffsetCalculatorILi3EjLb0EEEEvlT_T0_T1_T2_EUlibE_EEviSJ_,@function
_ZN2at6native32elementwise_kernel_manual_unrollILi128ELi4EZNS0_12_GLOBAL__N_142type_specialized_broadcast_kernel_launcherILi1EE5applyIN12_GLOBAL__N_110CalcIgammaIfEESt5arrayIPcLm3EES9_IN3c1010ScalarTypeELm3EE16OffsetCalculatorILi3EjLb0EEEEvlT_T0_T1_T2_EUlibE_EEviSJ_: ; @_ZN2at6native32elementwise_kernel_manual_unrollILi128ELi4EZNS0_12_GLOBAL__N_142type_specialized_broadcast_kernel_launcherILi1EE5applyIN12_GLOBAL__N_110CalcIgammaIfEESt5arrayIPcLm3EES9_IN3c1010ScalarTypeELm3EE16OffsetCalculatorILi3EjLb0EEEEvlT_T0_T1_T2_EUlibE_EEviSJ_
; %bb.0:
	s_clause 0x1
	s_load_b32 s56, s[0:1], 0x8
	s_load_b32 s63, s[0:1], 0x0
	v_lshl_or_b32 v47, s15, 9, v0
	s_mov_b64 s[36:37], s[0:1]
	s_mov_b32 s32, 0
	s_or_b32 s36, s36, 8
	s_mov_b32 s0, exec_lo
	v_or_b32_e32 v2, 0x180, v47
	s_waitcnt lgkmcnt(0)
	s_add_i32 s57, s56, -1
	s_delay_alu instid0(SALU_CYCLE_1)
	s_cmp_gt_u32 s57, 1
	s_cselect_b32 s58, -1, 0
	v_cmpx_le_i32_e64 s63, v2
	s_xor_b32 s59, exec_lo, s0
	s_cbranch_execz .LBB46_66
; %bb.1:
	s_clause 0x6
	s_load_b32 s0, s[36:37], 0x1a0
	s_load_b128 s[48:51], s[36:37], 0x4
	s_load_b64 s[54:55], s[36:37], 0x14
	s_load_b128 s[44:47], s[36:37], 0xc4
	s_load_b64 s[52:53], s[36:37], 0xd4
	s_load_b64 s[38:39], s[36:37], 0x198
	s_load_b128 s[40:43], s[36:37], 0x188
	s_cmp_lg_u32 s56, 0
	s_mov_b32 s65, exec_lo
	s_cselect_b32 s64, -1, 0
	s_min_u32 s62, s57, 15
	s_cmp_gt_u32 s56, 1
	s_cselect_b32 s61, -1, 0
	s_waitcnt lgkmcnt(0)
	s_bitcmp1_b32 s0, 0
	s_cselect_b32 s0, -1, 0
	s_delay_alu instid0(SALU_CYCLE_1)
	s_xor_b32 s60, s0, -1
	v_cmpx_gt_i32_e64 s63, v47
	s_cbranch_execnz .LBB46_5
; %bb.2:
	s_or_b32 exec_lo, exec_lo, s65
	s_delay_alu instid0(SALU_CYCLE_1)
	s_mov_b32 s65, exec_lo
	v_cmpx_gt_i32_e64 s63, v47
	s_cbranch_execnz .LBB46_20
.LBB46_3:
	s_or_b32 exec_lo, exec_lo, s65
	s_delay_alu instid0(SALU_CYCLE_1)
	s_mov_b32 s65, exec_lo
	v_cmpx_gt_i32_e64 s63, v47
	s_cbranch_execnz .LBB46_35
.LBB46_4:
	s_or_b32 exec_lo, exec_lo, s65
	v_cmp_gt_i32_e32 vcc_lo, s63, v47
	s_and_saveexec_b32 s63, vcc_lo
	s_cbranch_execnz .LBB46_50
	s_branch .LBB46_65
.LBB46_5:
	s_and_not1_b32 vcc_lo, exec_lo, s58
	s_cbranch_vccnz .LBB46_11
; %bb.6:
	v_dual_mov_b32 v43, 0 :: v_dual_mov_b32 v0, 0
	v_mov_b32_e32 v1, 0
	s_and_not1_b32 vcc_lo, exec_lo, s64
	s_mov_b32 s2, 0
	s_cbranch_vccnz .LBB46_12
; %bb.7:
	s_add_i32 s0, s62, 1
	v_dual_mov_b32 v0, 0 :: v_dual_mov_b32 v1, 0
	v_dual_mov_b32 v43, 0 :: v_dual_mov_b32 v2, v47
	s_and_b32 s3, s0, 30
	s_add_u32 s0, s36, 0xffffffec
	s_addc_u32 s1, s37, -1
	s_set_inst_prefetch_distance 0x1
	.p2align	6
.LBB46_8:                               ; =>This Inner Loop Header: Depth=1
	s_clause 0x2
	s_load_b128 s[4:7], s[0:1], 0x18
	s_load_b64 s[12:13], s[0:1], 0x28
	s_load_b128 s[8:11], s[0:1], 0xd8
	s_waitcnt lgkmcnt(0)
	v_mul_hi_u32 v3, s5, v2
	s_delay_alu instid0(VALU_DEP_1) | instskip(NEXT) | instid1(VALU_DEP_1)
	v_add_nc_u32_e32 v3, v2, v3
	v_lshrrev_b32_e32 v3, s6, v3
	s_delay_alu instid0(VALU_DEP_1)
	v_mul_hi_u32 v4, s12, v3
	v_mul_lo_u32 v5, v3, s4
	s_load_b64 s[4:5], s[0:1], 0xe8
	s_add_u32 s0, s0, 24
	s_addc_u32 s1, s1, 0
	s_add_i32 s3, s3, -2
	s_delay_alu instid0(SALU_CYCLE_1) | instskip(NEXT) | instid1(VALU_DEP_2)
	s_cmp_lg_u32 s3, 0
	v_add_nc_u32_e32 v4, v3, v4
	s_delay_alu instid0(VALU_DEP_2) | instskip(NEXT) | instid1(VALU_DEP_2)
	v_sub_nc_u32_e32 v5, v2, v5
	v_lshrrev_b32_e32 v2, s13, v4
	s_delay_alu instid0(VALU_DEP_2) | instskip(NEXT) | instid1(VALU_DEP_2)
	v_mul_lo_u32 v6, v5, s8
	v_mul_lo_u32 v4, v2, s7
	s_delay_alu instid0(VALU_DEP_1) | instskip(SKIP_2) | instid1(VALU_DEP_3)
	v_sub_nc_u32_e32 v3, v3, v4
	v_mul_lo_u32 v4, v5, s9
	v_mul_lo_u32 v5, v5, s10
	;; [unrolled: 1-line block ×3, first 2 shown]
	s_waitcnt lgkmcnt(0)
	v_mul_lo_u32 v8, v3, s4
	v_mul_lo_u32 v3, v3, s5
	s_delay_alu instid0(VALU_DEP_3) | instskip(NEXT) | instid1(VALU_DEP_3)
	v_add3_u32 v43, v6, v43, v7
	v_add3_u32 v1, v4, v1, v8
	s_delay_alu instid0(VALU_DEP_3)
	v_add3_u32 v0, v5, v0, v3
	s_cbranch_scc1 .LBB46_8
; %bb.9:
	s_set_inst_prefetch_distance 0x2
	s_bitcmp1_b32 s62, 0
	s_cselect_b32 s3, -1, 0
	s_delay_alu instid0(SALU_CYCLE_1)
	s_and_b32 vcc_lo, exec_lo, s3
	s_cbranch_vccnz .LBB46_12
; %bb.10:
	s_clause 0x3
	s_load_b64 s[4:5], s[0:1], 0x18
	s_load_b32 s3, s[0:1], 0x20
	s_load_b64 s[6:7], s[0:1], 0xd8
	s_load_b32 s0, s[0:1], 0xe0
	s_waitcnt lgkmcnt(0)
	v_mul_hi_u32 v3, s5, v2
	s_delay_alu instid0(VALU_DEP_1) | instskip(NEXT) | instid1(VALU_DEP_1)
	v_add_nc_u32_e32 v3, v2, v3
	v_lshrrev_b32_e32 v3, s3, v3
	s_delay_alu instid0(VALU_DEP_1) | instskip(NEXT) | instid1(VALU_DEP_1)
	v_mul_lo_u32 v3, v3, s4
	v_sub_nc_u32_e32 v6, v2, v3
	s_delay_alu instid0(VALU_DEP_1) | instskip(NEXT) | instid1(VALU_DEP_1)
	v_mad_u64_u32 v[2:3], null, v6, s6, v[43:44]
	v_mad_u64_u32 v[3:4], null, v6, s7, v[1:2]
	;; [unrolled: 1-line block ×3, first 2 shown]
	v_mov_b32_e32 v43, v2
	s_delay_alu instid0(VALU_DEP_2)
	v_dual_mov_b32 v1, v3 :: v_dual_mov_b32 v0, v4
	s_branch .LBB46_12
.LBB46_11:
	s_mov_b32 s2, -1
                                        ; implicit-def: $vgpr43
                                        ; implicit-def: $vgpr1
                                        ; implicit-def: $vgpr0
.LBB46_12:
	s_delay_alu instid0(SALU_CYCLE_1)
	s_and_not1_b32 vcc_lo, exec_lo, s2
	s_cbranch_vccnz .LBB46_15
; %bb.13:
	v_mul_hi_u32 v0, s49, v47
	s_and_not1_b32 vcc_lo, exec_lo, s61
	s_delay_alu instid0(VALU_DEP_1) | instskip(NEXT) | instid1(VALU_DEP_1)
	v_add_nc_u32_e32 v0, v47, v0
	v_lshrrev_b32_e32 v2, s50, v0
	s_delay_alu instid0(VALU_DEP_1) | instskip(NEXT) | instid1(VALU_DEP_1)
	v_mul_lo_u32 v0, v2, s48
	v_sub_nc_u32_e32 v0, v47, v0
	s_delay_alu instid0(VALU_DEP_1)
	v_mul_lo_u32 v43, v0, s44
	v_mul_lo_u32 v1, v0, s45
	;; [unrolled: 1-line block ×3, first 2 shown]
	s_cbranch_vccnz .LBB46_15
; %bb.14:
	v_mul_hi_u32 v3, s54, v2
	s_delay_alu instid0(VALU_DEP_1) | instskip(NEXT) | instid1(VALU_DEP_1)
	v_add_nc_u32_e32 v3, v2, v3
	v_lshrrev_b32_e32 v3, s55, v3
	s_delay_alu instid0(VALU_DEP_1) | instskip(NEXT) | instid1(VALU_DEP_1)
	v_mul_lo_u32 v3, v3, s51
	v_sub_nc_u32_e32 v6, v2, v3
	s_delay_alu instid0(VALU_DEP_1) | instskip(NEXT) | instid1(VALU_DEP_1)
	v_mad_u64_u32 v[2:3], null, v6, s47, v[43:44]
	v_mad_u64_u32 v[3:4], null, v6, s52, v[1:2]
	;; [unrolled: 1-line block ×3, first 2 shown]
	v_mov_b32_e32 v43, v2
	s_delay_alu instid0(VALU_DEP_2)
	v_dual_mov_b32 v1, v3 :: v_dual_mov_b32 v0, v4
.LBB46_15:
	global_load_u16 v1, v1, s[42:43]
	global_load_b32 v40, v0, s[38:39]
	s_and_b32 vcc_lo, exec_lo, s60
	s_waitcnt vmcnt(1)
	v_lshlrev_b32_e32 v42, 16, v1
	s_cbranch_vccz .LBB46_17
; %bb.16:
	s_waitcnt vmcnt(0)
	s_delay_alu instid0(VALU_DEP_1) | instskip(SKIP_3) | instid1(SALU_CYCLE_1)
	v_dual_mov_b32 v0, v42 :: v_dual_mov_b32 v1, v40
	s_getpc_b64 s[0:1]
	s_add_u32 s0, s0, _ZN12_GLOBAL__N_111calc_igammaIfEET_S1_S1_@rel32@lo+4
	s_addc_u32 s1, s1, _ZN12_GLOBAL__N_111calc_igammaIfEET_S1_S1_@rel32@hi+12
	s_swappc_b64 s[30:31], s[0:1]
	s_cbranch_execz .LBB46_18
	s_branch .LBB46_19
.LBB46_17:
                                        ; implicit-def: $vgpr0
.LBB46_18:
	s_waitcnt vmcnt(0)
	s_delay_alu instid0(VALU_DEP_1) | instskip(SKIP_3) | instid1(SALU_CYCLE_1)
	v_dual_mov_b32 v0, v42 :: v_dual_mov_b32 v1, v40
	s_getpc_b64 s[0:1]
	s_add_u32 s0, s0, _ZN12_GLOBAL__N_112calc_igammacIfEET_S1_S1_@rel32@lo+4
	s_addc_u32 s1, s1, _ZN12_GLOBAL__N_112calc_igammacIfEET_S1_S1_@rel32@hi+12
	s_swappc_b64 s[30:31], s[0:1]
.LBB46_19:
	v_add_nc_u32_e32 v47, 0x80, v47
	global_store_b32 v43, v0, s[40:41]
	s_or_b32 exec_lo, exec_lo, s65
	s_delay_alu instid0(SALU_CYCLE_1)
	s_mov_b32 s65, exec_lo
	v_cmpx_gt_i32_e64 s63, v47
	s_cbranch_execz .LBB46_3
.LBB46_20:
	s_and_not1_b32 vcc_lo, exec_lo, s58
	s_cbranch_vccnz .LBB46_26
; %bb.21:
	v_dual_mov_b32 v43, 0 :: v_dual_mov_b32 v0, 0
	v_mov_b32_e32 v1, 0
	s_and_not1_b32 vcc_lo, exec_lo, s64
	s_mov_b32 s2, 0
	s_cbranch_vccnz .LBB46_27
; %bb.22:
	s_add_i32 s0, s62, 1
	v_dual_mov_b32 v0, 0 :: v_dual_mov_b32 v1, 0
	v_dual_mov_b32 v43, 0 :: v_dual_mov_b32 v2, v47
	s_and_b32 s3, s0, 30
	s_add_u32 s0, s36, 0xffffffec
	s_addc_u32 s1, s37, -1
	s_set_inst_prefetch_distance 0x1
	.p2align	6
.LBB46_23:                              ; =>This Inner Loop Header: Depth=1
	s_clause 0x2
	s_load_b128 s[4:7], s[0:1], 0x18
	s_load_b64 s[12:13], s[0:1], 0x28
	s_load_b128 s[8:11], s[0:1], 0xd8
	s_waitcnt lgkmcnt(0)
	v_mul_hi_u32 v3, s5, v2
	s_delay_alu instid0(VALU_DEP_1) | instskip(NEXT) | instid1(VALU_DEP_1)
	v_add_nc_u32_e32 v3, v2, v3
	v_lshrrev_b32_e32 v3, s6, v3
	s_delay_alu instid0(VALU_DEP_1)
	v_mul_hi_u32 v4, s12, v3
	v_mul_lo_u32 v5, v3, s4
	s_load_b64 s[4:5], s[0:1], 0xe8
	s_add_u32 s0, s0, 24
	s_addc_u32 s1, s1, 0
	s_add_i32 s3, s3, -2
	s_delay_alu instid0(SALU_CYCLE_1) | instskip(NEXT) | instid1(VALU_DEP_2)
	s_cmp_eq_u32 s3, 0
	v_add_nc_u32_e32 v4, v3, v4
	s_delay_alu instid0(VALU_DEP_2) | instskip(NEXT) | instid1(VALU_DEP_2)
	v_sub_nc_u32_e32 v5, v2, v5
	v_lshrrev_b32_e32 v2, s13, v4
	s_delay_alu instid0(VALU_DEP_2) | instskip(NEXT) | instid1(VALU_DEP_2)
	v_mul_lo_u32 v6, v5, s8
	v_mul_lo_u32 v4, v2, s7
	s_delay_alu instid0(VALU_DEP_1) | instskip(SKIP_2) | instid1(VALU_DEP_3)
	v_sub_nc_u32_e32 v3, v3, v4
	v_mul_lo_u32 v4, v5, s9
	v_mul_lo_u32 v5, v5, s10
	;; [unrolled: 1-line block ×3, first 2 shown]
	s_waitcnt lgkmcnt(0)
	v_mul_lo_u32 v8, v3, s4
	v_mul_lo_u32 v3, v3, s5
	s_delay_alu instid0(VALU_DEP_3) | instskip(NEXT) | instid1(VALU_DEP_3)
	v_add3_u32 v43, v6, v43, v7
	v_add3_u32 v1, v4, v1, v8
	s_delay_alu instid0(VALU_DEP_3)
	v_add3_u32 v0, v5, v0, v3
	s_cbranch_scc0 .LBB46_23
; %bb.24:
	s_set_inst_prefetch_distance 0x2
	s_bitcmp1_b32 s62, 0
	s_cselect_b32 s3, -1, 0
	s_delay_alu instid0(SALU_CYCLE_1)
	s_and_b32 vcc_lo, exec_lo, s3
	s_cbranch_vccnz .LBB46_27
; %bb.25:
	s_clause 0x3
	s_load_b64 s[4:5], s[0:1], 0x18
	s_load_b32 s3, s[0:1], 0x20
	s_load_b64 s[6:7], s[0:1], 0xd8
	s_load_b32 s0, s[0:1], 0xe0
	s_waitcnt lgkmcnt(0)
	v_mul_hi_u32 v3, s5, v2
	s_delay_alu instid0(VALU_DEP_1) | instskip(NEXT) | instid1(VALU_DEP_1)
	v_add_nc_u32_e32 v3, v2, v3
	v_lshrrev_b32_e32 v3, s3, v3
	s_delay_alu instid0(VALU_DEP_1) | instskip(NEXT) | instid1(VALU_DEP_1)
	v_mul_lo_u32 v3, v3, s4
	v_sub_nc_u32_e32 v6, v2, v3
	s_delay_alu instid0(VALU_DEP_1) | instskip(NEXT) | instid1(VALU_DEP_1)
	v_mad_u64_u32 v[2:3], null, v6, s6, v[43:44]
	v_mad_u64_u32 v[3:4], null, v6, s7, v[1:2]
	;; [unrolled: 1-line block ×3, first 2 shown]
	v_mov_b32_e32 v43, v2
	s_delay_alu instid0(VALU_DEP_2)
	v_dual_mov_b32 v1, v3 :: v_dual_mov_b32 v0, v4
	s_branch .LBB46_27
.LBB46_26:
	s_mov_b32 s2, -1
                                        ; implicit-def: $vgpr43
                                        ; implicit-def: $vgpr1
                                        ; implicit-def: $vgpr0
.LBB46_27:
	s_delay_alu instid0(SALU_CYCLE_1)
	s_and_not1_b32 vcc_lo, exec_lo, s2
	s_cbranch_vccnz .LBB46_30
; %bb.28:
	v_mul_hi_u32 v0, s49, v47
	s_and_not1_b32 vcc_lo, exec_lo, s61
	s_delay_alu instid0(VALU_DEP_1) | instskip(NEXT) | instid1(VALU_DEP_1)
	v_add_nc_u32_e32 v0, v47, v0
	v_lshrrev_b32_e32 v2, s50, v0
	s_delay_alu instid0(VALU_DEP_1) | instskip(NEXT) | instid1(VALU_DEP_1)
	v_mul_lo_u32 v0, v2, s48
	v_sub_nc_u32_e32 v0, v47, v0
	s_delay_alu instid0(VALU_DEP_1)
	v_mul_lo_u32 v43, v0, s44
	v_mul_lo_u32 v1, v0, s45
	v_mul_lo_u32 v0, v0, s46
	s_cbranch_vccnz .LBB46_30
; %bb.29:
	v_mul_hi_u32 v3, s54, v2
	s_delay_alu instid0(VALU_DEP_1) | instskip(NEXT) | instid1(VALU_DEP_1)
	v_add_nc_u32_e32 v3, v2, v3
	v_lshrrev_b32_e32 v3, s55, v3
	s_delay_alu instid0(VALU_DEP_1) | instskip(NEXT) | instid1(VALU_DEP_1)
	v_mul_lo_u32 v3, v3, s51
	v_sub_nc_u32_e32 v6, v2, v3
	s_delay_alu instid0(VALU_DEP_1) | instskip(NEXT) | instid1(VALU_DEP_1)
	v_mad_u64_u32 v[2:3], null, v6, s47, v[43:44]
	v_mad_u64_u32 v[3:4], null, v6, s52, v[1:2]
	;; [unrolled: 1-line block ×3, first 2 shown]
	v_mov_b32_e32 v43, v2
	s_delay_alu instid0(VALU_DEP_2)
	v_dual_mov_b32 v1, v3 :: v_dual_mov_b32 v0, v4
.LBB46_30:
	global_load_u16 v1, v1, s[42:43]
	global_load_b32 v40, v0, s[38:39]
	s_and_not1_b32 vcc_lo, exec_lo, s60
	s_waitcnt vmcnt(1)
	v_lshlrev_b32_e32 v42, 16, v1
	s_cbranch_vccnz .LBB46_32
; %bb.31:
	s_waitcnt vmcnt(0)
	s_delay_alu instid0(VALU_DEP_1) | instskip(SKIP_3) | instid1(SALU_CYCLE_1)
	v_dual_mov_b32 v0, v42 :: v_dual_mov_b32 v1, v40
	s_getpc_b64 s[0:1]
	s_add_u32 s0, s0, _ZN12_GLOBAL__N_111calc_igammaIfEET_S1_S1_@rel32@lo+4
	s_addc_u32 s1, s1, _ZN12_GLOBAL__N_111calc_igammaIfEET_S1_S1_@rel32@hi+12
	s_swappc_b64 s[30:31], s[0:1]
	s_cbranch_execz .LBB46_33
	s_branch .LBB46_34
.LBB46_32:
                                        ; implicit-def: $vgpr0
.LBB46_33:
	s_waitcnt vmcnt(0)
	s_delay_alu instid0(VALU_DEP_1) | instskip(SKIP_3) | instid1(SALU_CYCLE_1)
	v_dual_mov_b32 v0, v42 :: v_dual_mov_b32 v1, v40
	s_getpc_b64 s[0:1]
	s_add_u32 s0, s0, _ZN12_GLOBAL__N_112calc_igammacIfEET_S1_S1_@rel32@lo+4
	s_addc_u32 s1, s1, _ZN12_GLOBAL__N_112calc_igammacIfEET_S1_S1_@rel32@hi+12
	s_swappc_b64 s[30:31], s[0:1]
.LBB46_34:
	v_add_nc_u32_e32 v47, 0x80, v47
	global_store_b32 v43, v0, s[40:41]
	s_or_b32 exec_lo, exec_lo, s65
	s_delay_alu instid0(SALU_CYCLE_1)
	s_mov_b32 s65, exec_lo
	v_cmpx_gt_i32_e64 s63, v47
	s_cbranch_execz .LBB46_4
.LBB46_35:
	s_and_not1_b32 vcc_lo, exec_lo, s58
	s_cbranch_vccnz .LBB46_41
; %bb.36:
	v_dual_mov_b32 v43, 0 :: v_dual_mov_b32 v0, 0
	v_mov_b32_e32 v1, 0
	s_and_not1_b32 vcc_lo, exec_lo, s64
	s_mov_b32 s2, 0
	s_cbranch_vccnz .LBB46_42
; %bb.37:
	s_add_i32 s0, s62, 1
	v_dual_mov_b32 v0, 0 :: v_dual_mov_b32 v1, 0
	v_dual_mov_b32 v43, 0 :: v_dual_mov_b32 v2, v47
	s_and_b32 s3, s0, 30
	s_add_u32 s0, s36, 0xffffffec
	s_addc_u32 s1, s37, -1
	s_set_inst_prefetch_distance 0x1
	.p2align	6
.LBB46_38:                              ; =>This Inner Loop Header: Depth=1
	s_clause 0x2
	s_load_b128 s[4:7], s[0:1], 0x18
	s_load_b64 s[12:13], s[0:1], 0x28
	s_load_b128 s[8:11], s[0:1], 0xd8
	s_waitcnt lgkmcnt(0)
	v_mul_hi_u32 v3, s5, v2
	s_delay_alu instid0(VALU_DEP_1) | instskip(NEXT) | instid1(VALU_DEP_1)
	v_add_nc_u32_e32 v3, v2, v3
	v_lshrrev_b32_e32 v3, s6, v3
	s_delay_alu instid0(VALU_DEP_1)
	v_mul_hi_u32 v4, s12, v3
	v_mul_lo_u32 v5, v3, s4
	s_load_b64 s[4:5], s[0:1], 0xe8
	s_add_u32 s0, s0, 24
	s_addc_u32 s1, s1, 0
	s_add_i32 s3, s3, -2
	s_delay_alu instid0(SALU_CYCLE_1) | instskip(NEXT) | instid1(VALU_DEP_2)
	s_cmp_eq_u32 s3, 0
	v_add_nc_u32_e32 v4, v3, v4
	s_delay_alu instid0(VALU_DEP_2) | instskip(NEXT) | instid1(VALU_DEP_2)
	v_sub_nc_u32_e32 v5, v2, v5
	v_lshrrev_b32_e32 v2, s13, v4
	s_delay_alu instid0(VALU_DEP_2) | instskip(NEXT) | instid1(VALU_DEP_2)
	v_mul_lo_u32 v6, v5, s8
	v_mul_lo_u32 v4, v2, s7
	s_delay_alu instid0(VALU_DEP_1) | instskip(SKIP_2) | instid1(VALU_DEP_3)
	v_sub_nc_u32_e32 v3, v3, v4
	v_mul_lo_u32 v4, v5, s9
	v_mul_lo_u32 v5, v5, s10
	v_mul_lo_u32 v7, v3, s11
	s_waitcnt lgkmcnt(0)
	v_mul_lo_u32 v8, v3, s4
	v_mul_lo_u32 v3, v3, s5
	s_delay_alu instid0(VALU_DEP_3) | instskip(NEXT) | instid1(VALU_DEP_3)
	v_add3_u32 v43, v6, v43, v7
	v_add3_u32 v1, v4, v1, v8
	s_delay_alu instid0(VALU_DEP_3)
	v_add3_u32 v0, v5, v0, v3
	s_cbranch_scc0 .LBB46_38
; %bb.39:
	s_set_inst_prefetch_distance 0x2
	s_bitcmp1_b32 s62, 0
	s_cselect_b32 s3, -1, 0
	s_delay_alu instid0(SALU_CYCLE_1)
	s_and_b32 vcc_lo, exec_lo, s3
	s_cbranch_vccnz .LBB46_42
; %bb.40:
	s_clause 0x3
	s_load_b64 s[4:5], s[0:1], 0x18
	s_load_b32 s3, s[0:1], 0x20
	s_load_b64 s[6:7], s[0:1], 0xd8
	s_load_b32 s0, s[0:1], 0xe0
	s_waitcnt lgkmcnt(0)
	v_mul_hi_u32 v3, s5, v2
	s_delay_alu instid0(VALU_DEP_1) | instskip(NEXT) | instid1(VALU_DEP_1)
	v_add_nc_u32_e32 v3, v2, v3
	v_lshrrev_b32_e32 v3, s3, v3
	s_delay_alu instid0(VALU_DEP_1) | instskip(NEXT) | instid1(VALU_DEP_1)
	v_mul_lo_u32 v3, v3, s4
	v_sub_nc_u32_e32 v6, v2, v3
	s_delay_alu instid0(VALU_DEP_1) | instskip(NEXT) | instid1(VALU_DEP_1)
	v_mad_u64_u32 v[2:3], null, v6, s6, v[43:44]
	v_mad_u64_u32 v[3:4], null, v6, s7, v[1:2]
	;; [unrolled: 1-line block ×3, first 2 shown]
	v_mov_b32_e32 v43, v2
	s_delay_alu instid0(VALU_DEP_2)
	v_dual_mov_b32 v1, v3 :: v_dual_mov_b32 v0, v4
	s_branch .LBB46_42
.LBB46_41:
	s_mov_b32 s2, -1
                                        ; implicit-def: $vgpr43
                                        ; implicit-def: $vgpr1
                                        ; implicit-def: $vgpr0
.LBB46_42:
	s_delay_alu instid0(SALU_CYCLE_1)
	s_and_not1_b32 vcc_lo, exec_lo, s2
	s_cbranch_vccnz .LBB46_45
; %bb.43:
	v_mul_hi_u32 v0, s49, v47
	s_and_not1_b32 vcc_lo, exec_lo, s61
	s_delay_alu instid0(VALU_DEP_1) | instskip(NEXT) | instid1(VALU_DEP_1)
	v_add_nc_u32_e32 v0, v47, v0
	v_lshrrev_b32_e32 v2, s50, v0
	s_delay_alu instid0(VALU_DEP_1) | instskip(NEXT) | instid1(VALU_DEP_1)
	v_mul_lo_u32 v0, v2, s48
	v_sub_nc_u32_e32 v0, v47, v0
	s_delay_alu instid0(VALU_DEP_1)
	v_mul_lo_u32 v43, v0, s44
	v_mul_lo_u32 v1, v0, s45
	;; [unrolled: 1-line block ×3, first 2 shown]
	s_cbranch_vccnz .LBB46_45
; %bb.44:
	v_mul_hi_u32 v3, s54, v2
	s_delay_alu instid0(VALU_DEP_1) | instskip(NEXT) | instid1(VALU_DEP_1)
	v_add_nc_u32_e32 v3, v2, v3
	v_lshrrev_b32_e32 v3, s55, v3
	s_delay_alu instid0(VALU_DEP_1) | instskip(NEXT) | instid1(VALU_DEP_1)
	v_mul_lo_u32 v3, v3, s51
	v_sub_nc_u32_e32 v6, v2, v3
	s_delay_alu instid0(VALU_DEP_1) | instskip(NEXT) | instid1(VALU_DEP_1)
	v_mad_u64_u32 v[2:3], null, v6, s47, v[43:44]
	v_mad_u64_u32 v[3:4], null, v6, s52, v[1:2]
	;; [unrolled: 1-line block ×3, first 2 shown]
	v_mov_b32_e32 v43, v2
	s_delay_alu instid0(VALU_DEP_2)
	v_dual_mov_b32 v1, v3 :: v_dual_mov_b32 v0, v4
.LBB46_45:
	global_load_u16 v1, v1, s[42:43]
	global_load_b32 v40, v0, s[38:39]
	s_and_not1_b32 vcc_lo, exec_lo, s60
	s_waitcnt vmcnt(1)
	v_lshlrev_b32_e32 v42, 16, v1
	s_cbranch_vccnz .LBB46_47
; %bb.46:
	s_waitcnt vmcnt(0)
	s_delay_alu instid0(VALU_DEP_1) | instskip(SKIP_3) | instid1(SALU_CYCLE_1)
	v_dual_mov_b32 v0, v42 :: v_dual_mov_b32 v1, v40
	s_getpc_b64 s[0:1]
	s_add_u32 s0, s0, _ZN12_GLOBAL__N_111calc_igammaIfEET_S1_S1_@rel32@lo+4
	s_addc_u32 s1, s1, _ZN12_GLOBAL__N_111calc_igammaIfEET_S1_S1_@rel32@hi+12
	s_swappc_b64 s[30:31], s[0:1]
	s_cbranch_execz .LBB46_48
	s_branch .LBB46_49
.LBB46_47:
                                        ; implicit-def: $vgpr0
.LBB46_48:
	s_waitcnt vmcnt(0)
	s_delay_alu instid0(VALU_DEP_1) | instskip(SKIP_3) | instid1(SALU_CYCLE_1)
	v_dual_mov_b32 v0, v42 :: v_dual_mov_b32 v1, v40
	s_getpc_b64 s[0:1]
	s_add_u32 s0, s0, _ZN12_GLOBAL__N_112calc_igammacIfEET_S1_S1_@rel32@lo+4
	s_addc_u32 s1, s1, _ZN12_GLOBAL__N_112calc_igammacIfEET_S1_S1_@rel32@hi+12
	s_swappc_b64 s[30:31], s[0:1]
.LBB46_49:
	v_add_nc_u32_e32 v47, 0x80, v47
	global_store_b32 v43, v0, s[40:41]
	s_or_b32 exec_lo, exec_lo, s65
	v_cmp_gt_i32_e32 vcc_lo, s63, v47
	s_and_saveexec_b32 s63, vcc_lo
	s_cbranch_execz .LBB46_65
.LBB46_50:
	s_and_not1_b32 vcc_lo, exec_lo, s58
	s_cbranch_vccnz .LBB46_56
; %bb.51:
	v_dual_mov_b32 v43, 0 :: v_dual_mov_b32 v0, 0
	v_mov_b32_e32 v1, 0
	s_and_not1_b32 vcc_lo, exec_lo, s64
	s_mov_b32 s2, 0
	s_cbranch_vccnz .LBB46_57
; %bb.52:
	s_add_i32 s0, s62, 1
	v_dual_mov_b32 v0, 0 :: v_dual_mov_b32 v1, 0
	v_dual_mov_b32 v43, 0 :: v_dual_mov_b32 v2, v47
	s_and_b32 s3, s0, 30
	s_add_u32 s0, s36, 0xffffffec
	s_addc_u32 s1, s37, -1
	s_set_inst_prefetch_distance 0x1
	.p2align	6
.LBB46_53:                              ; =>This Inner Loop Header: Depth=1
	s_clause 0x2
	s_load_b128 s[4:7], s[0:1], 0x18
	s_load_b64 s[12:13], s[0:1], 0x28
	s_load_b128 s[8:11], s[0:1], 0xd8
	s_waitcnt lgkmcnt(0)
	v_mul_hi_u32 v3, s5, v2
	s_delay_alu instid0(VALU_DEP_1) | instskip(NEXT) | instid1(VALU_DEP_1)
	v_add_nc_u32_e32 v3, v2, v3
	v_lshrrev_b32_e32 v3, s6, v3
	s_delay_alu instid0(VALU_DEP_1)
	v_mul_hi_u32 v4, s12, v3
	v_mul_lo_u32 v5, v3, s4
	s_load_b64 s[4:5], s[0:1], 0xe8
	s_add_u32 s0, s0, 24
	s_addc_u32 s1, s1, 0
	s_add_i32 s3, s3, -2
	s_delay_alu instid0(SALU_CYCLE_1) | instskip(NEXT) | instid1(VALU_DEP_2)
	s_cmp_eq_u32 s3, 0
	v_add_nc_u32_e32 v4, v3, v4
	s_delay_alu instid0(VALU_DEP_2) | instskip(NEXT) | instid1(VALU_DEP_2)
	v_sub_nc_u32_e32 v5, v2, v5
	v_lshrrev_b32_e32 v2, s13, v4
	s_delay_alu instid0(VALU_DEP_2) | instskip(NEXT) | instid1(VALU_DEP_2)
	v_mul_lo_u32 v6, v5, s8
	v_mul_lo_u32 v4, v2, s7
	s_delay_alu instid0(VALU_DEP_1) | instskip(SKIP_2) | instid1(VALU_DEP_3)
	v_sub_nc_u32_e32 v3, v3, v4
	v_mul_lo_u32 v4, v5, s9
	v_mul_lo_u32 v5, v5, s10
	;; [unrolled: 1-line block ×3, first 2 shown]
	s_waitcnt lgkmcnt(0)
	v_mul_lo_u32 v8, v3, s4
	v_mul_lo_u32 v3, v3, s5
	s_delay_alu instid0(VALU_DEP_3) | instskip(NEXT) | instid1(VALU_DEP_3)
	v_add3_u32 v43, v6, v43, v7
	v_add3_u32 v1, v4, v1, v8
	s_delay_alu instid0(VALU_DEP_3)
	v_add3_u32 v0, v5, v0, v3
	s_cbranch_scc0 .LBB46_53
; %bb.54:
	s_set_inst_prefetch_distance 0x2
	s_bitcmp1_b32 s62, 0
	s_cselect_b32 s3, -1, 0
	s_delay_alu instid0(SALU_CYCLE_1)
	s_and_b32 vcc_lo, exec_lo, s3
	s_cbranch_vccnz .LBB46_57
; %bb.55:
	s_clause 0x3
	s_load_b64 s[4:5], s[0:1], 0x18
	s_load_b32 s3, s[0:1], 0x20
	s_load_b64 s[6:7], s[0:1], 0xd8
	s_load_b32 s0, s[0:1], 0xe0
	s_waitcnt lgkmcnt(0)
	v_mul_hi_u32 v3, s5, v2
	s_delay_alu instid0(VALU_DEP_1) | instskip(NEXT) | instid1(VALU_DEP_1)
	v_add_nc_u32_e32 v3, v2, v3
	v_lshrrev_b32_e32 v3, s3, v3
	s_delay_alu instid0(VALU_DEP_1) | instskip(NEXT) | instid1(VALU_DEP_1)
	v_mul_lo_u32 v3, v3, s4
	v_sub_nc_u32_e32 v6, v2, v3
	s_delay_alu instid0(VALU_DEP_1) | instskip(NEXT) | instid1(VALU_DEP_1)
	v_mad_u64_u32 v[2:3], null, v6, s6, v[43:44]
	v_mad_u64_u32 v[3:4], null, v6, s7, v[1:2]
	;; [unrolled: 1-line block ×3, first 2 shown]
	v_mov_b32_e32 v43, v2
	s_delay_alu instid0(VALU_DEP_2)
	v_dual_mov_b32 v1, v3 :: v_dual_mov_b32 v0, v4
	s_branch .LBB46_57
.LBB46_56:
	s_mov_b32 s2, -1
                                        ; implicit-def: $vgpr43
                                        ; implicit-def: $vgpr1
                                        ; implicit-def: $vgpr0
.LBB46_57:
	s_delay_alu instid0(SALU_CYCLE_1)
	s_and_not1_b32 vcc_lo, exec_lo, s2
	s_cbranch_vccnz .LBB46_60
; %bb.58:
	v_mul_hi_u32 v0, s49, v47
	s_and_not1_b32 vcc_lo, exec_lo, s61
	s_delay_alu instid0(VALU_DEP_1) | instskip(NEXT) | instid1(VALU_DEP_1)
	v_add_nc_u32_e32 v0, v47, v0
	v_lshrrev_b32_e32 v2, s50, v0
	s_delay_alu instid0(VALU_DEP_1) | instskip(NEXT) | instid1(VALU_DEP_1)
	v_mul_lo_u32 v0, v2, s48
	v_sub_nc_u32_e32 v0, v47, v0
	s_delay_alu instid0(VALU_DEP_1)
	v_mul_lo_u32 v43, v0, s44
	v_mul_lo_u32 v1, v0, s45
	;; [unrolled: 1-line block ×3, first 2 shown]
	s_cbranch_vccnz .LBB46_60
; %bb.59:
	v_mul_hi_u32 v3, s54, v2
	s_delay_alu instid0(VALU_DEP_1) | instskip(NEXT) | instid1(VALU_DEP_1)
	v_add_nc_u32_e32 v3, v2, v3
	v_lshrrev_b32_e32 v3, s55, v3
	s_delay_alu instid0(VALU_DEP_1) | instskip(NEXT) | instid1(VALU_DEP_1)
	v_mul_lo_u32 v3, v3, s51
	v_sub_nc_u32_e32 v6, v2, v3
	s_delay_alu instid0(VALU_DEP_1) | instskip(NEXT) | instid1(VALU_DEP_1)
	v_mad_u64_u32 v[2:3], null, v6, s47, v[43:44]
	v_mad_u64_u32 v[3:4], null, v6, s52, v[1:2]
	;; [unrolled: 1-line block ×3, first 2 shown]
	v_mov_b32_e32 v43, v2
	s_delay_alu instid0(VALU_DEP_2)
	v_dual_mov_b32 v1, v3 :: v_dual_mov_b32 v0, v4
.LBB46_60:
	global_load_u16 v1, v1, s[42:43]
	global_load_b32 v40, v0, s[38:39]
	s_and_not1_b32 vcc_lo, exec_lo, s60
	s_waitcnt vmcnt(1)
	v_lshlrev_b32_e32 v42, 16, v1
	s_cbranch_vccnz .LBB46_62
; %bb.61:
	s_waitcnt vmcnt(0)
	s_delay_alu instid0(VALU_DEP_1) | instskip(SKIP_3) | instid1(SALU_CYCLE_1)
	v_dual_mov_b32 v0, v42 :: v_dual_mov_b32 v1, v40
	s_getpc_b64 s[0:1]
	s_add_u32 s0, s0, _ZN12_GLOBAL__N_111calc_igammaIfEET_S1_S1_@rel32@lo+4
	s_addc_u32 s1, s1, _ZN12_GLOBAL__N_111calc_igammaIfEET_S1_S1_@rel32@hi+12
	s_swappc_b64 s[30:31], s[0:1]
	s_cbranch_execz .LBB46_63
	s_branch .LBB46_64
.LBB46_62:
                                        ; implicit-def: $vgpr0
.LBB46_63:
	s_waitcnt vmcnt(0)
	s_delay_alu instid0(VALU_DEP_1) | instskip(SKIP_3) | instid1(SALU_CYCLE_1)
	v_dual_mov_b32 v0, v42 :: v_dual_mov_b32 v1, v40
	s_getpc_b64 s[0:1]
	s_add_u32 s0, s0, _ZN12_GLOBAL__N_112calc_igammacIfEET_S1_S1_@rel32@lo+4
	s_addc_u32 s1, s1, _ZN12_GLOBAL__N_112calc_igammacIfEET_S1_S1_@rel32@hi+12
	s_swappc_b64 s[30:31], s[0:1]
.LBB46_64:
	global_store_b32 v43, v0, s[40:41]
.LBB46_65:
	s_or_b32 exec_lo, exec_lo, s63
                                        ; implicit-def: $vgpr2
                                        ; implicit-def: $vgpr47
.LBB46_66:
	s_and_not1_saveexec_b32 s0, s59
	s_cbranch_execz .LBB46_73
; %bb.67:
	v_cndmask_b32_e64 v3, 0, 1, s58
	s_and_not1_b32 vcc_lo, exec_lo, s58
	s_cbranch_vccnz .LBB46_74
; %bb.68:
	v_dual_mov_b32 v46, 0 :: v_dual_mov_b32 v1, 0
	v_mov_b32_e32 v0, 0
	s_cmp_lg_u32 s56, 0
	s_mov_b32 s2, 0
	s_cbranch_scc0 .LBB46_75
; %bb.69:
	s_min_u32 s3, s57, 15
	v_dual_mov_b32 v0, 0 :: v_dual_mov_b32 v1, 0
	s_add_i32 s0, s3, 1
	v_mov_b32_e32 v46, 0
	v_mov_b32_e32 v4, v47
	s_and_b32 s4, s0, 30
	s_add_u32 s0, s36, 0xffffffec
	s_addc_u32 s1, s37, -1
	s_set_inst_prefetch_distance 0x1
	.p2align	6
.LBB46_70:                              ; =>This Inner Loop Header: Depth=1
	s_clause 0x2
	s_load_b128 s[8:11], s[0:1], 0x18
	s_load_b64 s[6:7], s[0:1], 0x28
	s_load_b128 s[12:15], s[0:1], 0xd8
	s_waitcnt lgkmcnt(0)
	v_mul_hi_u32 v5, s9, v4
	s_delay_alu instid0(VALU_DEP_1) | instskip(NEXT) | instid1(VALU_DEP_1)
	v_add_nc_u32_e32 v5, v4, v5
	v_lshrrev_b32_e32 v5, s10, v5
	s_delay_alu instid0(VALU_DEP_1)
	v_mul_hi_u32 v6, s6, v5
	v_mul_lo_u32 v7, v5, s8
	s_load_b64 s[8:9], s[0:1], 0xe8
	s_add_u32 s0, s0, 24
	s_addc_u32 s1, s1, 0
	s_add_i32 s4, s4, -2
	s_delay_alu instid0(SALU_CYCLE_1) | instskip(NEXT) | instid1(VALU_DEP_2)
	s_cmp_lg_u32 s4, 0
	v_add_nc_u32_e32 v6, v5, v6
	s_delay_alu instid0(VALU_DEP_2) | instskip(NEXT) | instid1(VALU_DEP_2)
	v_sub_nc_u32_e32 v7, v4, v7
	v_lshrrev_b32_e32 v4, s7, v6
	s_delay_alu instid0(VALU_DEP_2) | instskip(NEXT) | instid1(VALU_DEP_2)
	v_mul_lo_u32 v8, v7, s12
	v_mul_lo_u32 v6, v4, s11
	s_delay_alu instid0(VALU_DEP_1) | instskip(SKIP_2) | instid1(VALU_DEP_3)
	v_sub_nc_u32_e32 v5, v5, v6
	v_mul_lo_u32 v6, v7, s13
	v_mul_lo_u32 v7, v7, s14
	;; [unrolled: 1-line block ×3, first 2 shown]
	s_waitcnt lgkmcnt(0)
	v_mul_lo_u32 v10, v5, s8
	v_mul_lo_u32 v5, v5, s9
	s_delay_alu instid0(VALU_DEP_3) | instskip(NEXT) | instid1(VALU_DEP_3)
	v_add3_u32 v46, v8, v46, v9
	v_add3_u32 v1, v6, v1, v10
	s_delay_alu instid0(VALU_DEP_3)
	v_add3_u32 v0, v7, v0, v5
	s_cbranch_scc1 .LBB46_70
; %bb.71:
	s_set_inst_prefetch_distance 0x2
	s_bitcmp1_b32 s3, 0
	s_cselect_b32 s3, -1, 0
	s_delay_alu instid0(SALU_CYCLE_1)
	s_and_b32 vcc_lo, exec_lo, s3
	s_cbranch_vccnz .LBB46_75
; %bb.72:
	s_clause 0x3
	s_load_b64 s[4:5], s[0:1], 0x18
	s_load_b32 s3, s[0:1], 0x20
	s_load_b64 s[6:7], s[0:1], 0xd8
	s_load_b32 s0, s[0:1], 0xe0
	s_waitcnt lgkmcnt(0)
	v_mul_hi_u32 v5, s5, v4
	s_delay_alu instid0(VALU_DEP_1) | instskip(NEXT) | instid1(VALU_DEP_1)
	v_add_nc_u32_e32 v5, v4, v5
	v_lshrrev_b32_e32 v5, s3, v5
	s_delay_alu instid0(VALU_DEP_1) | instskip(NEXT) | instid1(VALU_DEP_1)
	v_mul_lo_u32 v5, v5, s4
	v_sub_nc_u32_e32 v8, v4, v5
	s_delay_alu instid0(VALU_DEP_1) | instskip(SKIP_2) | instid1(VALU_DEP_2)
	v_mad_u64_u32 v[4:5], null, v8, s6, v[46:47]
	v_mad_u64_u32 v[5:6], null, v8, s7, v[1:2]
	;; [unrolled: 1-line block ×3, first 2 shown]
	v_dual_mov_b32 v46, v4 :: v_dual_mov_b32 v1, v5
	s_delay_alu instid0(VALU_DEP_2)
	v_mov_b32_e32 v0, v6
	s_branch .LBB46_75
.LBB46_73:
	s_endpgm
.LBB46_74:
	s_mov_b32 s2, -1
                                        ; implicit-def: $vgpr46
                                        ; implicit-def: $vgpr1
                                        ; implicit-def: $vgpr0
.LBB46_75:
	s_delay_alu instid0(SALU_CYCLE_1)
	s_and_not1_b32 vcc_lo, exec_lo, s2
	s_cbranch_vccnz .LBB46_78
; %bb.76:
	s_clause 0x1
	s_load_b128 s[0:3], s[36:37], 0x4
	s_load_b128 s[4:7], s[36:37], 0xc4
	s_cmp_lt_u32 s56, 2
	s_waitcnt lgkmcnt(0)
	v_mul_hi_u32 v0, s1, v47
	s_delay_alu instid0(VALU_DEP_1) | instskip(NEXT) | instid1(VALU_DEP_1)
	v_add_nc_u32_e32 v0, v47, v0
	v_lshrrev_b32_e32 v4, s2, v0
	s_delay_alu instid0(VALU_DEP_1) | instskip(NEXT) | instid1(VALU_DEP_1)
	v_mul_lo_u32 v0, v4, s0
	v_sub_nc_u32_e32 v0, v47, v0
	s_delay_alu instid0(VALU_DEP_1)
	v_mul_lo_u32 v46, v0, s4
	v_mul_lo_u32 v1, v0, s5
	;; [unrolled: 1-line block ×3, first 2 shown]
	s_cbranch_scc1 .LBB46_78
; %bb.77:
	s_clause 0x1
	s_load_b128 s[0:3], s[36:37], 0x10
	s_load_b128 s[4:7], s[36:37], 0xd0
	s_waitcnt lgkmcnt(0)
	v_mul_hi_u32 v5, s1, v4
	s_delay_alu instid0(VALU_DEP_1) | instskip(NEXT) | instid1(VALU_DEP_1)
	v_add_nc_u32_e32 v5, v4, v5
	v_lshrrev_b32_e32 v5, s2, v5
	s_delay_alu instid0(VALU_DEP_1) | instskip(NEXT) | instid1(VALU_DEP_1)
	v_mul_lo_u32 v5, v5, s0
	v_sub_nc_u32_e32 v8, v4, v5
	s_delay_alu instid0(VALU_DEP_1) | instskip(SKIP_2) | instid1(VALU_DEP_2)
	v_mad_u64_u32 v[4:5], null, v8, s4, v[46:47]
	v_mad_u64_u32 v[5:6], null, v8, s5, v[1:2]
	;; [unrolled: 1-line block ×3, first 2 shown]
	v_dual_mov_b32 v46, v4 :: v_dual_mov_b32 v1, v5
	s_delay_alu instid0(VALU_DEP_2)
	v_mov_b32_e32 v0, v6
.LBB46_78:
	v_cmp_ne_u32_e32 vcc_lo, 1, v3
	v_add_nc_u32_e32 v4, 0x80, v47
	s_cbranch_vccnz .LBB46_84
; %bb.79:
	v_dual_mov_b32 v56, 0 :: v_dual_mov_b32 v45, 0
	v_mov_b32_e32 v44, 0
	s_cmp_lg_u32 s56, 0
	s_mov_b32 s2, 0
	s_cbranch_scc0 .LBB46_85
; %bb.80:
	s_min_u32 s3, s57, 15
	v_dual_mov_b32 v44, 0 :: v_dual_mov_b32 v45, 0
	s_add_i32 s0, s3, 1
	v_dual_mov_b32 v56, 0 :: v_dual_mov_b32 v5, v4
	s_and_b32 s4, s0, 30
	s_add_u32 s0, s36, 0xffffffec
	s_addc_u32 s1, s37, -1
	s_set_inst_prefetch_distance 0x1
	.p2align	6
.LBB46_81:                              ; =>This Inner Loop Header: Depth=1
	s_clause 0x2
	s_load_b128 s[8:11], s[0:1], 0x18
	s_load_b64 s[6:7], s[0:1], 0x28
	s_load_b128 s[12:15], s[0:1], 0xd8
	s_waitcnt lgkmcnt(0)
	v_mul_hi_u32 v6, s9, v5
	s_delay_alu instid0(VALU_DEP_1) | instskip(NEXT) | instid1(VALU_DEP_1)
	v_add_nc_u32_e32 v6, v5, v6
	v_lshrrev_b32_e32 v6, s10, v6
	s_delay_alu instid0(VALU_DEP_1)
	v_mul_hi_u32 v7, s6, v6
	v_mul_lo_u32 v8, v6, s8
	s_load_b64 s[8:9], s[0:1], 0xe8
	s_add_u32 s0, s0, 24
	s_addc_u32 s1, s1, 0
	s_add_i32 s4, s4, -2
	s_delay_alu instid0(SALU_CYCLE_1) | instskip(NEXT) | instid1(VALU_DEP_2)
	s_cmp_lg_u32 s4, 0
	v_add_nc_u32_e32 v7, v6, v7
	s_delay_alu instid0(VALU_DEP_2) | instskip(NEXT) | instid1(VALU_DEP_2)
	v_sub_nc_u32_e32 v8, v5, v8
	v_lshrrev_b32_e32 v5, s7, v7
	s_delay_alu instid0(VALU_DEP_2) | instskip(NEXT) | instid1(VALU_DEP_2)
	v_mul_lo_u32 v9, v8, s12
	v_mul_lo_u32 v7, v5, s11
	s_delay_alu instid0(VALU_DEP_1) | instskip(SKIP_2) | instid1(VALU_DEP_3)
	v_sub_nc_u32_e32 v6, v6, v7
	v_mul_lo_u32 v7, v8, s13
	v_mul_lo_u32 v8, v8, s14
	;; [unrolled: 1-line block ×3, first 2 shown]
	s_waitcnt lgkmcnt(0)
	v_mul_lo_u32 v11, v6, s8
	v_mul_lo_u32 v6, v6, s9
	s_delay_alu instid0(VALU_DEP_3) | instskip(NEXT) | instid1(VALU_DEP_3)
	v_add3_u32 v56, v9, v56, v10
	v_add3_u32 v45, v7, v45, v11
	s_delay_alu instid0(VALU_DEP_3)
	v_add3_u32 v44, v8, v44, v6
	s_cbranch_scc1 .LBB46_81
; %bb.82:
	s_set_inst_prefetch_distance 0x2
	s_bitcmp1_b32 s3, 0
	s_cselect_b32 s3, -1, 0
	s_delay_alu instid0(SALU_CYCLE_1)
	s_and_b32 vcc_lo, exec_lo, s3
	s_cbranch_vccnz .LBB46_85
; %bb.83:
	s_clause 0x3
	s_load_b64 s[4:5], s[0:1], 0x18
	s_load_b32 s3, s[0:1], 0x20
	s_load_b64 s[6:7], s[0:1], 0xd8
	s_load_b32 s0, s[0:1], 0xe0
	s_waitcnt lgkmcnt(0)
	v_mul_hi_u32 v6, s5, v5
	s_delay_alu instid0(VALU_DEP_1) | instskip(NEXT) | instid1(VALU_DEP_1)
	v_add_nc_u32_e32 v6, v5, v6
	v_lshrrev_b32_e32 v6, s3, v6
	s_delay_alu instid0(VALU_DEP_1) | instskip(NEXT) | instid1(VALU_DEP_1)
	v_mul_lo_u32 v6, v6, s4
	v_sub_nc_u32_e32 v9, v5, v6
	s_delay_alu instid0(VALU_DEP_1) | instskip(SKIP_2) | instid1(VALU_DEP_2)
	v_mad_u64_u32 v[5:6], null, v9, s6, v[56:57]
	v_mad_u64_u32 v[6:7], null, v9, s7, v[45:46]
	;; [unrolled: 1-line block ×3, first 2 shown]
	v_dual_mov_b32 v56, v5 :: v_dual_mov_b32 v45, v6
	s_delay_alu instid0(VALU_DEP_2)
	v_mov_b32_e32 v44, v7
	s_branch .LBB46_85
.LBB46_84:
	s_mov_b32 s2, -1
                                        ; implicit-def: $vgpr56
                                        ; implicit-def: $vgpr45
                                        ; implicit-def: $vgpr44
.LBB46_85:
	s_delay_alu instid0(SALU_CYCLE_1)
	s_and_not1_b32 vcc_lo, exec_lo, s2
	s_cbranch_vccnz .LBB46_88
; %bb.86:
	s_clause 0x1
	s_load_b128 s[0:3], s[36:37], 0x4
	s_load_b128 s[4:7], s[36:37], 0xc4
	s_cmp_lt_u32 s56, 2
	s_waitcnt lgkmcnt(0)
	v_mul_hi_u32 v5, s1, v4
	s_delay_alu instid0(VALU_DEP_1) | instskip(NEXT) | instid1(VALU_DEP_1)
	v_add_nc_u32_e32 v5, v4, v5
	v_lshrrev_b32_e32 v5, s2, v5
	s_delay_alu instid0(VALU_DEP_1) | instskip(NEXT) | instid1(VALU_DEP_1)
	v_mul_lo_u32 v6, v5, s0
	v_sub_nc_u32_e32 v4, v4, v6
	s_delay_alu instid0(VALU_DEP_1)
	v_mul_lo_u32 v56, v4, s4
	v_mul_lo_u32 v45, v4, s5
	;; [unrolled: 1-line block ×3, first 2 shown]
	s_cbranch_scc1 .LBB46_88
; %bb.87:
	s_clause 0x1
	s_load_b128 s[0:3], s[36:37], 0x10
	s_load_b128 s[4:7], s[36:37], 0xd0
	s_waitcnt lgkmcnt(0)
	v_mul_hi_u32 v4, s1, v5
	s_delay_alu instid0(VALU_DEP_1) | instskip(NEXT) | instid1(VALU_DEP_1)
	v_add_nc_u32_e32 v4, v5, v4
	v_lshrrev_b32_e32 v4, s2, v4
	s_delay_alu instid0(VALU_DEP_1) | instskip(NEXT) | instid1(VALU_DEP_1)
	v_mul_lo_u32 v4, v4, s0
	v_sub_nc_u32_e32 v8, v5, v4
	s_delay_alu instid0(VALU_DEP_1) | instskip(SKIP_2) | instid1(VALU_DEP_2)
	v_mad_u64_u32 v[4:5], null, v8, s4, v[56:57]
	v_mad_u64_u32 v[5:6], null, v8, s5, v[45:46]
	v_mad_u64_u32 v[6:7], null, v8, s6, v[44:45]
	v_dual_mov_b32 v56, v4 :: v_dual_mov_b32 v45, v5
	s_delay_alu instid0(VALU_DEP_2)
	v_mov_b32_e32 v44, v6
.LBB46_88:
	v_cmp_ne_u32_e32 vcc_lo, 1, v3
	v_add_nc_u32_e32 v4, 0x100, v47
	s_cbranch_vccnz .LBB46_94
; %bb.89:
	v_dual_mov_b32 v57, 0 :: v_dual_mov_b32 v58, 0
	v_mov_b32_e32 v59, 0
	s_cmp_lg_u32 s56, 0
	s_mov_b32 s2, 0
	s_cbranch_scc0 .LBB46_95
; %bb.90:
	s_min_u32 s3, s57, 15
	v_dual_mov_b32 v58, 0 :: v_dual_mov_b32 v59, 0
	s_add_i32 s0, s3, 1
	v_mov_b32_e32 v57, 0
	v_mov_b32_e32 v5, v4
	s_and_b32 s4, s0, 30
	s_add_u32 s0, s36, 0xffffffec
	s_addc_u32 s1, s37, -1
	s_set_inst_prefetch_distance 0x1
	.p2align	6
.LBB46_91:                              ; =>This Inner Loop Header: Depth=1
	s_clause 0x2
	s_load_b128 s[8:11], s[0:1], 0x18
	s_load_b64 s[6:7], s[0:1], 0x28
	s_load_b128 s[12:15], s[0:1], 0xd8
	s_waitcnt lgkmcnt(0)
	v_mul_hi_u32 v6, s9, v5
	s_delay_alu instid0(VALU_DEP_1) | instskip(NEXT) | instid1(VALU_DEP_1)
	v_add_nc_u32_e32 v6, v5, v6
	v_lshrrev_b32_e32 v6, s10, v6
	s_delay_alu instid0(VALU_DEP_1)
	v_mul_hi_u32 v7, s6, v6
	v_mul_lo_u32 v8, v6, s8
	s_load_b64 s[8:9], s[0:1], 0xe8
	s_add_u32 s0, s0, 24
	s_addc_u32 s1, s1, 0
	s_add_i32 s4, s4, -2
	s_delay_alu instid0(SALU_CYCLE_1) | instskip(NEXT) | instid1(VALU_DEP_2)
	s_cmp_lg_u32 s4, 0
	v_add_nc_u32_e32 v7, v6, v7
	s_delay_alu instid0(VALU_DEP_2) | instskip(NEXT) | instid1(VALU_DEP_2)
	v_sub_nc_u32_e32 v8, v5, v8
	v_lshrrev_b32_e32 v5, s7, v7
	s_delay_alu instid0(VALU_DEP_2) | instskip(NEXT) | instid1(VALU_DEP_2)
	v_mul_lo_u32 v9, v8, s12
	v_mul_lo_u32 v7, v5, s11
	s_delay_alu instid0(VALU_DEP_1) | instskip(SKIP_2) | instid1(VALU_DEP_3)
	v_sub_nc_u32_e32 v6, v6, v7
	v_mul_lo_u32 v7, v8, s13
	v_mul_lo_u32 v8, v8, s14
	;; [unrolled: 1-line block ×3, first 2 shown]
	s_waitcnt lgkmcnt(0)
	v_mul_lo_u32 v11, v6, s8
	v_mul_lo_u32 v6, v6, s9
	s_delay_alu instid0(VALU_DEP_3) | instskip(NEXT) | instid1(VALU_DEP_3)
	v_add3_u32 v57, v9, v57, v10
	v_add3_u32 v59, v7, v59, v11
	s_delay_alu instid0(VALU_DEP_3)
	v_add3_u32 v58, v8, v58, v6
	s_cbranch_scc1 .LBB46_91
; %bb.92:
	s_set_inst_prefetch_distance 0x2
	s_bitcmp1_b32 s3, 0
	s_cselect_b32 s3, -1, 0
	s_delay_alu instid0(SALU_CYCLE_1)
	s_and_b32 vcc_lo, exec_lo, s3
	s_cbranch_vccnz .LBB46_95
; %bb.93:
	s_clause 0x3
	s_load_b64 s[4:5], s[0:1], 0x18
	s_load_b32 s3, s[0:1], 0x20
	s_load_b64 s[6:7], s[0:1], 0xd8
	s_load_b32 s0, s[0:1], 0xe0
	s_waitcnt lgkmcnt(0)
	v_mul_hi_u32 v6, s5, v5
	s_delay_alu instid0(VALU_DEP_1) | instskip(NEXT) | instid1(VALU_DEP_1)
	v_add_nc_u32_e32 v6, v5, v6
	v_lshrrev_b32_e32 v6, s3, v6
	s_delay_alu instid0(VALU_DEP_1) | instskip(NEXT) | instid1(VALU_DEP_1)
	v_mul_lo_u32 v6, v6, s4
	v_sub_nc_u32_e32 v9, v5, v6
	s_delay_alu instid0(VALU_DEP_1) | instskip(SKIP_2) | instid1(VALU_DEP_3)
	v_mad_u64_u32 v[5:6], null, v9, s6, v[57:58]
	v_mad_u64_u32 v[6:7], null, v9, s7, v[59:60]
	;; [unrolled: 1-line block ×3, first 2 shown]
	v_mov_b32_e32 v57, v5
	s_delay_alu instid0(VALU_DEP_2)
	v_dual_mov_b32 v59, v6 :: v_dual_mov_b32 v58, v7
	s_branch .LBB46_95
.LBB46_94:
	s_mov_b32 s2, -1
                                        ; implicit-def: $vgpr57
                                        ; implicit-def: $vgpr59
                                        ; implicit-def: $vgpr58
.LBB46_95:
	s_delay_alu instid0(SALU_CYCLE_1)
	s_and_not1_b32 vcc_lo, exec_lo, s2
	s_cbranch_vccnz .LBB46_98
; %bb.96:
	s_clause 0x1
	s_load_b128 s[0:3], s[36:37], 0x4
	s_load_b128 s[4:7], s[36:37], 0xc4
	s_cmp_lt_u32 s56, 2
	s_waitcnt lgkmcnt(0)
	v_mul_hi_u32 v5, s1, v4
	s_delay_alu instid0(VALU_DEP_1) | instskip(NEXT) | instid1(VALU_DEP_1)
	v_add_nc_u32_e32 v5, v4, v5
	v_lshrrev_b32_e32 v5, s2, v5
	s_delay_alu instid0(VALU_DEP_1) | instskip(NEXT) | instid1(VALU_DEP_1)
	v_mul_lo_u32 v6, v5, s0
	v_sub_nc_u32_e32 v4, v4, v6
	s_delay_alu instid0(VALU_DEP_1)
	v_mul_lo_u32 v57, v4, s4
	v_mul_lo_u32 v59, v4, s5
	;; [unrolled: 1-line block ×3, first 2 shown]
	s_cbranch_scc1 .LBB46_98
; %bb.97:
	s_clause 0x1
	s_load_b128 s[0:3], s[36:37], 0x10
	s_load_b128 s[4:7], s[36:37], 0xd0
	s_waitcnt lgkmcnt(0)
	v_mul_hi_u32 v4, s1, v5
	s_delay_alu instid0(VALU_DEP_1) | instskip(NEXT) | instid1(VALU_DEP_1)
	v_add_nc_u32_e32 v4, v5, v4
	v_lshrrev_b32_e32 v4, s2, v4
	s_delay_alu instid0(VALU_DEP_1) | instskip(NEXT) | instid1(VALU_DEP_1)
	v_mul_lo_u32 v4, v4, s0
	v_sub_nc_u32_e32 v8, v5, v4
	s_delay_alu instid0(VALU_DEP_1) | instskip(SKIP_2) | instid1(VALU_DEP_3)
	v_mad_u64_u32 v[4:5], null, v8, s4, v[57:58]
	v_mad_u64_u32 v[5:6], null, v8, s5, v[59:60]
	;; [unrolled: 1-line block ×3, first 2 shown]
	v_mov_b32_e32 v57, v4
	s_delay_alu instid0(VALU_DEP_2)
	v_dual_mov_b32 v59, v5 :: v_dual_mov_b32 v58, v6
.LBB46_98:
	v_cmp_ne_u32_e32 vcc_lo, 1, v3
	s_cbranch_vccnz .LBB46_104
; %bb.99:
	v_dual_mov_b32 v60, 0 :: v_dual_mov_b32 v61, 0
	v_mov_b32_e32 v62, 0
	s_cmp_lg_u32 s56, 0
	s_mov_b32 s2, 0
	s_cbranch_scc0 .LBB46_105
; %bb.100:
	s_min_u32 s3, s57, 15
	v_dual_mov_b32 v61, 0 :: v_dual_mov_b32 v62, 0
	s_add_i32 s0, s3, 1
	v_dual_mov_b32 v60, 0 :: v_dual_mov_b32 v3, v2
	s_and_b32 s4, s0, 30
	s_add_u32 s0, s36, 0xffffffec
	s_addc_u32 s1, s37, -1
	s_set_inst_prefetch_distance 0x1
	.p2align	6
.LBB46_101:                             ; =>This Inner Loop Header: Depth=1
	s_clause 0x2
	s_load_b128 s[8:11], s[0:1], 0x18
	s_load_b64 s[6:7], s[0:1], 0x28
	s_load_b128 s[12:15], s[0:1], 0xd8
	s_waitcnt lgkmcnt(0)
	v_mul_hi_u32 v4, s9, v3
	s_delay_alu instid0(VALU_DEP_1) | instskip(NEXT) | instid1(VALU_DEP_1)
	v_add_nc_u32_e32 v4, v3, v4
	v_lshrrev_b32_e32 v4, s10, v4
	s_delay_alu instid0(VALU_DEP_1)
	v_mul_hi_u32 v5, s6, v4
	v_mul_lo_u32 v6, v4, s8
	s_load_b64 s[8:9], s[0:1], 0xe8
	s_add_u32 s0, s0, 24
	s_addc_u32 s1, s1, 0
	s_add_i32 s4, s4, -2
	s_delay_alu instid0(SALU_CYCLE_1) | instskip(NEXT) | instid1(VALU_DEP_2)
	s_cmp_lg_u32 s4, 0
	v_add_nc_u32_e32 v5, v4, v5
	s_delay_alu instid0(VALU_DEP_2) | instskip(NEXT) | instid1(VALU_DEP_2)
	v_sub_nc_u32_e32 v6, v3, v6
	v_lshrrev_b32_e32 v3, s7, v5
	s_delay_alu instid0(VALU_DEP_2) | instskip(NEXT) | instid1(VALU_DEP_2)
	v_mul_lo_u32 v7, v6, s12
	v_mul_lo_u32 v5, v3, s11
	s_delay_alu instid0(VALU_DEP_1) | instskip(SKIP_2) | instid1(VALU_DEP_3)
	v_sub_nc_u32_e32 v4, v4, v5
	v_mul_lo_u32 v5, v6, s13
	v_mul_lo_u32 v6, v6, s14
	v_mul_lo_u32 v8, v4, s15
	s_waitcnt lgkmcnt(0)
	v_mul_lo_u32 v9, v4, s8
	v_mul_lo_u32 v4, v4, s9
	s_delay_alu instid0(VALU_DEP_3) | instskip(NEXT) | instid1(VALU_DEP_3)
	v_add3_u32 v60, v7, v60, v8
	v_add3_u32 v62, v5, v62, v9
	s_delay_alu instid0(VALU_DEP_3)
	v_add3_u32 v61, v6, v61, v4
	s_cbranch_scc1 .LBB46_101
; %bb.102:
	s_set_inst_prefetch_distance 0x2
	s_bitcmp1_b32 s3, 0
	s_cselect_b32 s3, -1, 0
	s_delay_alu instid0(SALU_CYCLE_1)
	s_and_b32 vcc_lo, exec_lo, s3
	s_cbranch_vccnz .LBB46_105
; %bb.103:
	s_clause 0x3
	s_load_b64 s[4:5], s[0:1], 0x18
	s_load_b32 s3, s[0:1], 0x20
	s_load_b64 s[6:7], s[0:1], 0xd8
	s_load_b32 s0, s[0:1], 0xe0
	s_waitcnt lgkmcnt(0)
	v_mul_hi_u32 v4, s5, v3
	s_delay_alu instid0(VALU_DEP_1) | instskip(NEXT) | instid1(VALU_DEP_1)
	v_add_nc_u32_e32 v4, v3, v4
	v_lshrrev_b32_e32 v4, s3, v4
	s_delay_alu instid0(VALU_DEP_1) | instskip(NEXT) | instid1(VALU_DEP_1)
	v_mul_lo_u32 v4, v4, s4
	v_sub_nc_u32_e32 v7, v3, v4
	s_delay_alu instid0(VALU_DEP_1) | instskip(SKIP_2) | instid1(VALU_DEP_3)
	v_mad_u64_u32 v[3:4], null, v7, s6, v[60:61]
	v_mad_u64_u32 v[4:5], null, v7, s7, v[62:63]
	;; [unrolled: 1-line block ×3, first 2 shown]
	v_mov_b32_e32 v60, v3
	s_delay_alu instid0(VALU_DEP_2)
	v_dual_mov_b32 v62, v4 :: v_dual_mov_b32 v61, v5
	s_branch .LBB46_105
.LBB46_104:
	s_mov_b32 s2, -1
                                        ; implicit-def: $vgpr60
                                        ; implicit-def: $vgpr62
                                        ; implicit-def: $vgpr61
.LBB46_105:
	s_delay_alu instid0(SALU_CYCLE_1)
	s_and_not1_b32 vcc_lo, exec_lo, s2
	s_cbranch_vccnz .LBB46_108
; %bb.106:
	s_clause 0x1
	s_load_b128 s[0:3], s[36:37], 0x4
	s_load_b128 s[4:7], s[36:37], 0xc4
	s_cmp_lt_u32 s56, 2
	s_waitcnt lgkmcnt(0)
	v_mul_hi_u32 v3, s1, v2
	s_delay_alu instid0(VALU_DEP_1) | instskip(NEXT) | instid1(VALU_DEP_1)
	v_add_nc_u32_e32 v3, v2, v3
	v_lshrrev_b32_e32 v3, s2, v3
	s_delay_alu instid0(VALU_DEP_1) | instskip(NEXT) | instid1(VALU_DEP_1)
	v_mul_lo_u32 v4, v3, s0
	v_sub_nc_u32_e32 v2, v2, v4
	s_delay_alu instid0(VALU_DEP_1)
	v_mul_lo_u32 v60, v2, s4
	v_mul_lo_u32 v62, v2, s5
	;; [unrolled: 1-line block ×3, first 2 shown]
	s_cbranch_scc1 .LBB46_108
; %bb.107:
	s_clause 0x1
	s_load_b128 s[0:3], s[36:37], 0x10
	s_load_b128 s[4:7], s[36:37], 0xd0
	s_waitcnt lgkmcnt(0)
	v_mul_hi_u32 v2, s1, v3
	s_delay_alu instid0(VALU_DEP_1) | instskip(NEXT) | instid1(VALU_DEP_1)
	v_add_nc_u32_e32 v2, v3, v2
	v_lshrrev_b32_e32 v2, s2, v2
	s_delay_alu instid0(VALU_DEP_1) | instskip(NEXT) | instid1(VALU_DEP_1)
	v_mul_lo_u32 v2, v2, s0
	v_sub_nc_u32_e32 v6, v3, v2
	s_delay_alu instid0(VALU_DEP_1) | instskip(SKIP_2) | instid1(VALU_DEP_3)
	v_mad_u64_u32 v[2:3], null, v6, s4, v[60:61]
	v_mad_u64_u32 v[3:4], null, v6, s5, v[62:63]
	;; [unrolled: 1-line block ×3, first 2 shown]
	v_mov_b32_e32 v60, v2
	s_delay_alu instid0(VALU_DEP_2)
	v_dual_mov_b32 v62, v3 :: v_dual_mov_b32 v61, v4
.LBB46_108:
	s_clause 0x2
	s_load_b128 s[40:43], s[36:37], 0x188
	s_load_b64 s[38:39], s[36:37], 0x198
	s_load_b32 s0, s[36:37], 0x1a0
	s_waitcnt lgkmcnt(0)
	global_load_u16 v1, v1, s[42:43]
	global_load_b32 v40, v0, s[38:39]
	s_bitcmp1_b32 s0, 0
	s_cselect_b32 s0, -1, 0
	s_delay_alu instid0(SALU_CYCLE_1)
	s_xor_b32 s36, s0, -1
	s_mov_b32 s0, -1
	s_and_b32 vcc_lo, exec_lo, s36
	s_waitcnt vmcnt(1)
	v_lshlrev_b32_e32 v43, 16, v1
	s_cbranch_vccz .LBB46_110
; %bb.109:
	s_waitcnt vmcnt(0)
	s_delay_alu instid0(VALU_DEP_1) | instskip(SKIP_3) | instid1(SALU_CYCLE_1)
	v_dual_mov_b32 v0, v43 :: v_dual_mov_b32 v1, v40
	s_getpc_b64 s[0:1]
	s_add_u32 s0, s0, _ZN12_GLOBAL__N_111calc_igammaIfEET_S1_S1_@rel32@lo+4
	s_addc_u32 s1, s1, _ZN12_GLOBAL__N_111calc_igammaIfEET_S1_S1_@rel32@hi+12
	s_swappc_b64 s[30:31], s[0:1]
	v_mov_b32_e32 v42, v0
	s_cbranch_execz .LBB46_111
	s_branch .LBB46_112
.LBB46_110:
                                        ; implicit-def: $vgpr42
	s_and_not1_b32 vcc_lo, exec_lo, s0
	s_cbranch_vccnz .LBB46_112
.LBB46_111:
	s_waitcnt vmcnt(0)
	v_dual_mov_b32 v0, v43 :: v_dual_mov_b32 v1, v40
	s_getpc_b64 s[0:1]
	s_add_u32 s0, s0, _ZN12_GLOBAL__N_112calc_igammacIfEET_S1_S1_@rel32@lo+4
	s_addc_u32 s1, s1, _ZN12_GLOBAL__N_112calc_igammacIfEET_S1_S1_@rel32@hi+12
	s_delay_alu instid0(SALU_CYCLE_1)
	s_swappc_b64 s[30:31], s[0:1]
	v_mov_b32_e32 v42, v0
.LBB46_112:
	global_load_u16 v0, v45, s[42:43]
	global_load_b32 v40, v44, s[38:39]
	s_and_b32 vcc_lo, exec_lo, s36
	s_waitcnt vmcnt(1)
	v_lshlrev_b32_e32 v44, 16, v0
	s_cbranch_vccz .LBB46_114
; %bb.113:
	s_delay_alu instid0(VALU_DEP_1)
	v_mov_b32_e32 v0, v44
	s_waitcnt vmcnt(0)
	v_mov_b32_e32 v1, v40
	s_getpc_b64 s[0:1]
	s_add_u32 s0, s0, _ZN12_GLOBAL__N_111calc_igammaIfEET_S1_S1_@rel32@lo+4
	s_addc_u32 s1, s1, _ZN12_GLOBAL__N_111calc_igammaIfEET_S1_S1_@rel32@hi+12
	s_delay_alu instid0(SALU_CYCLE_1)
	s_swappc_b64 s[30:31], s[0:1]
	v_mov_b32_e32 v43, v0
	s_cbranch_execz .LBB46_115
	s_branch .LBB46_116
.LBB46_114:
                                        ; implicit-def: $vgpr43
.LBB46_115:
	s_delay_alu instid0(VALU_DEP_1)
	v_mov_b32_e32 v0, v44
	s_waitcnt vmcnt(0)
	v_mov_b32_e32 v1, v40
	s_getpc_b64 s[0:1]
	s_add_u32 s0, s0, _ZN12_GLOBAL__N_112calc_igammacIfEET_S1_S1_@rel32@lo+4
	s_addc_u32 s1, s1, _ZN12_GLOBAL__N_112calc_igammacIfEET_S1_S1_@rel32@hi+12
	s_delay_alu instid0(SALU_CYCLE_1)
	s_swappc_b64 s[30:31], s[0:1]
	v_mov_b32_e32 v43, v0
.LBB46_116:
	global_load_u16 v0, v59, s[42:43]
	global_load_b32 v40, v58, s[38:39]
	s_and_b32 vcc_lo, exec_lo, s36
	s_waitcnt vmcnt(1)
	v_lshlrev_b32_e32 v45, 16, v0
	s_cbranch_vccz .LBB46_118
; %bb.117:
	s_waitcnt vmcnt(0)
	s_delay_alu instid0(VALU_DEP_1) | instskip(SKIP_3) | instid1(SALU_CYCLE_1)
	v_dual_mov_b32 v0, v45 :: v_dual_mov_b32 v1, v40
	s_getpc_b64 s[0:1]
	s_add_u32 s0, s0, _ZN12_GLOBAL__N_111calc_igammaIfEET_S1_S1_@rel32@lo+4
	s_addc_u32 s1, s1, _ZN12_GLOBAL__N_111calc_igammaIfEET_S1_S1_@rel32@hi+12
	s_swappc_b64 s[30:31], s[0:1]
	v_mov_b32_e32 v44, v0
	s_cbranch_execz .LBB46_119
	s_branch .LBB46_120
.LBB46_118:
                                        ; implicit-def: $vgpr44
.LBB46_119:
	s_waitcnt vmcnt(0)
	s_delay_alu instid0(VALU_DEP_1) | instskip(SKIP_3) | instid1(SALU_CYCLE_1)
	v_dual_mov_b32 v0, v45 :: v_dual_mov_b32 v1, v40
	s_getpc_b64 s[0:1]
	s_add_u32 s0, s0, _ZN12_GLOBAL__N_112calc_igammacIfEET_S1_S1_@rel32@lo+4
	s_addc_u32 s1, s1, _ZN12_GLOBAL__N_112calc_igammacIfEET_S1_S1_@rel32@hi+12
	s_swappc_b64 s[30:31], s[0:1]
	v_mov_b32_e32 v44, v0
.LBB46_120:
	global_load_u16 v0, v62, s[42:43]
	global_load_b32 v40, v61, s[38:39]
	s_and_b32 vcc_lo, exec_lo, s36
	s_waitcnt vmcnt(1)
	v_lshlrev_b32_e32 v45, 16, v0
	s_cbranch_vccz .LBB46_122
; %bb.121:
	s_waitcnt vmcnt(0)
	s_delay_alu instid0(VALU_DEP_1) | instskip(SKIP_3) | instid1(SALU_CYCLE_1)
	v_dual_mov_b32 v0, v45 :: v_dual_mov_b32 v1, v40
	s_getpc_b64 s[0:1]
	s_add_u32 s0, s0, _ZN12_GLOBAL__N_111calc_igammaIfEET_S1_S1_@rel32@lo+4
	s_addc_u32 s1, s1, _ZN12_GLOBAL__N_111calc_igammaIfEET_S1_S1_@rel32@hi+12
	s_swappc_b64 s[30:31], s[0:1]
	s_cbranch_execz .LBB46_123
	s_branch .LBB46_124
.LBB46_122:
                                        ; implicit-def: $vgpr0
.LBB46_123:
	s_waitcnt vmcnt(0)
	s_delay_alu instid0(VALU_DEP_1) | instskip(SKIP_3) | instid1(SALU_CYCLE_1)
	v_dual_mov_b32 v0, v45 :: v_dual_mov_b32 v1, v40
	s_getpc_b64 s[0:1]
	s_add_u32 s0, s0, _ZN12_GLOBAL__N_112calc_igammacIfEET_S1_S1_@rel32@lo+4
	s_addc_u32 s1, s1, _ZN12_GLOBAL__N_112calc_igammacIfEET_S1_S1_@rel32@hi+12
	s_swappc_b64 s[30:31], s[0:1]
.LBB46_124:
	s_clause 0x3
	global_store_b32 v46, v42, s[40:41]
	global_store_b32 v56, v43, s[40:41]
	;; [unrolled: 1-line block ×4, first 2 shown]
	s_endpgm
	.section	.rodata,"a",@progbits
	.p2align	6, 0x0
	.amdhsa_kernel _ZN2at6native32elementwise_kernel_manual_unrollILi128ELi4EZNS0_12_GLOBAL__N_142type_specialized_broadcast_kernel_launcherILi1EE5applyIN12_GLOBAL__N_110CalcIgammaIfEESt5arrayIPcLm3EES9_IN3c1010ScalarTypeELm3EE16OffsetCalculatorILi3EjLb0EEEEvlT_T0_T1_T2_EUlibE_EEviSJ_
		.amdhsa_group_segment_fixed_size 0
		.amdhsa_private_segment_fixed_size 144
		.amdhsa_kernarg_size 432
		.amdhsa_user_sgpr_count 15
		.amdhsa_user_sgpr_dispatch_ptr 0
		.amdhsa_user_sgpr_queue_ptr 0
		.amdhsa_user_sgpr_kernarg_segment_ptr 1
		.amdhsa_user_sgpr_dispatch_id 0
		.amdhsa_user_sgpr_private_segment_size 0
		.amdhsa_wavefront_size32 1
		.amdhsa_uses_dynamic_stack 0
		.amdhsa_enable_private_segment 1
		.amdhsa_system_sgpr_workgroup_id_x 1
		.amdhsa_system_sgpr_workgroup_id_y 0
		.amdhsa_system_sgpr_workgroup_id_z 0
		.amdhsa_system_sgpr_workgroup_info 0
		.amdhsa_system_vgpr_workitem_id 0
		.amdhsa_next_free_vgpr 66
		.amdhsa_next_free_sgpr 66
		.amdhsa_reserve_vcc 1
		.amdhsa_float_round_mode_32 0
		.amdhsa_float_round_mode_16_64 0
		.amdhsa_float_denorm_mode_32 3
		.amdhsa_float_denorm_mode_16_64 3
		.amdhsa_dx10_clamp 1
		.amdhsa_ieee_mode 1
		.amdhsa_fp16_overflow 0
		.amdhsa_workgroup_processor_mode 1
		.amdhsa_memory_ordered 1
		.amdhsa_forward_progress 0
		.amdhsa_shared_vgpr_count 0
		.amdhsa_exception_fp_ieee_invalid_op 0
		.amdhsa_exception_fp_denorm_src 0
		.amdhsa_exception_fp_ieee_div_zero 0
		.amdhsa_exception_fp_ieee_overflow 0
		.amdhsa_exception_fp_ieee_underflow 0
		.amdhsa_exception_fp_ieee_inexact 0
		.amdhsa_exception_int_div_zero 0
	.end_amdhsa_kernel
	.section	.text._ZN2at6native32elementwise_kernel_manual_unrollILi128ELi4EZNS0_12_GLOBAL__N_142type_specialized_broadcast_kernel_launcherILi1EE5applyIN12_GLOBAL__N_110CalcIgammaIfEESt5arrayIPcLm3EES9_IN3c1010ScalarTypeELm3EE16OffsetCalculatorILi3EjLb0EEEEvlT_T0_T1_T2_EUlibE_EEviSJ_,"axG",@progbits,_ZN2at6native32elementwise_kernel_manual_unrollILi128ELi4EZNS0_12_GLOBAL__N_142type_specialized_broadcast_kernel_launcherILi1EE5applyIN12_GLOBAL__N_110CalcIgammaIfEESt5arrayIPcLm3EES9_IN3c1010ScalarTypeELm3EE16OffsetCalculatorILi3EjLb0EEEEvlT_T0_T1_T2_EUlibE_EEviSJ_,comdat
.Lfunc_end46:
	.size	_ZN2at6native32elementwise_kernel_manual_unrollILi128ELi4EZNS0_12_GLOBAL__N_142type_specialized_broadcast_kernel_launcherILi1EE5applyIN12_GLOBAL__N_110CalcIgammaIfEESt5arrayIPcLm3EES9_IN3c1010ScalarTypeELm3EE16OffsetCalculatorILi3EjLb0EEEEvlT_T0_T1_T2_EUlibE_EEviSJ_, .Lfunc_end46-_ZN2at6native32elementwise_kernel_manual_unrollILi128ELi4EZNS0_12_GLOBAL__N_142type_specialized_broadcast_kernel_launcherILi1EE5applyIN12_GLOBAL__N_110CalcIgammaIfEESt5arrayIPcLm3EES9_IN3c1010ScalarTypeELm3EE16OffsetCalculatorILi3EjLb0EEEEvlT_T0_T1_T2_EUlibE_EEviSJ_
                                        ; -- End function
	.section	.AMDGPU.csdata,"",@progbits
; Kernel info:
; codeLenInByte = 6628
; NumSgprs: 68
; NumVgprs: 66
; ScratchSize: 144
; MemoryBound: 0
; FloatMode: 240
; IeeeMode: 1
; LDSByteSize: 0 bytes/workgroup (compile time only)
; SGPRBlocks: 8
; VGPRBlocks: 8
; NumSGPRsForWavesPerEU: 68
; NumVGPRsForWavesPerEU: 66
; Occupancy: 16
; WaveLimiterHint : 1
; COMPUTE_PGM_RSRC2:SCRATCH_EN: 1
; COMPUTE_PGM_RSRC2:USER_SGPR: 15
; COMPUTE_PGM_RSRC2:TRAP_HANDLER: 0
; COMPUTE_PGM_RSRC2:TGID_X_EN: 1
; COMPUTE_PGM_RSRC2:TGID_Y_EN: 0
; COMPUTE_PGM_RSRC2:TGID_Z_EN: 0
; COMPUTE_PGM_RSRC2:TIDIG_COMP_CNT: 0
	.section	.text._ZN2at6native32elementwise_kernel_manual_unrollILi128ELi4EZNS0_12_GLOBAL__N_142type_specialized_broadcast_kernel_launcherILi2EE5applyIN12_GLOBAL__N_110CalcIgammaIfEESt5arrayIPcLm3EES9_IN3c1010ScalarTypeELm3EE16OffsetCalculatorILi3EjLb0EEEEvlT_T0_T1_T2_EUlibE_EEviSJ_,"axG",@progbits,_ZN2at6native32elementwise_kernel_manual_unrollILi128ELi4EZNS0_12_GLOBAL__N_142type_specialized_broadcast_kernel_launcherILi2EE5applyIN12_GLOBAL__N_110CalcIgammaIfEESt5arrayIPcLm3EES9_IN3c1010ScalarTypeELm3EE16OffsetCalculatorILi3EjLb0EEEEvlT_T0_T1_T2_EUlibE_EEviSJ_,comdat
	.globl	_ZN2at6native32elementwise_kernel_manual_unrollILi128ELi4EZNS0_12_GLOBAL__N_142type_specialized_broadcast_kernel_launcherILi2EE5applyIN12_GLOBAL__N_110CalcIgammaIfEESt5arrayIPcLm3EES9_IN3c1010ScalarTypeELm3EE16OffsetCalculatorILi3EjLb0EEEEvlT_T0_T1_T2_EUlibE_EEviSJ_ ; -- Begin function _ZN2at6native32elementwise_kernel_manual_unrollILi128ELi4EZNS0_12_GLOBAL__N_142type_specialized_broadcast_kernel_launcherILi2EE5applyIN12_GLOBAL__N_110CalcIgammaIfEESt5arrayIPcLm3EES9_IN3c1010ScalarTypeELm3EE16OffsetCalculatorILi3EjLb0EEEEvlT_T0_T1_T2_EUlibE_EEviSJ_
	.p2align	8
	.type	_ZN2at6native32elementwise_kernel_manual_unrollILi128ELi4EZNS0_12_GLOBAL__N_142type_specialized_broadcast_kernel_launcherILi2EE5applyIN12_GLOBAL__N_110CalcIgammaIfEESt5arrayIPcLm3EES9_IN3c1010ScalarTypeELm3EE16OffsetCalculatorILi3EjLb0EEEEvlT_T0_T1_T2_EUlibE_EEviSJ_,@function
_ZN2at6native32elementwise_kernel_manual_unrollILi128ELi4EZNS0_12_GLOBAL__N_142type_specialized_broadcast_kernel_launcherILi2EE5applyIN12_GLOBAL__N_110CalcIgammaIfEESt5arrayIPcLm3EES9_IN3c1010ScalarTypeELm3EE16OffsetCalculatorILi3EjLb0EEEEvlT_T0_T1_T2_EUlibE_EEviSJ_: ; @_ZN2at6native32elementwise_kernel_manual_unrollILi128ELi4EZNS0_12_GLOBAL__N_142type_specialized_broadcast_kernel_launcherILi2EE5applyIN12_GLOBAL__N_110CalcIgammaIfEESt5arrayIPcLm3EES9_IN3c1010ScalarTypeELm3EE16OffsetCalculatorILi3EjLb0EEEEvlT_T0_T1_T2_EUlibE_EEviSJ_
; %bb.0:
	s_clause 0x1
	s_load_b32 s56, s[0:1], 0x8
	s_load_b32 s63, s[0:1], 0x0
	v_lshl_or_b32 v47, s15, 9, v0
	s_mov_b64 s[36:37], s[0:1]
	s_mov_b32 s44, 0
	s_or_b32 s36, s36, 8
	s_mov_b32 s32, 0
	v_or_b32_e32 v2, 0x180, v47
                                        ; implicit-def: $vgpr43_vgpr44
                                        ; implicit-def: $vgpr0
	s_mov_b32 s0, exec_lo
	s_waitcnt lgkmcnt(0)
	s_add_i32 s57, s56, -1
	s_delay_alu instid0(SALU_CYCLE_1)
	s_cmp_gt_u32 s57, 1
	s_cselect_b32 s58, -1, 0
	v_cmpx_le_i32_e64 s63, v2
	s_xor_b32 s59, exec_lo, s0
	s_cbranch_execnz .LBB47_4
; %bb.1:
	s_and_not1_saveexec_b32 s45, s59
	s_cbranch_execnz .LBB47_69
.LBB47_2:
	s_or_b32 exec_lo, exec_lo, s45
	s_and_saveexec_b32 s0, s44
	s_cbranch_execnz .LBB47_126
.LBB47_3:
	s_endpgm
.LBB47_4:
	s_clause 0x6
	s_load_b32 s0, s[36:37], 0x1a0
	s_load_b128 s[48:51], s[36:37], 0x4
	s_load_b64 s[54:55], s[36:37], 0x14
	s_load_b128 s[44:47], s[36:37], 0xc4
	s_load_b64 s[52:53], s[36:37], 0xd4
	s_load_b64 s[38:39], s[36:37], 0x198
	s_load_b128 s[40:43], s[36:37], 0x188
	s_cmp_lg_u32 s56, 0
	s_mov_b32 s65, exec_lo
	s_cselect_b32 s64, -1, 0
	s_min_u32 s62, s57, 15
	s_cmp_gt_u32 s56, 1
	s_cselect_b32 s61, -1, 0
	s_waitcnt lgkmcnt(0)
	s_bitcmp1_b32 s0, 0
	s_cselect_b32 s0, -1, 0
	s_delay_alu instid0(SALU_CYCLE_1)
	s_xor_b32 s60, s0, -1
	v_cmpx_gt_i32_e64 s63, v47
	s_cbranch_execnz .LBB47_7
; %bb.5:
	s_or_b32 exec_lo, exec_lo, s65
	s_delay_alu instid0(SALU_CYCLE_1)
	s_mov_b32 s65, exec_lo
	v_cmpx_gt_i32_e64 s63, v47
	s_cbranch_execnz .LBB47_22
.LBB47_6:
	s_or_b32 exec_lo, exec_lo, s65
	s_delay_alu instid0(SALU_CYCLE_1)
	s_mov_b32 s65, exec_lo
	v_cmpx_gt_i32_e64 s63, v47
	s_cbranch_execnz .LBB47_37
	s_branch .LBB47_52
.LBB47_7:
	s_and_not1_b32 vcc_lo, exec_lo, s58
	s_cbranch_vccnz .LBB47_13
; %bb.8:
	v_dual_mov_b32 v43, 0 :: v_dual_mov_b32 v0, 0
	v_mov_b32_e32 v1, 0
	s_and_not1_b32 vcc_lo, exec_lo, s64
	s_mov_b32 s2, 0
	s_cbranch_vccnz .LBB47_14
; %bb.9:
	s_add_i32 s0, s62, 1
	v_dual_mov_b32 v0, 0 :: v_dual_mov_b32 v1, 0
	v_dual_mov_b32 v43, 0 :: v_dual_mov_b32 v2, v47
	s_and_b32 s3, s0, 30
	s_add_u32 s0, s36, 0xffffffec
	s_addc_u32 s1, s37, -1
	s_set_inst_prefetch_distance 0x1
	.p2align	6
.LBB47_10:                              ; =>This Inner Loop Header: Depth=1
	s_clause 0x2
	s_load_b128 s[4:7], s[0:1], 0x18
	s_load_b64 s[12:13], s[0:1], 0x28
	s_load_b128 s[8:11], s[0:1], 0xd8
	s_waitcnt lgkmcnt(0)
	v_mul_hi_u32 v3, s5, v2
	s_delay_alu instid0(VALU_DEP_1) | instskip(NEXT) | instid1(VALU_DEP_1)
	v_add_nc_u32_e32 v3, v2, v3
	v_lshrrev_b32_e32 v3, s6, v3
	s_delay_alu instid0(VALU_DEP_1)
	v_mul_hi_u32 v4, s12, v3
	v_mul_lo_u32 v5, v3, s4
	s_load_b64 s[4:5], s[0:1], 0xe8
	s_add_u32 s0, s0, 24
	s_addc_u32 s1, s1, 0
	s_add_i32 s3, s3, -2
	s_delay_alu instid0(SALU_CYCLE_1) | instskip(NEXT) | instid1(VALU_DEP_2)
	s_cmp_lg_u32 s3, 0
	v_add_nc_u32_e32 v4, v3, v4
	s_delay_alu instid0(VALU_DEP_2) | instskip(NEXT) | instid1(VALU_DEP_2)
	v_sub_nc_u32_e32 v5, v2, v5
	v_lshrrev_b32_e32 v2, s13, v4
	s_delay_alu instid0(VALU_DEP_2) | instskip(NEXT) | instid1(VALU_DEP_2)
	v_mul_lo_u32 v6, v5, s8
	v_mul_lo_u32 v4, v2, s7
	s_delay_alu instid0(VALU_DEP_1) | instskip(SKIP_2) | instid1(VALU_DEP_3)
	v_sub_nc_u32_e32 v3, v3, v4
	v_mul_lo_u32 v4, v5, s9
	v_mul_lo_u32 v5, v5, s10
	;; [unrolled: 1-line block ×3, first 2 shown]
	s_waitcnt lgkmcnt(0)
	v_mul_lo_u32 v8, v3, s4
	v_mul_lo_u32 v3, v3, s5
	s_delay_alu instid0(VALU_DEP_3) | instskip(NEXT) | instid1(VALU_DEP_3)
	v_add3_u32 v43, v6, v43, v7
	v_add3_u32 v1, v4, v1, v8
	s_delay_alu instid0(VALU_DEP_3)
	v_add3_u32 v0, v5, v0, v3
	s_cbranch_scc1 .LBB47_10
; %bb.11:
	s_set_inst_prefetch_distance 0x2
	s_bitcmp1_b32 s62, 0
	s_cselect_b32 s3, -1, 0
	s_delay_alu instid0(SALU_CYCLE_1)
	s_and_b32 vcc_lo, exec_lo, s3
	s_cbranch_vccnz .LBB47_14
; %bb.12:
	s_clause 0x3
	s_load_b64 s[4:5], s[0:1], 0x18
	s_load_b32 s3, s[0:1], 0x20
	s_load_b64 s[6:7], s[0:1], 0xd8
	s_load_b32 s0, s[0:1], 0xe0
	s_waitcnt lgkmcnt(0)
	v_mul_hi_u32 v3, s5, v2
	s_delay_alu instid0(VALU_DEP_1) | instskip(NEXT) | instid1(VALU_DEP_1)
	v_add_nc_u32_e32 v3, v2, v3
	v_lshrrev_b32_e32 v3, s3, v3
	s_delay_alu instid0(VALU_DEP_1) | instskip(NEXT) | instid1(VALU_DEP_1)
	v_mul_lo_u32 v3, v3, s4
	v_sub_nc_u32_e32 v6, v2, v3
	s_delay_alu instid0(VALU_DEP_1) | instskip(NEXT) | instid1(VALU_DEP_1)
	v_mad_u64_u32 v[2:3], null, v6, s6, v[43:44]
	v_mad_u64_u32 v[3:4], null, v6, s7, v[1:2]
	;; [unrolled: 1-line block ×3, first 2 shown]
	v_mov_b32_e32 v43, v2
	s_delay_alu instid0(VALU_DEP_2)
	v_dual_mov_b32 v1, v3 :: v_dual_mov_b32 v0, v4
	s_branch .LBB47_14
.LBB47_13:
	s_mov_b32 s2, -1
                                        ; implicit-def: $vgpr43
                                        ; implicit-def: $vgpr1
                                        ; implicit-def: $vgpr0
.LBB47_14:
	s_delay_alu instid0(SALU_CYCLE_1)
	s_and_not1_b32 vcc_lo, exec_lo, s2
	s_cbranch_vccnz .LBB47_17
; %bb.15:
	v_mul_hi_u32 v0, s49, v47
	s_and_not1_b32 vcc_lo, exec_lo, s61
	s_delay_alu instid0(VALU_DEP_1) | instskip(NEXT) | instid1(VALU_DEP_1)
	v_add_nc_u32_e32 v0, v47, v0
	v_lshrrev_b32_e32 v2, s50, v0
	s_delay_alu instid0(VALU_DEP_1) | instskip(NEXT) | instid1(VALU_DEP_1)
	v_mul_lo_u32 v0, v2, s48
	v_sub_nc_u32_e32 v0, v47, v0
	s_delay_alu instid0(VALU_DEP_1)
	v_mul_lo_u32 v43, v0, s44
	v_mul_lo_u32 v1, v0, s45
	;; [unrolled: 1-line block ×3, first 2 shown]
	s_cbranch_vccnz .LBB47_17
; %bb.16:
	v_mul_hi_u32 v3, s54, v2
	s_delay_alu instid0(VALU_DEP_1) | instskip(NEXT) | instid1(VALU_DEP_1)
	v_add_nc_u32_e32 v3, v2, v3
	v_lshrrev_b32_e32 v3, s55, v3
	s_delay_alu instid0(VALU_DEP_1) | instskip(NEXT) | instid1(VALU_DEP_1)
	v_mul_lo_u32 v3, v3, s51
	v_sub_nc_u32_e32 v6, v2, v3
	s_delay_alu instid0(VALU_DEP_1) | instskip(NEXT) | instid1(VALU_DEP_1)
	v_mad_u64_u32 v[2:3], null, v6, s47, v[43:44]
	v_mad_u64_u32 v[3:4], null, v6, s52, v[1:2]
	;; [unrolled: 1-line block ×3, first 2 shown]
	v_mov_b32_e32 v43, v2
	s_delay_alu instid0(VALU_DEP_2)
	v_dual_mov_b32 v1, v3 :: v_dual_mov_b32 v0, v4
.LBB47_17:
	global_load_u16 v1, v1, s[42:43]
	global_load_b32 v40, v0, s[38:39]
	s_and_b32 vcc_lo, exec_lo, s60
	s_waitcnt vmcnt(1)
	v_lshlrev_b32_e32 v42, 16, v1
	s_cbranch_vccz .LBB47_19
; %bb.18:
	s_waitcnt vmcnt(0)
	s_delay_alu instid0(VALU_DEP_1) | instskip(SKIP_3) | instid1(SALU_CYCLE_1)
	v_dual_mov_b32 v0, v42 :: v_dual_mov_b32 v1, v40
	s_getpc_b64 s[0:1]
	s_add_u32 s0, s0, _ZN12_GLOBAL__N_111calc_igammaIfEET_S1_S1_@rel32@lo+4
	s_addc_u32 s1, s1, _ZN12_GLOBAL__N_111calc_igammaIfEET_S1_S1_@rel32@hi+12
	s_swappc_b64 s[30:31], s[0:1]
	s_cbranch_execz .LBB47_20
	s_branch .LBB47_21
.LBB47_19:
                                        ; implicit-def: $vgpr0
.LBB47_20:
	s_waitcnt vmcnt(0)
	s_delay_alu instid0(VALU_DEP_1) | instskip(SKIP_3) | instid1(SALU_CYCLE_1)
	v_dual_mov_b32 v0, v42 :: v_dual_mov_b32 v1, v40
	s_getpc_b64 s[0:1]
	s_add_u32 s0, s0, _ZN12_GLOBAL__N_112calc_igammacIfEET_S1_S1_@rel32@lo+4
	s_addc_u32 s1, s1, _ZN12_GLOBAL__N_112calc_igammacIfEET_S1_S1_@rel32@hi+12
	s_swappc_b64 s[30:31], s[0:1]
.LBB47_21:
	v_bfe_u32 v1, v0, 16, 1
	v_cmp_o_f32_e32 vcc_lo, v0, v0
	v_add_nc_u32_e32 v47, 0x80, v47
	s_delay_alu instid0(VALU_DEP_3) | instskip(NEXT) | instid1(VALU_DEP_1)
	v_add3_u32 v1, v0, v1, 0x7fff
	v_lshrrev_b32_e32 v1, 16, v1
	s_delay_alu instid0(VALU_DEP_1) | instskip(SKIP_2) | instid1(SALU_CYCLE_1)
	v_cndmask_b32_e32 v0, 0x7fc0, v1, vcc_lo
	global_store_b16 v43, v0, s[40:41]
	s_or_b32 exec_lo, exec_lo, s65
	s_mov_b32 s65, exec_lo
	v_cmpx_gt_i32_e64 s63, v47
	s_cbranch_execz .LBB47_6
.LBB47_22:
	s_and_not1_b32 vcc_lo, exec_lo, s58
	s_cbranch_vccnz .LBB47_28
; %bb.23:
	v_dual_mov_b32 v43, 0 :: v_dual_mov_b32 v0, 0
	v_mov_b32_e32 v1, 0
	s_and_not1_b32 vcc_lo, exec_lo, s64
	s_mov_b32 s2, 0
	s_cbranch_vccnz .LBB47_29
; %bb.24:
	s_add_i32 s0, s62, 1
	v_dual_mov_b32 v0, 0 :: v_dual_mov_b32 v1, 0
	v_dual_mov_b32 v43, 0 :: v_dual_mov_b32 v2, v47
	s_and_b32 s3, s0, 30
	s_add_u32 s0, s36, 0xffffffec
	s_addc_u32 s1, s37, -1
	s_set_inst_prefetch_distance 0x1
	.p2align	6
.LBB47_25:                              ; =>This Inner Loop Header: Depth=1
	s_clause 0x2
	s_load_b128 s[4:7], s[0:1], 0x18
	s_load_b64 s[12:13], s[0:1], 0x28
	s_load_b128 s[8:11], s[0:1], 0xd8
	s_waitcnt lgkmcnt(0)
	v_mul_hi_u32 v3, s5, v2
	s_delay_alu instid0(VALU_DEP_1) | instskip(NEXT) | instid1(VALU_DEP_1)
	v_add_nc_u32_e32 v3, v2, v3
	v_lshrrev_b32_e32 v3, s6, v3
	s_delay_alu instid0(VALU_DEP_1)
	v_mul_hi_u32 v4, s12, v3
	v_mul_lo_u32 v5, v3, s4
	s_load_b64 s[4:5], s[0:1], 0xe8
	s_add_u32 s0, s0, 24
	s_addc_u32 s1, s1, 0
	s_add_i32 s3, s3, -2
	s_delay_alu instid0(SALU_CYCLE_1) | instskip(NEXT) | instid1(VALU_DEP_2)
	s_cmp_eq_u32 s3, 0
	v_add_nc_u32_e32 v4, v3, v4
	s_delay_alu instid0(VALU_DEP_2) | instskip(NEXT) | instid1(VALU_DEP_2)
	v_sub_nc_u32_e32 v5, v2, v5
	v_lshrrev_b32_e32 v2, s13, v4
	s_delay_alu instid0(VALU_DEP_2) | instskip(NEXT) | instid1(VALU_DEP_2)
	v_mul_lo_u32 v6, v5, s8
	v_mul_lo_u32 v4, v2, s7
	s_delay_alu instid0(VALU_DEP_1) | instskip(SKIP_2) | instid1(VALU_DEP_3)
	v_sub_nc_u32_e32 v3, v3, v4
	v_mul_lo_u32 v4, v5, s9
	v_mul_lo_u32 v5, v5, s10
	;; [unrolled: 1-line block ×3, first 2 shown]
	s_waitcnt lgkmcnt(0)
	v_mul_lo_u32 v8, v3, s4
	v_mul_lo_u32 v3, v3, s5
	s_delay_alu instid0(VALU_DEP_3) | instskip(NEXT) | instid1(VALU_DEP_3)
	v_add3_u32 v43, v6, v43, v7
	v_add3_u32 v1, v4, v1, v8
	s_delay_alu instid0(VALU_DEP_3)
	v_add3_u32 v0, v5, v0, v3
	s_cbranch_scc0 .LBB47_25
; %bb.26:
	s_set_inst_prefetch_distance 0x2
	s_bitcmp1_b32 s62, 0
	s_cselect_b32 s3, -1, 0
	s_delay_alu instid0(SALU_CYCLE_1)
	s_and_b32 vcc_lo, exec_lo, s3
	s_cbranch_vccnz .LBB47_29
; %bb.27:
	s_clause 0x3
	s_load_b64 s[4:5], s[0:1], 0x18
	s_load_b32 s3, s[0:1], 0x20
	s_load_b64 s[6:7], s[0:1], 0xd8
	s_load_b32 s0, s[0:1], 0xe0
	s_waitcnt lgkmcnt(0)
	v_mul_hi_u32 v3, s5, v2
	s_delay_alu instid0(VALU_DEP_1) | instskip(NEXT) | instid1(VALU_DEP_1)
	v_add_nc_u32_e32 v3, v2, v3
	v_lshrrev_b32_e32 v3, s3, v3
	s_delay_alu instid0(VALU_DEP_1) | instskip(NEXT) | instid1(VALU_DEP_1)
	v_mul_lo_u32 v3, v3, s4
	v_sub_nc_u32_e32 v6, v2, v3
	s_delay_alu instid0(VALU_DEP_1) | instskip(NEXT) | instid1(VALU_DEP_1)
	v_mad_u64_u32 v[2:3], null, v6, s6, v[43:44]
	v_mad_u64_u32 v[3:4], null, v6, s7, v[1:2]
	;; [unrolled: 1-line block ×3, first 2 shown]
	v_mov_b32_e32 v43, v2
	s_delay_alu instid0(VALU_DEP_2)
	v_dual_mov_b32 v1, v3 :: v_dual_mov_b32 v0, v4
	s_branch .LBB47_29
.LBB47_28:
	s_mov_b32 s2, -1
                                        ; implicit-def: $vgpr43
                                        ; implicit-def: $vgpr1
                                        ; implicit-def: $vgpr0
.LBB47_29:
	s_delay_alu instid0(SALU_CYCLE_1)
	s_and_not1_b32 vcc_lo, exec_lo, s2
	s_cbranch_vccnz .LBB47_32
; %bb.30:
	v_mul_hi_u32 v0, s49, v47
	s_and_not1_b32 vcc_lo, exec_lo, s61
	s_delay_alu instid0(VALU_DEP_1) | instskip(NEXT) | instid1(VALU_DEP_1)
	v_add_nc_u32_e32 v0, v47, v0
	v_lshrrev_b32_e32 v2, s50, v0
	s_delay_alu instid0(VALU_DEP_1) | instskip(NEXT) | instid1(VALU_DEP_1)
	v_mul_lo_u32 v0, v2, s48
	v_sub_nc_u32_e32 v0, v47, v0
	s_delay_alu instid0(VALU_DEP_1)
	v_mul_lo_u32 v43, v0, s44
	v_mul_lo_u32 v1, v0, s45
	;; [unrolled: 1-line block ×3, first 2 shown]
	s_cbranch_vccnz .LBB47_32
; %bb.31:
	v_mul_hi_u32 v3, s54, v2
	s_delay_alu instid0(VALU_DEP_1) | instskip(NEXT) | instid1(VALU_DEP_1)
	v_add_nc_u32_e32 v3, v2, v3
	v_lshrrev_b32_e32 v3, s55, v3
	s_delay_alu instid0(VALU_DEP_1) | instskip(NEXT) | instid1(VALU_DEP_1)
	v_mul_lo_u32 v3, v3, s51
	v_sub_nc_u32_e32 v6, v2, v3
	s_delay_alu instid0(VALU_DEP_1) | instskip(NEXT) | instid1(VALU_DEP_1)
	v_mad_u64_u32 v[2:3], null, v6, s47, v[43:44]
	v_mad_u64_u32 v[3:4], null, v6, s52, v[1:2]
	;; [unrolled: 1-line block ×3, first 2 shown]
	v_mov_b32_e32 v43, v2
	s_delay_alu instid0(VALU_DEP_2)
	v_dual_mov_b32 v1, v3 :: v_dual_mov_b32 v0, v4
.LBB47_32:
	global_load_u16 v1, v1, s[42:43]
	global_load_b32 v40, v0, s[38:39]
	s_and_not1_b32 vcc_lo, exec_lo, s60
	s_waitcnt vmcnt(1)
	v_lshlrev_b32_e32 v42, 16, v1
	s_cbranch_vccnz .LBB47_34
; %bb.33:
	s_waitcnt vmcnt(0)
	s_delay_alu instid0(VALU_DEP_1) | instskip(SKIP_3) | instid1(SALU_CYCLE_1)
	v_dual_mov_b32 v0, v42 :: v_dual_mov_b32 v1, v40
	s_getpc_b64 s[0:1]
	s_add_u32 s0, s0, _ZN12_GLOBAL__N_111calc_igammaIfEET_S1_S1_@rel32@lo+4
	s_addc_u32 s1, s1, _ZN12_GLOBAL__N_111calc_igammaIfEET_S1_S1_@rel32@hi+12
	s_swappc_b64 s[30:31], s[0:1]
	s_cbranch_execz .LBB47_35
	s_branch .LBB47_36
.LBB47_34:
                                        ; implicit-def: $vgpr0
.LBB47_35:
	s_waitcnt vmcnt(0)
	s_delay_alu instid0(VALU_DEP_1) | instskip(SKIP_3) | instid1(SALU_CYCLE_1)
	v_dual_mov_b32 v0, v42 :: v_dual_mov_b32 v1, v40
	s_getpc_b64 s[0:1]
	s_add_u32 s0, s0, _ZN12_GLOBAL__N_112calc_igammacIfEET_S1_S1_@rel32@lo+4
	s_addc_u32 s1, s1, _ZN12_GLOBAL__N_112calc_igammacIfEET_S1_S1_@rel32@hi+12
	s_swappc_b64 s[30:31], s[0:1]
.LBB47_36:
	v_bfe_u32 v1, v0, 16, 1
	v_cmp_o_f32_e32 vcc_lo, v0, v0
	v_add_nc_u32_e32 v47, 0x80, v47
	s_delay_alu instid0(VALU_DEP_3) | instskip(NEXT) | instid1(VALU_DEP_1)
	v_add3_u32 v1, v0, v1, 0x7fff
	v_lshrrev_b32_e32 v1, 16, v1
	s_delay_alu instid0(VALU_DEP_1) | instskip(SKIP_2) | instid1(SALU_CYCLE_1)
	v_cndmask_b32_e32 v0, 0x7fc0, v1, vcc_lo
	global_store_b16 v43, v0, s[40:41]
	s_or_b32 exec_lo, exec_lo, s65
	s_mov_b32 s65, exec_lo
	v_cmpx_gt_i32_e64 s63, v47
	s_cbranch_execz .LBB47_52
.LBB47_37:
	s_and_not1_b32 vcc_lo, exec_lo, s58
	s_cbranch_vccnz .LBB47_43
; %bb.38:
	v_dual_mov_b32 v43, 0 :: v_dual_mov_b32 v0, 0
	v_mov_b32_e32 v1, 0
	s_and_not1_b32 vcc_lo, exec_lo, s64
	s_mov_b32 s2, 0
	s_cbranch_vccnz .LBB47_44
; %bb.39:
	s_add_i32 s0, s62, 1
	v_dual_mov_b32 v0, 0 :: v_dual_mov_b32 v1, 0
	v_dual_mov_b32 v43, 0 :: v_dual_mov_b32 v2, v47
	s_and_b32 s3, s0, 30
	s_add_u32 s0, s36, 0xffffffec
	s_addc_u32 s1, s37, -1
	s_set_inst_prefetch_distance 0x1
	.p2align	6
.LBB47_40:                              ; =>This Inner Loop Header: Depth=1
	s_clause 0x2
	s_load_b128 s[4:7], s[0:1], 0x18
	s_load_b64 s[12:13], s[0:1], 0x28
	s_load_b128 s[8:11], s[0:1], 0xd8
	s_waitcnt lgkmcnt(0)
	v_mul_hi_u32 v3, s5, v2
	s_delay_alu instid0(VALU_DEP_1) | instskip(NEXT) | instid1(VALU_DEP_1)
	v_add_nc_u32_e32 v3, v2, v3
	v_lshrrev_b32_e32 v3, s6, v3
	s_delay_alu instid0(VALU_DEP_1)
	v_mul_hi_u32 v4, s12, v3
	v_mul_lo_u32 v5, v3, s4
	s_load_b64 s[4:5], s[0:1], 0xe8
	s_add_u32 s0, s0, 24
	s_addc_u32 s1, s1, 0
	s_add_i32 s3, s3, -2
	s_delay_alu instid0(SALU_CYCLE_1) | instskip(NEXT) | instid1(VALU_DEP_2)
	s_cmp_eq_u32 s3, 0
	v_add_nc_u32_e32 v4, v3, v4
	s_delay_alu instid0(VALU_DEP_2) | instskip(NEXT) | instid1(VALU_DEP_2)
	v_sub_nc_u32_e32 v5, v2, v5
	v_lshrrev_b32_e32 v2, s13, v4
	s_delay_alu instid0(VALU_DEP_2) | instskip(NEXT) | instid1(VALU_DEP_2)
	v_mul_lo_u32 v6, v5, s8
	v_mul_lo_u32 v4, v2, s7
	s_delay_alu instid0(VALU_DEP_1) | instskip(SKIP_2) | instid1(VALU_DEP_3)
	v_sub_nc_u32_e32 v3, v3, v4
	v_mul_lo_u32 v4, v5, s9
	v_mul_lo_u32 v5, v5, s10
	v_mul_lo_u32 v7, v3, s11
	s_waitcnt lgkmcnt(0)
	v_mul_lo_u32 v8, v3, s4
	v_mul_lo_u32 v3, v3, s5
	s_delay_alu instid0(VALU_DEP_3) | instskip(NEXT) | instid1(VALU_DEP_3)
	v_add3_u32 v43, v6, v43, v7
	v_add3_u32 v1, v4, v1, v8
	s_delay_alu instid0(VALU_DEP_3)
	v_add3_u32 v0, v5, v0, v3
	s_cbranch_scc0 .LBB47_40
; %bb.41:
	s_set_inst_prefetch_distance 0x2
	s_bitcmp1_b32 s62, 0
	s_cselect_b32 s3, -1, 0
	s_delay_alu instid0(SALU_CYCLE_1)
	s_and_b32 vcc_lo, exec_lo, s3
	s_cbranch_vccnz .LBB47_44
; %bb.42:
	s_clause 0x3
	s_load_b64 s[4:5], s[0:1], 0x18
	s_load_b32 s3, s[0:1], 0x20
	s_load_b64 s[6:7], s[0:1], 0xd8
	s_load_b32 s0, s[0:1], 0xe0
	s_waitcnt lgkmcnt(0)
	v_mul_hi_u32 v3, s5, v2
	s_delay_alu instid0(VALU_DEP_1) | instskip(NEXT) | instid1(VALU_DEP_1)
	v_add_nc_u32_e32 v3, v2, v3
	v_lshrrev_b32_e32 v3, s3, v3
	s_delay_alu instid0(VALU_DEP_1) | instskip(NEXT) | instid1(VALU_DEP_1)
	v_mul_lo_u32 v3, v3, s4
	v_sub_nc_u32_e32 v6, v2, v3
	s_delay_alu instid0(VALU_DEP_1) | instskip(NEXT) | instid1(VALU_DEP_1)
	v_mad_u64_u32 v[2:3], null, v6, s6, v[43:44]
	v_mad_u64_u32 v[3:4], null, v6, s7, v[1:2]
	;; [unrolled: 1-line block ×3, first 2 shown]
	v_mov_b32_e32 v43, v2
	s_delay_alu instid0(VALU_DEP_2)
	v_dual_mov_b32 v1, v3 :: v_dual_mov_b32 v0, v4
	s_branch .LBB47_44
.LBB47_43:
	s_mov_b32 s2, -1
                                        ; implicit-def: $vgpr43
                                        ; implicit-def: $vgpr1
                                        ; implicit-def: $vgpr0
.LBB47_44:
	s_delay_alu instid0(SALU_CYCLE_1)
	s_and_not1_b32 vcc_lo, exec_lo, s2
	s_cbranch_vccnz .LBB47_47
; %bb.45:
	v_mul_hi_u32 v0, s49, v47
	s_and_not1_b32 vcc_lo, exec_lo, s61
	s_delay_alu instid0(VALU_DEP_1) | instskip(NEXT) | instid1(VALU_DEP_1)
	v_add_nc_u32_e32 v0, v47, v0
	v_lshrrev_b32_e32 v2, s50, v0
	s_delay_alu instid0(VALU_DEP_1) | instskip(NEXT) | instid1(VALU_DEP_1)
	v_mul_lo_u32 v0, v2, s48
	v_sub_nc_u32_e32 v0, v47, v0
	s_delay_alu instid0(VALU_DEP_1)
	v_mul_lo_u32 v43, v0, s44
	v_mul_lo_u32 v1, v0, s45
	;; [unrolled: 1-line block ×3, first 2 shown]
	s_cbranch_vccnz .LBB47_47
; %bb.46:
	v_mul_hi_u32 v3, s54, v2
	s_delay_alu instid0(VALU_DEP_1) | instskip(NEXT) | instid1(VALU_DEP_1)
	v_add_nc_u32_e32 v3, v2, v3
	v_lshrrev_b32_e32 v3, s55, v3
	s_delay_alu instid0(VALU_DEP_1) | instskip(NEXT) | instid1(VALU_DEP_1)
	v_mul_lo_u32 v3, v3, s51
	v_sub_nc_u32_e32 v6, v2, v3
	s_delay_alu instid0(VALU_DEP_1) | instskip(NEXT) | instid1(VALU_DEP_1)
	v_mad_u64_u32 v[2:3], null, v6, s47, v[43:44]
	v_mad_u64_u32 v[3:4], null, v6, s52, v[1:2]
	;; [unrolled: 1-line block ×3, first 2 shown]
	v_mov_b32_e32 v43, v2
	s_delay_alu instid0(VALU_DEP_2)
	v_dual_mov_b32 v1, v3 :: v_dual_mov_b32 v0, v4
.LBB47_47:
	global_load_u16 v1, v1, s[42:43]
	global_load_b32 v40, v0, s[38:39]
	s_and_not1_b32 vcc_lo, exec_lo, s60
	s_waitcnt vmcnt(1)
	v_lshlrev_b32_e32 v42, 16, v1
	s_cbranch_vccnz .LBB47_49
; %bb.48:
	s_waitcnt vmcnt(0)
	s_delay_alu instid0(VALU_DEP_1) | instskip(SKIP_3) | instid1(SALU_CYCLE_1)
	v_dual_mov_b32 v0, v42 :: v_dual_mov_b32 v1, v40
	s_getpc_b64 s[0:1]
	s_add_u32 s0, s0, _ZN12_GLOBAL__N_111calc_igammaIfEET_S1_S1_@rel32@lo+4
	s_addc_u32 s1, s1, _ZN12_GLOBAL__N_111calc_igammaIfEET_S1_S1_@rel32@hi+12
	s_swappc_b64 s[30:31], s[0:1]
	s_cbranch_execz .LBB47_50
	s_branch .LBB47_51
.LBB47_49:
                                        ; implicit-def: $vgpr0
.LBB47_50:
	s_waitcnt vmcnt(0)
	s_delay_alu instid0(VALU_DEP_1) | instskip(SKIP_3) | instid1(SALU_CYCLE_1)
	v_dual_mov_b32 v0, v42 :: v_dual_mov_b32 v1, v40
	s_getpc_b64 s[0:1]
	s_add_u32 s0, s0, _ZN12_GLOBAL__N_112calc_igammacIfEET_S1_S1_@rel32@lo+4
	s_addc_u32 s1, s1, _ZN12_GLOBAL__N_112calc_igammacIfEET_S1_S1_@rel32@hi+12
	s_swappc_b64 s[30:31], s[0:1]
.LBB47_51:
	v_bfe_u32 v1, v0, 16, 1
	v_cmp_o_f32_e32 vcc_lo, v0, v0
	v_add_nc_u32_e32 v47, 0x80, v47
	s_delay_alu instid0(VALU_DEP_3) | instskip(NEXT) | instid1(VALU_DEP_1)
	v_add3_u32 v1, v0, v1, 0x7fff
	v_lshrrev_b32_e32 v1, 16, v1
	s_delay_alu instid0(VALU_DEP_1)
	v_cndmask_b32_e32 v0, 0x7fc0, v1, vcc_lo
	global_store_b16 v43, v0, s[40:41]
.LBB47_52:
	s_or_b32 exec_lo, exec_lo, s65
	v_cmp_gt_i32_e32 vcc_lo, s63, v47
	s_mov_b32 s0, 0
                                        ; implicit-def: $vgpr43_vgpr44
                                        ; implicit-def: $vgpr0
	s_and_saveexec_b32 s63, vcc_lo
	s_cbranch_execz .LBB47_68
; %bb.53:
	s_and_not1_b32 vcc_lo, exec_lo, s58
	s_cbranch_vccnz .LBB47_59
; %bb.54:
	v_dual_mov_b32 v1, 0 :: v_dual_mov_b32 v2, 0
	v_mov_b32_e32 v0, 0
	s_and_not1_b32 vcc_lo, exec_lo, s64
	s_mov_b32 s2, 0
	s_cbranch_vccnz .LBB47_60
; %bb.55:
	s_add_i32 s0, s62, 1
	v_dual_mov_b32 v0, 0 :: v_dual_mov_b32 v1, 0
	v_dual_mov_b32 v2, 0 :: v_dual_mov_b32 v3, v47
	s_and_b32 s3, s0, 30
	s_add_u32 s0, s36, 0xffffffec
	s_addc_u32 s1, s37, -1
	s_set_inst_prefetch_distance 0x1
	.p2align	6
.LBB47_56:                              ; =>This Inner Loop Header: Depth=1
	s_clause 0x2
	s_load_b128 s[4:7], s[0:1], 0x18
	s_load_b64 s[12:13], s[0:1], 0x28
	s_load_b128 s[8:11], s[0:1], 0xd8
	s_waitcnt lgkmcnt(0)
	v_mul_hi_u32 v4, s5, v3
	s_delay_alu instid0(VALU_DEP_1) | instskip(NEXT) | instid1(VALU_DEP_1)
	v_add_nc_u32_e32 v4, v3, v4
	v_lshrrev_b32_e32 v4, s6, v4
	s_delay_alu instid0(VALU_DEP_1)
	v_mul_hi_u32 v5, s12, v4
	v_mul_lo_u32 v6, v4, s4
	s_load_b64 s[4:5], s[0:1], 0xe8
	s_add_u32 s0, s0, 24
	s_addc_u32 s1, s1, 0
	s_add_i32 s3, s3, -2
	s_delay_alu instid0(SALU_CYCLE_1) | instskip(NEXT) | instid1(VALU_DEP_2)
	s_cmp_eq_u32 s3, 0
	v_add_nc_u32_e32 v5, v4, v5
	s_delay_alu instid0(VALU_DEP_2) | instskip(NEXT) | instid1(VALU_DEP_2)
	v_sub_nc_u32_e32 v6, v3, v6
	v_lshrrev_b32_e32 v3, s13, v5
	s_delay_alu instid0(VALU_DEP_2) | instskip(NEXT) | instid1(VALU_DEP_2)
	v_mul_lo_u32 v7, v6, s8
	v_mul_lo_u32 v5, v3, s7
	s_delay_alu instid0(VALU_DEP_1) | instskip(SKIP_2) | instid1(VALU_DEP_3)
	v_sub_nc_u32_e32 v4, v4, v5
	v_mul_lo_u32 v5, v6, s9
	v_mul_lo_u32 v6, v6, s10
	;; [unrolled: 1-line block ×3, first 2 shown]
	s_waitcnt lgkmcnt(0)
	v_mul_lo_u32 v9, v4, s4
	v_mul_lo_u32 v4, v4, s5
	s_delay_alu instid0(VALU_DEP_3) | instskip(NEXT) | instid1(VALU_DEP_3)
	v_add3_u32 v1, v7, v1, v8
	v_add3_u32 v2, v5, v2, v9
	s_delay_alu instid0(VALU_DEP_3)
	v_add3_u32 v0, v6, v0, v4
	s_cbranch_scc0 .LBB47_56
; %bb.57:
	s_set_inst_prefetch_distance 0x2
	s_bitcmp1_b32 s62, 0
	s_cselect_b32 s3, -1, 0
	s_delay_alu instid0(SALU_CYCLE_1)
	s_and_b32 vcc_lo, exec_lo, s3
	s_cbranch_vccnz .LBB47_60
; %bb.58:
	s_clause 0x3
	s_load_b64 s[4:5], s[0:1], 0x18
	s_load_b32 s3, s[0:1], 0x20
	s_load_b64 s[6:7], s[0:1], 0xd8
	s_load_b32 s0, s[0:1], 0xe0
	s_waitcnt lgkmcnt(0)
	v_mul_hi_u32 v4, s5, v3
	s_delay_alu instid0(VALU_DEP_1) | instskip(NEXT) | instid1(VALU_DEP_1)
	v_add_nc_u32_e32 v4, v3, v4
	v_lshrrev_b32_e32 v4, s3, v4
	s_delay_alu instid0(VALU_DEP_1) | instskip(NEXT) | instid1(VALU_DEP_1)
	v_mul_lo_u32 v4, v4, s4
	v_sub_nc_u32_e32 v7, v3, v4
	s_delay_alu instid0(VALU_DEP_1) | instskip(NEXT) | instid1(VALU_DEP_1)
	v_mad_u64_u32 v[3:4], null, v7, s6, v[1:2]
	v_mad_u64_u32 v[4:5], null, v7, s7, v[2:3]
	;; [unrolled: 1-line block ×3, first 2 shown]
	s_delay_alu instid0(VALU_DEP_2) | instskip(NEXT) | instid1(VALU_DEP_2)
	v_dual_mov_b32 v1, v3 :: v_dual_mov_b32 v2, v4
	v_mov_b32_e32 v0, v5
	s_branch .LBB47_60
.LBB47_59:
	s_mov_b32 s2, -1
                                        ; implicit-def: $vgpr1
                                        ; implicit-def: $vgpr2
                                        ; implicit-def: $vgpr0
.LBB47_60:
	s_delay_alu instid0(SALU_CYCLE_1)
	s_and_not1_b32 vcc_lo, exec_lo, s2
	s_cbranch_vccnz .LBB47_63
; %bb.61:
	v_mul_hi_u32 v0, s49, v47
	s_and_not1_b32 vcc_lo, exec_lo, s61
	s_delay_alu instid0(VALU_DEP_1) | instskip(NEXT) | instid1(VALU_DEP_1)
	v_add_nc_u32_e32 v0, v47, v0
	v_lshrrev_b32_e32 v3, s50, v0
	s_delay_alu instid0(VALU_DEP_1) | instskip(NEXT) | instid1(VALU_DEP_1)
	v_mul_lo_u32 v0, v3, s48
	v_sub_nc_u32_e32 v0, v47, v0
	s_delay_alu instid0(VALU_DEP_1)
	v_mul_lo_u32 v1, v0, s44
	v_mul_lo_u32 v2, v0, s45
	;; [unrolled: 1-line block ×3, first 2 shown]
	s_cbranch_vccnz .LBB47_63
; %bb.62:
	v_mul_hi_u32 v4, s54, v3
	s_delay_alu instid0(VALU_DEP_1) | instskip(NEXT) | instid1(VALU_DEP_1)
	v_add_nc_u32_e32 v4, v3, v4
	v_lshrrev_b32_e32 v4, s55, v4
	s_delay_alu instid0(VALU_DEP_1) | instskip(NEXT) | instid1(VALU_DEP_1)
	v_mul_lo_u32 v4, v4, s51
	v_sub_nc_u32_e32 v7, v3, v4
	s_delay_alu instid0(VALU_DEP_1) | instskip(NEXT) | instid1(VALU_DEP_1)
	v_mad_u64_u32 v[3:4], null, v7, s47, v[1:2]
	v_mad_u64_u32 v[4:5], null, v7, s52, v[2:3]
	;; [unrolled: 1-line block ×3, first 2 shown]
	s_delay_alu instid0(VALU_DEP_2) | instskip(NEXT) | instid1(VALU_DEP_2)
	v_dual_mov_b32 v1, v3 :: v_dual_mov_b32 v2, v4
	v_mov_b32_e32 v0, v5
.LBB47_63:
	global_load_u16 v2, v2, s[42:43]
	global_load_b32 v40, v0, s[38:39]
	v_add_co_u32 v43, s0, s40, v1
	s_delay_alu instid0(VALU_DEP_1)
	v_add_co_ci_u32_e64 v44, null, s41, 0, s0
	s_and_not1_b32 vcc_lo, exec_lo, s60
	s_waitcnt vmcnt(1)
	v_lshlrev_b32_e32 v42, 16, v2
	s_cbranch_vccnz .LBB47_65
; %bb.64:
	s_waitcnt vmcnt(0)
	s_delay_alu instid0(VALU_DEP_1) | instskip(SKIP_3) | instid1(SALU_CYCLE_1)
	v_dual_mov_b32 v0, v42 :: v_dual_mov_b32 v1, v40
	s_getpc_b64 s[0:1]
	s_add_u32 s0, s0, _ZN12_GLOBAL__N_111calc_igammaIfEET_S1_S1_@rel32@lo+4
	s_addc_u32 s1, s1, _ZN12_GLOBAL__N_111calc_igammaIfEET_S1_S1_@rel32@hi+12
	s_swappc_b64 s[30:31], s[0:1]
	s_cbranch_execz .LBB47_66
	s_branch .LBB47_67
.LBB47_65:
                                        ; implicit-def: $vgpr0
.LBB47_66:
	s_waitcnt vmcnt(0)
	s_delay_alu instid0(VALU_DEP_1) | instskip(SKIP_3) | instid1(SALU_CYCLE_1)
	v_dual_mov_b32 v0, v42 :: v_dual_mov_b32 v1, v40
	s_getpc_b64 s[0:1]
	s_add_u32 s0, s0, _ZN12_GLOBAL__N_112calc_igammacIfEET_S1_S1_@rel32@lo+4
	s_addc_u32 s1, s1, _ZN12_GLOBAL__N_112calc_igammacIfEET_S1_S1_@rel32@hi+12
	s_swappc_b64 s[30:31], s[0:1]
.LBB47_67:
	s_mov_b32 s0, exec_lo
.LBB47_68:
	s_or_b32 exec_lo, exec_lo, s63
	s_delay_alu instid0(SALU_CYCLE_1)
	s_and_b32 s44, s0, exec_lo
                                        ; implicit-def: $vgpr2
                                        ; implicit-def: $vgpr47
	s_and_not1_saveexec_b32 s45, s59
	s_cbranch_execz .LBB47_2
.LBB47_69:
	v_cndmask_b32_e64 v3, 0, 1, s58
	s_and_not1_b32 vcc_lo, exec_lo, s58
	s_cbranch_vccnz .LBB47_75
; %bb.70:
	v_dual_mov_b32 v46, 0 :: v_dual_mov_b32 v1, 0
	v_mov_b32_e32 v0, 0
	s_cmp_lg_u32 s56, 0
	s_mov_b32 s2, 0
	s_cbranch_scc0 .LBB47_76
; %bb.71:
	s_min_u32 s3, s57, 15
	v_dual_mov_b32 v0, 0 :: v_dual_mov_b32 v1, 0
	s_add_i32 s0, s3, 1
	v_mov_b32_e32 v46, 0
	v_mov_b32_e32 v4, v47
	s_and_b32 s4, s0, 30
	s_add_u32 s0, s36, 0xffffffec
	s_addc_u32 s1, s37, -1
	s_set_inst_prefetch_distance 0x1
	.p2align	6
.LBB47_72:                              ; =>This Inner Loop Header: Depth=1
	s_clause 0x2
	s_load_b128 s[8:11], s[0:1], 0x18
	s_load_b64 s[6:7], s[0:1], 0x28
	s_load_b128 s[12:15], s[0:1], 0xd8
	s_waitcnt lgkmcnt(0)
	v_mul_hi_u32 v5, s9, v4
	s_delay_alu instid0(VALU_DEP_1) | instskip(NEXT) | instid1(VALU_DEP_1)
	v_add_nc_u32_e32 v5, v4, v5
	v_lshrrev_b32_e32 v5, s10, v5
	s_delay_alu instid0(VALU_DEP_1)
	v_mul_hi_u32 v6, s6, v5
	v_mul_lo_u32 v7, v5, s8
	s_load_b64 s[8:9], s[0:1], 0xe8
	s_add_u32 s0, s0, 24
	s_addc_u32 s1, s1, 0
	s_add_i32 s4, s4, -2
	s_delay_alu instid0(SALU_CYCLE_1) | instskip(NEXT) | instid1(VALU_DEP_2)
	s_cmp_lg_u32 s4, 0
	v_add_nc_u32_e32 v6, v5, v6
	s_delay_alu instid0(VALU_DEP_2) | instskip(NEXT) | instid1(VALU_DEP_2)
	v_sub_nc_u32_e32 v7, v4, v7
	v_lshrrev_b32_e32 v4, s7, v6
	s_delay_alu instid0(VALU_DEP_2) | instskip(NEXT) | instid1(VALU_DEP_2)
	v_mul_lo_u32 v8, v7, s12
	v_mul_lo_u32 v6, v4, s11
	s_delay_alu instid0(VALU_DEP_1) | instskip(SKIP_2) | instid1(VALU_DEP_3)
	v_sub_nc_u32_e32 v5, v5, v6
	v_mul_lo_u32 v6, v7, s13
	v_mul_lo_u32 v7, v7, s14
	v_mul_lo_u32 v9, v5, s15
	s_waitcnt lgkmcnt(0)
	v_mul_lo_u32 v10, v5, s8
	v_mul_lo_u32 v5, v5, s9
	s_delay_alu instid0(VALU_DEP_3) | instskip(NEXT) | instid1(VALU_DEP_3)
	v_add3_u32 v46, v8, v46, v9
	v_add3_u32 v1, v6, v1, v10
	s_delay_alu instid0(VALU_DEP_3)
	v_add3_u32 v0, v7, v0, v5
	s_cbranch_scc1 .LBB47_72
; %bb.73:
	s_set_inst_prefetch_distance 0x2
	s_bitcmp1_b32 s3, 0
	s_cselect_b32 s3, -1, 0
	s_delay_alu instid0(SALU_CYCLE_1)
	s_and_b32 vcc_lo, exec_lo, s3
	s_cbranch_vccnz .LBB47_76
; %bb.74:
	s_clause 0x3
	s_load_b64 s[4:5], s[0:1], 0x18
	s_load_b32 s3, s[0:1], 0x20
	s_load_b64 s[6:7], s[0:1], 0xd8
	s_load_b32 s0, s[0:1], 0xe0
	s_waitcnt lgkmcnt(0)
	v_mul_hi_u32 v5, s5, v4
	s_delay_alu instid0(VALU_DEP_1) | instskip(NEXT) | instid1(VALU_DEP_1)
	v_add_nc_u32_e32 v5, v4, v5
	v_lshrrev_b32_e32 v5, s3, v5
	s_delay_alu instid0(VALU_DEP_1) | instskip(NEXT) | instid1(VALU_DEP_1)
	v_mul_lo_u32 v5, v5, s4
	v_sub_nc_u32_e32 v8, v4, v5
	s_delay_alu instid0(VALU_DEP_1) | instskip(SKIP_2) | instid1(VALU_DEP_2)
	v_mad_u64_u32 v[4:5], null, v8, s6, v[46:47]
	v_mad_u64_u32 v[5:6], null, v8, s7, v[1:2]
	;; [unrolled: 1-line block ×3, first 2 shown]
	v_dual_mov_b32 v46, v4 :: v_dual_mov_b32 v1, v5
	s_delay_alu instid0(VALU_DEP_2)
	v_mov_b32_e32 v0, v6
	s_branch .LBB47_76
.LBB47_75:
	s_mov_b32 s2, -1
                                        ; implicit-def: $vgpr46
                                        ; implicit-def: $vgpr1
                                        ; implicit-def: $vgpr0
.LBB47_76:
	s_delay_alu instid0(SALU_CYCLE_1)
	s_and_not1_b32 vcc_lo, exec_lo, s2
	s_cbranch_vccnz .LBB47_79
; %bb.77:
	s_clause 0x1
	s_load_b128 s[0:3], s[36:37], 0x4
	s_load_b128 s[4:7], s[36:37], 0xc4
	s_cmp_lt_u32 s56, 2
	s_waitcnt lgkmcnt(0)
	v_mul_hi_u32 v0, s1, v47
	s_delay_alu instid0(VALU_DEP_1) | instskip(NEXT) | instid1(VALU_DEP_1)
	v_add_nc_u32_e32 v0, v47, v0
	v_lshrrev_b32_e32 v4, s2, v0
	s_delay_alu instid0(VALU_DEP_1) | instskip(NEXT) | instid1(VALU_DEP_1)
	v_mul_lo_u32 v0, v4, s0
	v_sub_nc_u32_e32 v0, v47, v0
	s_delay_alu instid0(VALU_DEP_1)
	v_mul_lo_u32 v46, v0, s4
	v_mul_lo_u32 v1, v0, s5
	;; [unrolled: 1-line block ×3, first 2 shown]
	s_cbranch_scc1 .LBB47_79
; %bb.78:
	s_clause 0x1
	s_load_b128 s[0:3], s[36:37], 0x10
	s_load_b128 s[4:7], s[36:37], 0xd0
	s_waitcnt lgkmcnt(0)
	v_mul_hi_u32 v5, s1, v4
	s_delay_alu instid0(VALU_DEP_1) | instskip(NEXT) | instid1(VALU_DEP_1)
	v_add_nc_u32_e32 v5, v4, v5
	v_lshrrev_b32_e32 v5, s2, v5
	s_delay_alu instid0(VALU_DEP_1) | instskip(NEXT) | instid1(VALU_DEP_1)
	v_mul_lo_u32 v5, v5, s0
	v_sub_nc_u32_e32 v8, v4, v5
	s_delay_alu instid0(VALU_DEP_1) | instskip(SKIP_2) | instid1(VALU_DEP_2)
	v_mad_u64_u32 v[4:5], null, v8, s4, v[46:47]
	v_mad_u64_u32 v[5:6], null, v8, s5, v[1:2]
	;; [unrolled: 1-line block ×3, first 2 shown]
	v_dual_mov_b32 v46, v4 :: v_dual_mov_b32 v1, v5
	s_delay_alu instid0(VALU_DEP_2)
	v_mov_b32_e32 v0, v6
.LBB47_79:
	v_cmp_ne_u32_e32 vcc_lo, 1, v3
	v_add_nc_u32_e32 v4, 0x80, v47
	s_cbranch_vccnz .LBB47_85
; %bb.80:
	v_dual_mov_b32 v56, 0 :: v_dual_mov_b32 v45, 0
	v_mov_b32_e32 v44, 0
	s_cmp_lg_u32 s56, 0
	s_mov_b32 s2, 0
	s_cbranch_scc0 .LBB47_86
; %bb.81:
	s_min_u32 s3, s57, 15
	v_dual_mov_b32 v44, 0 :: v_dual_mov_b32 v45, 0
	s_add_i32 s0, s3, 1
	v_dual_mov_b32 v56, 0 :: v_dual_mov_b32 v5, v4
	s_and_b32 s4, s0, 30
	s_add_u32 s0, s36, 0xffffffec
	s_addc_u32 s1, s37, -1
	s_set_inst_prefetch_distance 0x1
	.p2align	6
.LBB47_82:                              ; =>This Inner Loop Header: Depth=1
	s_clause 0x2
	s_load_b128 s[8:11], s[0:1], 0x18
	s_load_b64 s[6:7], s[0:1], 0x28
	s_load_b128 s[12:15], s[0:1], 0xd8
	s_waitcnt lgkmcnt(0)
	v_mul_hi_u32 v6, s9, v5
	s_delay_alu instid0(VALU_DEP_1) | instskip(NEXT) | instid1(VALU_DEP_1)
	v_add_nc_u32_e32 v6, v5, v6
	v_lshrrev_b32_e32 v6, s10, v6
	s_delay_alu instid0(VALU_DEP_1)
	v_mul_hi_u32 v7, s6, v6
	v_mul_lo_u32 v8, v6, s8
	s_load_b64 s[8:9], s[0:1], 0xe8
	s_add_u32 s0, s0, 24
	s_addc_u32 s1, s1, 0
	s_add_i32 s4, s4, -2
	s_delay_alu instid0(SALU_CYCLE_1) | instskip(NEXT) | instid1(VALU_DEP_2)
	s_cmp_lg_u32 s4, 0
	v_add_nc_u32_e32 v7, v6, v7
	s_delay_alu instid0(VALU_DEP_2) | instskip(NEXT) | instid1(VALU_DEP_2)
	v_sub_nc_u32_e32 v8, v5, v8
	v_lshrrev_b32_e32 v5, s7, v7
	s_delay_alu instid0(VALU_DEP_2) | instskip(NEXT) | instid1(VALU_DEP_2)
	v_mul_lo_u32 v9, v8, s12
	v_mul_lo_u32 v7, v5, s11
	s_delay_alu instid0(VALU_DEP_1) | instskip(SKIP_2) | instid1(VALU_DEP_3)
	v_sub_nc_u32_e32 v6, v6, v7
	v_mul_lo_u32 v7, v8, s13
	v_mul_lo_u32 v8, v8, s14
	;; [unrolled: 1-line block ×3, first 2 shown]
	s_waitcnt lgkmcnt(0)
	v_mul_lo_u32 v11, v6, s8
	v_mul_lo_u32 v6, v6, s9
	s_delay_alu instid0(VALU_DEP_3) | instskip(NEXT) | instid1(VALU_DEP_3)
	v_add3_u32 v56, v9, v56, v10
	v_add3_u32 v45, v7, v45, v11
	s_delay_alu instid0(VALU_DEP_3)
	v_add3_u32 v44, v8, v44, v6
	s_cbranch_scc1 .LBB47_82
; %bb.83:
	s_set_inst_prefetch_distance 0x2
	s_bitcmp1_b32 s3, 0
	s_cselect_b32 s3, -1, 0
	s_delay_alu instid0(SALU_CYCLE_1)
	s_and_b32 vcc_lo, exec_lo, s3
	s_cbranch_vccnz .LBB47_86
; %bb.84:
	s_clause 0x3
	s_load_b64 s[4:5], s[0:1], 0x18
	s_load_b32 s3, s[0:1], 0x20
	s_load_b64 s[6:7], s[0:1], 0xd8
	s_load_b32 s0, s[0:1], 0xe0
	s_waitcnt lgkmcnt(0)
	v_mul_hi_u32 v6, s5, v5
	s_delay_alu instid0(VALU_DEP_1) | instskip(NEXT) | instid1(VALU_DEP_1)
	v_add_nc_u32_e32 v6, v5, v6
	v_lshrrev_b32_e32 v6, s3, v6
	s_delay_alu instid0(VALU_DEP_1) | instskip(NEXT) | instid1(VALU_DEP_1)
	v_mul_lo_u32 v6, v6, s4
	v_sub_nc_u32_e32 v9, v5, v6
	s_delay_alu instid0(VALU_DEP_1) | instskip(SKIP_2) | instid1(VALU_DEP_2)
	v_mad_u64_u32 v[5:6], null, v9, s6, v[56:57]
	v_mad_u64_u32 v[6:7], null, v9, s7, v[45:46]
	;; [unrolled: 1-line block ×3, first 2 shown]
	v_dual_mov_b32 v56, v5 :: v_dual_mov_b32 v45, v6
	s_delay_alu instid0(VALU_DEP_2)
	v_mov_b32_e32 v44, v7
	s_branch .LBB47_86
.LBB47_85:
	s_mov_b32 s2, -1
                                        ; implicit-def: $vgpr56
                                        ; implicit-def: $vgpr45
                                        ; implicit-def: $vgpr44
.LBB47_86:
	s_delay_alu instid0(SALU_CYCLE_1)
	s_and_not1_b32 vcc_lo, exec_lo, s2
	s_cbranch_vccnz .LBB47_89
; %bb.87:
	s_clause 0x1
	s_load_b128 s[0:3], s[36:37], 0x4
	s_load_b128 s[4:7], s[36:37], 0xc4
	s_cmp_lt_u32 s56, 2
	s_waitcnt lgkmcnt(0)
	v_mul_hi_u32 v5, s1, v4
	s_delay_alu instid0(VALU_DEP_1) | instskip(NEXT) | instid1(VALU_DEP_1)
	v_add_nc_u32_e32 v5, v4, v5
	v_lshrrev_b32_e32 v5, s2, v5
	s_delay_alu instid0(VALU_DEP_1) | instskip(NEXT) | instid1(VALU_DEP_1)
	v_mul_lo_u32 v6, v5, s0
	v_sub_nc_u32_e32 v4, v4, v6
	s_delay_alu instid0(VALU_DEP_1)
	v_mul_lo_u32 v56, v4, s4
	v_mul_lo_u32 v45, v4, s5
	;; [unrolled: 1-line block ×3, first 2 shown]
	s_cbranch_scc1 .LBB47_89
; %bb.88:
	s_clause 0x1
	s_load_b128 s[0:3], s[36:37], 0x10
	s_load_b128 s[4:7], s[36:37], 0xd0
	s_waitcnt lgkmcnt(0)
	v_mul_hi_u32 v4, s1, v5
	s_delay_alu instid0(VALU_DEP_1) | instskip(NEXT) | instid1(VALU_DEP_1)
	v_add_nc_u32_e32 v4, v5, v4
	v_lshrrev_b32_e32 v4, s2, v4
	s_delay_alu instid0(VALU_DEP_1) | instskip(NEXT) | instid1(VALU_DEP_1)
	v_mul_lo_u32 v4, v4, s0
	v_sub_nc_u32_e32 v8, v5, v4
	s_delay_alu instid0(VALU_DEP_1) | instskip(SKIP_2) | instid1(VALU_DEP_2)
	v_mad_u64_u32 v[4:5], null, v8, s4, v[56:57]
	v_mad_u64_u32 v[5:6], null, v8, s5, v[45:46]
	;; [unrolled: 1-line block ×3, first 2 shown]
	v_dual_mov_b32 v56, v4 :: v_dual_mov_b32 v45, v5
	s_delay_alu instid0(VALU_DEP_2)
	v_mov_b32_e32 v44, v6
.LBB47_89:
	v_cmp_ne_u32_e32 vcc_lo, 1, v3
	v_add_nc_u32_e32 v4, 0x100, v47
	s_cbranch_vccnz .LBB47_95
; %bb.90:
	v_dual_mov_b32 v57, 0 :: v_dual_mov_b32 v58, 0
	v_mov_b32_e32 v59, 0
	s_cmp_lg_u32 s56, 0
	s_mov_b32 s2, 0
	s_cbranch_scc0 .LBB47_96
; %bb.91:
	s_min_u32 s3, s57, 15
	v_dual_mov_b32 v58, 0 :: v_dual_mov_b32 v59, 0
	s_add_i32 s0, s3, 1
	v_mov_b32_e32 v57, 0
	v_mov_b32_e32 v5, v4
	s_and_b32 s4, s0, 30
	s_add_u32 s0, s36, 0xffffffec
	s_addc_u32 s1, s37, -1
	s_set_inst_prefetch_distance 0x1
	.p2align	6
.LBB47_92:                              ; =>This Inner Loop Header: Depth=1
	s_clause 0x2
	s_load_b128 s[8:11], s[0:1], 0x18
	s_load_b64 s[6:7], s[0:1], 0x28
	s_load_b128 s[12:15], s[0:1], 0xd8
	s_waitcnt lgkmcnt(0)
	v_mul_hi_u32 v6, s9, v5
	s_delay_alu instid0(VALU_DEP_1) | instskip(NEXT) | instid1(VALU_DEP_1)
	v_add_nc_u32_e32 v6, v5, v6
	v_lshrrev_b32_e32 v6, s10, v6
	s_delay_alu instid0(VALU_DEP_1)
	v_mul_hi_u32 v7, s6, v6
	v_mul_lo_u32 v8, v6, s8
	s_load_b64 s[8:9], s[0:1], 0xe8
	s_add_u32 s0, s0, 24
	s_addc_u32 s1, s1, 0
	s_add_i32 s4, s4, -2
	s_delay_alu instid0(SALU_CYCLE_1) | instskip(NEXT) | instid1(VALU_DEP_2)
	s_cmp_lg_u32 s4, 0
	v_add_nc_u32_e32 v7, v6, v7
	s_delay_alu instid0(VALU_DEP_2) | instskip(NEXT) | instid1(VALU_DEP_2)
	v_sub_nc_u32_e32 v8, v5, v8
	v_lshrrev_b32_e32 v5, s7, v7
	s_delay_alu instid0(VALU_DEP_2) | instskip(NEXT) | instid1(VALU_DEP_2)
	v_mul_lo_u32 v9, v8, s12
	v_mul_lo_u32 v7, v5, s11
	s_delay_alu instid0(VALU_DEP_1) | instskip(SKIP_2) | instid1(VALU_DEP_3)
	v_sub_nc_u32_e32 v6, v6, v7
	v_mul_lo_u32 v7, v8, s13
	v_mul_lo_u32 v8, v8, s14
	;; [unrolled: 1-line block ×3, first 2 shown]
	s_waitcnt lgkmcnt(0)
	v_mul_lo_u32 v11, v6, s8
	v_mul_lo_u32 v6, v6, s9
	s_delay_alu instid0(VALU_DEP_3) | instskip(NEXT) | instid1(VALU_DEP_3)
	v_add3_u32 v57, v9, v57, v10
	v_add3_u32 v59, v7, v59, v11
	s_delay_alu instid0(VALU_DEP_3)
	v_add3_u32 v58, v8, v58, v6
	s_cbranch_scc1 .LBB47_92
; %bb.93:
	s_set_inst_prefetch_distance 0x2
	s_bitcmp1_b32 s3, 0
	s_cselect_b32 s3, -1, 0
	s_delay_alu instid0(SALU_CYCLE_1)
	s_and_b32 vcc_lo, exec_lo, s3
	s_cbranch_vccnz .LBB47_96
; %bb.94:
	s_clause 0x3
	s_load_b64 s[4:5], s[0:1], 0x18
	s_load_b32 s3, s[0:1], 0x20
	s_load_b64 s[6:7], s[0:1], 0xd8
	s_load_b32 s0, s[0:1], 0xe0
	s_waitcnt lgkmcnt(0)
	v_mul_hi_u32 v6, s5, v5
	s_delay_alu instid0(VALU_DEP_1) | instskip(NEXT) | instid1(VALU_DEP_1)
	v_add_nc_u32_e32 v6, v5, v6
	v_lshrrev_b32_e32 v6, s3, v6
	s_delay_alu instid0(VALU_DEP_1) | instskip(NEXT) | instid1(VALU_DEP_1)
	v_mul_lo_u32 v6, v6, s4
	v_sub_nc_u32_e32 v9, v5, v6
	s_delay_alu instid0(VALU_DEP_1) | instskip(SKIP_2) | instid1(VALU_DEP_3)
	v_mad_u64_u32 v[5:6], null, v9, s6, v[57:58]
	v_mad_u64_u32 v[6:7], null, v9, s7, v[59:60]
	;; [unrolled: 1-line block ×3, first 2 shown]
	v_mov_b32_e32 v57, v5
	s_delay_alu instid0(VALU_DEP_2)
	v_dual_mov_b32 v59, v6 :: v_dual_mov_b32 v58, v7
	s_branch .LBB47_96
.LBB47_95:
	s_mov_b32 s2, -1
                                        ; implicit-def: $vgpr57
                                        ; implicit-def: $vgpr59
                                        ; implicit-def: $vgpr58
.LBB47_96:
	s_delay_alu instid0(SALU_CYCLE_1)
	s_and_not1_b32 vcc_lo, exec_lo, s2
	s_cbranch_vccnz .LBB47_99
; %bb.97:
	s_clause 0x1
	s_load_b128 s[0:3], s[36:37], 0x4
	s_load_b128 s[4:7], s[36:37], 0xc4
	s_cmp_lt_u32 s56, 2
	s_waitcnt lgkmcnt(0)
	v_mul_hi_u32 v5, s1, v4
	s_delay_alu instid0(VALU_DEP_1) | instskip(NEXT) | instid1(VALU_DEP_1)
	v_add_nc_u32_e32 v5, v4, v5
	v_lshrrev_b32_e32 v5, s2, v5
	s_delay_alu instid0(VALU_DEP_1) | instskip(NEXT) | instid1(VALU_DEP_1)
	v_mul_lo_u32 v6, v5, s0
	v_sub_nc_u32_e32 v4, v4, v6
	s_delay_alu instid0(VALU_DEP_1)
	v_mul_lo_u32 v57, v4, s4
	v_mul_lo_u32 v59, v4, s5
	;; [unrolled: 1-line block ×3, first 2 shown]
	s_cbranch_scc1 .LBB47_99
; %bb.98:
	s_clause 0x1
	s_load_b128 s[0:3], s[36:37], 0x10
	s_load_b128 s[4:7], s[36:37], 0xd0
	s_waitcnt lgkmcnt(0)
	v_mul_hi_u32 v4, s1, v5
	s_delay_alu instid0(VALU_DEP_1) | instskip(NEXT) | instid1(VALU_DEP_1)
	v_add_nc_u32_e32 v4, v5, v4
	v_lshrrev_b32_e32 v4, s2, v4
	s_delay_alu instid0(VALU_DEP_1) | instskip(NEXT) | instid1(VALU_DEP_1)
	v_mul_lo_u32 v4, v4, s0
	v_sub_nc_u32_e32 v8, v5, v4
	s_delay_alu instid0(VALU_DEP_1) | instskip(SKIP_2) | instid1(VALU_DEP_3)
	v_mad_u64_u32 v[4:5], null, v8, s4, v[57:58]
	v_mad_u64_u32 v[5:6], null, v8, s5, v[59:60]
	;; [unrolled: 1-line block ×3, first 2 shown]
	v_mov_b32_e32 v57, v4
	s_delay_alu instid0(VALU_DEP_2)
	v_dual_mov_b32 v59, v5 :: v_dual_mov_b32 v58, v6
.LBB47_99:
	v_cmp_ne_u32_e32 vcc_lo, 1, v3
	s_cbranch_vccnz .LBB47_105
; %bb.100:
	v_dual_mov_b32 v60, 0 :: v_dual_mov_b32 v61, 0
	v_mov_b32_e32 v62, 0
	s_cmp_lg_u32 s56, 0
	s_mov_b32 s2, 0
	s_cbranch_scc0 .LBB47_106
; %bb.101:
	s_min_u32 s3, s57, 15
	v_dual_mov_b32 v61, 0 :: v_dual_mov_b32 v62, 0
	s_add_i32 s0, s3, 1
	v_dual_mov_b32 v60, 0 :: v_dual_mov_b32 v3, v2
	s_and_b32 s4, s0, 30
	s_add_u32 s0, s36, 0xffffffec
	s_addc_u32 s1, s37, -1
	s_set_inst_prefetch_distance 0x1
	.p2align	6
.LBB47_102:                             ; =>This Inner Loop Header: Depth=1
	s_clause 0x2
	s_load_b128 s[8:11], s[0:1], 0x18
	s_load_b64 s[6:7], s[0:1], 0x28
	s_load_b128 s[12:15], s[0:1], 0xd8
	s_waitcnt lgkmcnt(0)
	v_mul_hi_u32 v4, s9, v3
	s_delay_alu instid0(VALU_DEP_1) | instskip(NEXT) | instid1(VALU_DEP_1)
	v_add_nc_u32_e32 v4, v3, v4
	v_lshrrev_b32_e32 v4, s10, v4
	s_delay_alu instid0(VALU_DEP_1)
	v_mul_hi_u32 v5, s6, v4
	v_mul_lo_u32 v6, v4, s8
	s_load_b64 s[8:9], s[0:1], 0xe8
	s_add_u32 s0, s0, 24
	s_addc_u32 s1, s1, 0
	s_add_i32 s4, s4, -2
	s_delay_alu instid0(SALU_CYCLE_1) | instskip(NEXT) | instid1(VALU_DEP_2)
	s_cmp_lg_u32 s4, 0
	v_add_nc_u32_e32 v5, v4, v5
	s_delay_alu instid0(VALU_DEP_2) | instskip(NEXT) | instid1(VALU_DEP_2)
	v_sub_nc_u32_e32 v6, v3, v6
	v_lshrrev_b32_e32 v3, s7, v5
	s_delay_alu instid0(VALU_DEP_2) | instskip(NEXT) | instid1(VALU_DEP_2)
	v_mul_lo_u32 v7, v6, s12
	v_mul_lo_u32 v5, v3, s11
	s_delay_alu instid0(VALU_DEP_1) | instskip(SKIP_2) | instid1(VALU_DEP_3)
	v_sub_nc_u32_e32 v4, v4, v5
	v_mul_lo_u32 v5, v6, s13
	v_mul_lo_u32 v6, v6, s14
	v_mul_lo_u32 v8, v4, s15
	s_waitcnt lgkmcnt(0)
	v_mul_lo_u32 v9, v4, s8
	v_mul_lo_u32 v4, v4, s9
	s_delay_alu instid0(VALU_DEP_3) | instskip(NEXT) | instid1(VALU_DEP_3)
	v_add3_u32 v60, v7, v60, v8
	v_add3_u32 v62, v5, v62, v9
	s_delay_alu instid0(VALU_DEP_3)
	v_add3_u32 v61, v6, v61, v4
	s_cbranch_scc1 .LBB47_102
; %bb.103:
	s_set_inst_prefetch_distance 0x2
	s_bitcmp1_b32 s3, 0
	s_cselect_b32 s3, -1, 0
	s_delay_alu instid0(SALU_CYCLE_1)
	s_and_b32 vcc_lo, exec_lo, s3
	s_cbranch_vccnz .LBB47_106
; %bb.104:
	s_clause 0x3
	s_load_b64 s[4:5], s[0:1], 0x18
	s_load_b32 s3, s[0:1], 0x20
	s_load_b64 s[6:7], s[0:1], 0xd8
	s_load_b32 s0, s[0:1], 0xe0
	s_waitcnt lgkmcnt(0)
	v_mul_hi_u32 v4, s5, v3
	s_delay_alu instid0(VALU_DEP_1) | instskip(NEXT) | instid1(VALU_DEP_1)
	v_add_nc_u32_e32 v4, v3, v4
	v_lshrrev_b32_e32 v4, s3, v4
	s_delay_alu instid0(VALU_DEP_1) | instskip(NEXT) | instid1(VALU_DEP_1)
	v_mul_lo_u32 v4, v4, s4
	v_sub_nc_u32_e32 v7, v3, v4
	s_delay_alu instid0(VALU_DEP_1) | instskip(SKIP_2) | instid1(VALU_DEP_3)
	v_mad_u64_u32 v[3:4], null, v7, s6, v[60:61]
	v_mad_u64_u32 v[4:5], null, v7, s7, v[62:63]
	v_mad_u64_u32 v[5:6], null, v7, s0, v[61:62]
	v_mov_b32_e32 v60, v3
	s_delay_alu instid0(VALU_DEP_2)
	v_dual_mov_b32 v62, v4 :: v_dual_mov_b32 v61, v5
	s_branch .LBB47_106
.LBB47_105:
	s_mov_b32 s2, -1
                                        ; implicit-def: $vgpr60
                                        ; implicit-def: $vgpr62
                                        ; implicit-def: $vgpr61
.LBB47_106:
	s_delay_alu instid0(SALU_CYCLE_1)
	s_and_not1_b32 vcc_lo, exec_lo, s2
	s_cbranch_vccnz .LBB47_109
; %bb.107:
	s_clause 0x1
	s_load_b128 s[0:3], s[36:37], 0x4
	s_load_b128 s[4:7], s[36:37], 0xc4
	s_cmp_lt_u32 s56, 2
	s_waitcnt lgkmcnt(0)
	v_mul_hi_u32 v3, s1, v2
	s_delay_alu instid0(VALU_DEP_1) | instskip(NEXT) | instid1(VALU_DEP_1)
	v_add_nc_u32_e32 v3, v2, v3
	v_lshrrev_b32_e32 v3, s2, v3
	s_delay_alu instid0(VALU_DEP_1) | instskip(NEXT) | instid1(VALU_DEP_1)
	v_mul_lo_u32 v4, v3, s0
	v_sub_nc_u32_e32 v2, v2, v4
	s_delay_alu instid0(VALU_DEP_1)
	v_mul_lo_u32 v60, v2, s4
	v_mul_lo_u32 v62, v2, s5
	;; [unrolled: 1-line block ×3, first 2 shown]
	s_cbranch_scc1 .LBB47_109
; %bb.108:
	s_clause 0x1
	s_load_b128 s[0:3], s[36:37], 0x10
	s_load_b128 s[4:7], s[36:37], 0xd0
	s_waitcnt lgkmcnt(0)
	v_mul_hi_u32 v2, s1, v3
	s_delay_alu instid0(VALU_DEP_1) | instskip(NEXT) | instid1(VALU_DEP_1)
	v_add_nc_u32_e32 v2, v3, v2
	v_lshrrev_b32_e32 v2, s2, v2
	s_delay_alu instid0(VALU_DEP_1) | instskip(NEXT) | instid1(VALU_DEP_1)
	v_mul_lo_u32 v2, v2, s0
	v_sub_nc_u32_e32 v6, v3, v2
	s_delay_alu instid0(VALU_DEP_1) | instskip(SKIP_2) | instid1(VALU_DEP_3)
	v_mad_u64_u32 v[2:3], null, v6, s4, v[60:61]
	v_mad_u64_u32 v[3:4], null, v6, s5, v[62:63]
	;; [unrolled: 1-line block ×3, first 2 shown]
	v_mov_b32_e32 v60, v2
	s_delay_alu instid0(VALU_DEP_2)
	v_dual_mov_b32 v62, v3 :: v_dual_mov_b32 v61, v4
.LBB47_109:
	s_clause 0x2
	s_load_b128 s[40:43], s[36:37], 0x188
	s_load_b64 s[38:39], s[36:37], 0x198
	s_load_b32 s0, s[36:37], 0x1a0
	s_waitcnt lgkmcnt(0)
	global_load_u16 v1, v1, s[42:43]
	global_load_b32 v40, v0, s[38:39]
	s_bitcmp1_b32 s0, 0
	s_cselect_b32 s0, -1, 0
	s_delay_alu instid0(SALU_CYCLE_1)
	s_xor_b32 s36, s0, -1
	s_mov_b32 s0, -1
	s_and_b32 vcc_lo, exec_lo, s36
	s_waitcnt vmcnt(1)
	v_lshlrev_b32_e32 v43, 16, v1
	s_cbranch_vccz .LBB47_111
; %bb.110:
	s_waitcnt vmcnt(0)
	s_delay_alu instid0(VALU_DEP_1) | instskip(SKIP_3) | instid1(SALU_CYCLE_1)
	v_dual_mov_b32 v0, v43 :: v_dual_mov_b32 v1, v40
	s_getpc_b64 s[0:1]
	s_add_u32 s0, s0, _ZN12_GLOBAL__N_111calc_igammaIfEET_S1_S1_@rel32@lo+4
	s_addc_u32 s1, s1, _ZN12_GLOBAL__N_111calc_igammaIfEET_S1_S1_@rel32@hi+12
	s_swappc_b64 s[30:31], s[0:1]
	v_mov_b32_e32 v42, v0
	s_cbranch_execz .LBB47_112
	s_branch .LBB47_113
.LBB47_111:
                                        ; implicit-def: $vgpr42
	s_and_not1_b32 vcc_lo, exec_lo, s0
	s_cbranch_vccnz .LBB47_113
.LBB47_112:
	s_waitcnt vmcnt(0)
	v_dual_mov_b32 v0, v43 :: v_dual_mov_b32 v1, v40
	s_getpc_b64 s[0:1]
	s_add_u32 s0, s0, _ZN12_GLOBAL__N_112calc_igammacIfEET_S1_S1_@rel32@lo+4
	s_addc_u32 s1, s1, _ZN12_GLOBAL__N_112calc_igammacIfEET_S1_S1_@rel32@hi+12
	s_delay_alu instid0(SALU_CYCLE_1)
	s_swappc_b64 s[30:31], s[0:1]
	v_mov_b32_e32 v42, v0
.LBB47_113:
	global_load_u16 v0, v45, s[42:43]
	global_load_b32 v40, v44, s[38:39]
	s_and_b32 vcc_lo, exec_lo, s36
	s_waitcnt vmcnt(1)
	v_lshlrev_b32_e32 v44, 16, v0
	s_cbranch_vccz .LBB47_115
; %bb.114:
	s_delay_alu instid0(VALU_DEP_1)
	v_mov_b32_e32 v0, v44
	s_waitcnt vmcnt(0)
	v_mov_b32_e32 v1, v40
	s_getpc_b64 s[0:1]
	s_add_u32 s0, s0, _ZN12_GLOBAL__N_111calc_igammaIfEET_S1_S1_@rel32@lo+4
	s_addc_u32 s1, s1, _ZN12_GLOBAL__N_111calc_igammaIfEET_S1_S1_@rel32@hi+12
	s_delay_alu instid0(SALU_CYCLE_1)
	s_swappc_b64 s[30:31], s[0:1]
	v_mov_b32_e32 v43, v0
	s_cbranch_execz .LBB47_116
	s_branch .LBB47_117
.LBB47_115:
                                        ; implicit-def: $vgpr43
.LBB47_116:
	s_delay_alu instid0(VALU_DEP_1)
	v_mov_b32_e32 v0, v44
	s_waitcnt vmcnt(0)
	v_mov_b32_e32 v1, v40
	s_getpc_b64 s[0:1]
	s_add_u32 s0, s0, _ZN12_GLOBAL__N_112calc_igammacIfEET_S1_S1_@rel32@lo+4
	s_addc_u32 s1, s1, _ZN12_GLOBAL__N_112calc_igammacIfEET_S1_S1_@rel32@hi+12
	s_delay_alu instid0(SALU_CYCLE_1)
	s_swappc_b64 s[30:31], s[0:1]
	v_mov_b32_e32 v43, v0
.LBB47_117:
	global_load_u16 v0, v59, s[42:43]
	global_load_b32 v40, v58, s[38:39]
	s_and_b32 vcc_lo, exec_lo, s36
	s_waitcnt vmcnt(1)
	v_lshlrev_b32_e32 v45, 16, v0
	s_cbranch_vccz .LBB47_119
; %bb.118:
	s_waitcnt vmcnt(0)
	s_delay_alu instid0(VALU_DEP_1) | instskip(SKIP_3) | instid1(SALU_CYCLE_1)
	v_dual_mov_b32 v0, v45 :: v_dual_mov_b32 v1, v40
	s_getpc_b64 s[0:1]
	s_add_u32 s0, s0, _ZN12_GLOBAL__N_111calc_igammaIfEET_S1_S1_@rel32@lo+4
	s_addc_u32 s1, s1, _ZN12_GLOBAL__N_111calc_igammaIfEET_S1_S1_@rel32@hi+12
	s_swappc_b64 s[30:31], s[0:1]
	v_mov_b32_e32 v44, v0
	s_cbranch_execz .LBB47_120
	s_branch .LBB47_121
.LBB47_119:
                                        ; implicit-def: $vgpr44
.LBB47_120:
	s_waitcnt vmcnt(0)
	s_delay_alu instid0(VALU_DEP_1) | instskip(SKIP_3) | instid1(SALU_CYCLE_1)
	v_dual_mov_b32 v0, v45 :: v_dual_mov_b32 v1, v40
	s_getpc_b64 s[0:1]
	s_add_u32 s0, s0, _ZN12_GLOBAL__N_112calc_igammacIfEET_S1_S1_@rel32@lo+4
	s_addc_u32 s1, s1, _ZN12_GLOBAL__N_112calc_igammacIfEET_S1_S1_@rel32@hi+12
	s_swappc_b64 s[30:31], s[0:1]
	v_mov_b32_e32 v44, v0
.LBB47_121:
	global_load_u16 v0, v62, s[42:43]
	global_load_b32 v40, v61, s[38:39]
	s_and_b32 vcc_lo, exec_lo, s36
	s_waitcnt vmcnt(1)
	v_lshlrev_b32_e32 v45, 16, v0
	s_cbranch_vccz .LBB47_123
; %bb.122:
	s_waitcnt vmcnt(0)
	s_delay_alu instid0(VALU_DEP_1) | instskip(SKIP_3) | instid1(SALU_CYCLE_1)
	v_dual_mov_b32 v0, v45 :: v_dual_mov_b32 v1, v40
	s_getpc_b64 s[0:1]
	s_add_u32 s0, s0, _ZN12_GLOBAL__N_111calc_igammaIfEET_S1_S1_@rel32@lo+4
	s_addc_u32 s1, s1, _ZN12_GLOBAL__N_111calc_igammaIfEET_S1_S1_@rel32@hi+12
	s_swappc_b64 s[30:31], s[0:1]
	s_cbranch_execz .LBB47_124
	s_branch .LBB47_125
.LBB47_123:
                                        ; implicit-def: $vgpr0
.LBB47_124:
	s_waitcnt vmcnt(0)
	s_delay_alu instid0(VALU_DEP_1) | instskip(SKIP_3) | instid1(SALU_CYCLE_1)
	v_dual_mov_b32 v0, v45 :: v_dual_mov_b32 v1, v40
	s_getpc_b64 s[0:1]
	s_add_u32 s0, s0, _ZN12_GLOBAL__N_112calc_igammacIfEET_S1_S1_@rel32@lo+4
	s_addc_u32 s1, s1, _ZN12_GLOBAL__N_112calc_igammacIfEET_S1_S1_@rel32@hi+12
	s_swappc_b64 s[30:31], s[0:1]
.LBB47_125:
	v_bfe_u32 v1, v42, 16, 1
	v_bfe_u32 v2, v43, 16, 1
	;; [unrolled: 1-line block ×3, first 2 shown]
	v_cmp_o_f32_e32 vcc_lo, v42, v42
	s_or_b32 s44, s44, exec_lo
	v_add3_u32 v1, v42, v1, 0x7fff
	v_add3_u32 v2, v43, v2, 0x7fff
	v_add3_u32 v3, v44, v3, 0x7fff
	s_delay_alu instid0(VALU_DEP_3) | instskip(NEXT) | instid1(VALU_DEP_3)
	v_lshrrev_b32_e32 v1, 16, v1
	v_lshrrev_b32_e32 v2, 16, v2
	s_delay_alu instid0(VALU_DEP_3) | instskip(NEXT) | instid1(VALU_DEP_3)
	v_lshrrev_b32_e32 v3, 16, v3
	v_cndmask_b32_e32 v1, 0x7fc0, v1, vcc_lo
	v_cmp_o_f32_e32 vcc_lo, v43, v43
	v_add_co_u32 v43, s0, s40, v60
	v_cndmask_b32_e32 v2, 0x7fc0, v2, vcc_lo
	v_cmp_o_f32_e32 vcc_lo, v44, v44
	v_add_co_ci_u32_e64 v44, null, s41, 0, s0
	s_clause 0x1
	global_store_b16 v46, v1, s[40:41]
	global_store_b16 v56, v2, s[40:41]
	v_cndmask_b32_e32 v3, 0x7fc0, v3, vcc_lo
	global_store_b16 v57, v3, s[40:41]
	s_or_b32 exec_lo, exec_lo, s45
	s_and_saveexec_b32 s0, s44
	s_cbranch_execz .LBB47_3
.LBB47_126:
	v_bfe_u32 v1, v0, 16, 1
	v_cmp_o_f32_e32 vcc_lo, v0, v0
	s_delay_alu instid0(VALU_DEP_2) | instskip(NEXT) | instid1(VALU_DEP_1)
	v_add3_u32 v1, v0, v1, 0x7fff
	v_lshrrev_b32_e32 v1, 16, v1
	s_delay_alu instid0(VALU_DEP_1)
	v_cndmask_b32_e32 v0, 0x7fc0, v1, vcc_lo
	global_store_b16 v[43:44], v0, off
	s_endpgm
	.section	.rodata,"a",@progbits
	.p2align	6, 0x0
	.amdhsa_kernel _ZN2at6native32elementwise_kernel_manual_unrollILi128ELi4EZNS0_12_GLOBAL__N_142type_specialized_broadcast_kernel_launcherILi2EE5applyIN12_GLOBAL__N_110CalcIgammaIfEESt5arrayIPcLm3EES9_IN3c1010ScalarTypeELm3EE16OffsetCalculatorILi3EjLb0EEEEvlT_T0_T1_T2_EUlibE_EEviSJ_
		.amdhsa_group_segment_fixed_size 0
		.amdhsa_private_segment_fixed_size 144
		.amdhsa_kernarg_size 432
		.amdhsa_user_sgpr_count 15
		.amdhsa_user_sgpr_dispatch_ptr 0
		.amdhsa_user_sgpr_queue_ptr 0
		.amdhsa_user_sgpr_kernarg_segment_ptr 1
		.amdhsa_user_sgpr_dispatch_id 0
		.amdhsa_user_sgpr_private_segment_size 0
		.amdhsa_wavefront_size32 1
		.amdhsa_uses_dynamic_stack 0
		.amdhsa_enable_private_segment 1
		.amdhsa_system_sgpr_workgroup_id_x 1
		.amdhsa_system_sgpr_workgroup_id_y 0
		.amdhsa_system_sgpr_workgroup_id_z 0
		.amdhsa_system_sgpr_workgroup_info 0
		.amdhsa_system_vgpr_workitem_id 0
		.amdhsa_next_free_vgpr 66
		.amdhsa_next_free_sgpr 66
		.amdhsa_reserve_vcc 1
		.amdhsa_float_round_mode_32 0
		.amdhsa_float_round_mode_16_64 0
		.amdhsa_float_denorm_mode_32 3
		.amdhsa_float_denorm_mode_16_64 3
		.amdhsa_dx10_clamp 1
		.amdhsa_ieee_mode 1
		.amdhsa_fp16_overflow 0
		.amdhsa_workgroup_processor_mode 1
		.amdhsa_memory_ordered 1
		.amdhsa_forward_progress 0
		.amdhsa_shared_vgpr_count 0
		.amdhsa_exception_fp_ieee_invalid_op 0
		.amdhsa_exception_fp_denorm_src 0
		.amdhsa_exception_fp_ieee_div_zero 0
		.amdhsa_exception_fp_ieee_overflow 0
		.amdhsa_exception_fp_ieee_underflow 0
		.amdhsa_exception_fp_ieee_inexact 0
		.amdhsa_exception_int_div_zero 0
	.end_amdhsa_kernel
	.section	.text._ZN2at6native32elementwise_kernel_manual_unrollILi128ELi4EZNS0_12_GLOBAL__N_142type_specialized_broadcast_kernel_launcherILi2EE5applyIN12_GLOBAL__N_110CalcIgammaIfEESt5arrayIPcLm3EES9_IN3c1010ScalarTypeELm3EE16OffsetCalculatorILi3EjLb0EEEEvlT_T0_T1_T2_EUlibE_EEviSJ_,"axG",@progbits,_ZN2at6native32elementwise_kernel_manual_unrollILi128ELi4EZNS0_12_GLOBAL__N_142type_specialized_broadcast_kernel_launcherILi2EE5applyIN12_GLOBAL__N_110CalcIgammaIfEESt5arrayIPcLm3EES9_IN3c1010ScalarTypeELm3EE16OffsetCalculatorILi3EjLb0EEEEvlT_T0_T1_T2_EUlibE_EEviSJ_,comdat
.Lfunc_end47:
	.size	_ZN2at6native32elementwise_kernel_manual_unrollILi128ELi4EZNS0_12_GLOBAL__N_142type_specialized_broadcast_kernel_launcherILi2EE5applyIN12_GLOBAL__N_110CalcIgammaIfEESt5arrayIPcLm3EES9_IN3c1010ScalarTypeELm3EE16OffsetCalculatorILi3EjLb0EEEEvlT_T0_T1_T2_EUlibE_EEviSJ_, .Lfunc_end47-_ZN2at6native32elementwise_kernel_manual_unrollILi128ELi4EZNS0_12_GLOBAL__N_142type_specialized_broadcast_kernel_launcherILi2EE5applyIN12_GLOBAL__N_110CalcIgammaIfEESt5arrayIPcLm3EES9_IN3c1010ScalarTypeELm3EE16OffsetCalculatorILi3EjLb0EEEEvlT_T0_T1_T2_EUlibE_EEviSJ_
                                        ; -- End function
	.section	.AMDGPU.csdata,"",@progbits
; Kernel info:
; codeLenInByte = 6980
; NumSgprs: 68
; NumVgprs: 66
; ScratchSize: 144
; MemoryBound: 0
; FloatMode: 240
; IeeeMode: 1
; LDSByteSize: 0 bytes/workgroup (compile time only)
; SGPRBlocks: 8
; VGPRBlocks: 8
; NumSGPRsForWavesPerEU: 68
; NumVGPRsForWavesPerEU: 66
; Occupancy: 16
; WaveLimiterHint : 1
; COMPUTE_PGM_RSRC2:SCRATCH_EN: 1
; COMPUTE_PGM_RSRC2:USER_SGPR: 15
; COMPUTE_PGM_RSRC2:TRAP_HANDLER: 0
; COMPUTE_PGM_RSRC2:TGID_X_EN: 1
; COMPUTE_PGM_RSRC2:TGID_Y_EN: 0
; COMPUTE_PGM_RSRC2:TGID_Z_EN: 0
; COMPUTE_PGM_RSRC2:TIDIG_COMP_CNT: 0
	.section	.text._ZN2at6native32elementwise_kernel_manual_unrollILi128ELi4EZNS0_12_GLOBAL__N_142type_specialized_broadcast_kernel_launcherILi3EE5applyIN12_GLOBAL__N_110CalcIgammaIfEESt5arrayIPcLm3EES9_IN3c1010ScalarTypeELm3EE16OffsetCalculatorILi3EjLb0EEEEvlT_T0_T1_T2_EUlibE_EEviSJ_,"axG",@progbits,_ZN2at6native32elementwise_kernel_manual_unrollILi128ELi4EZNS0_12_GLOBAL__N_142type_specialized_broadcast_kernel_launcherILi3EE5applyIN12_GLOBAL__N_110CalcIgammaIfEESt5arrayIPcLm3EES9_IN3c1010ScalarTypeELm3EE16OffsetCalculatorILi3EjLb0EEEEvlT_T0_T1_T2_EUlibE_EEviSJ_,comdat
	.globl	_ZN2at6native32elementwise_kernel_manual_unrollILi128ELi4EZNS0_12_GLOBAL__N_142type_specialized_broadcast_kernel_launcherILi3EE5applyIN12_GLOBAL__N_110CalcIgammaIfEESt5arrayIPcLm3EES9_IN3c1010ScalarTypeELm3EE16OffsetCalculatorILi3EjLb0EEEEvlT_T0_T1_T2_EUlibE_EEviSJ_ ; -- Begin function _ZN2at6native32elementwise_kernel_manual_unrollILi128ELi4EZNS0_12_GLOBAL__N_142type_specialized_broadcast_kernel_launcherILi3EE5applyIN12_GLOBAL__N_110CalcIgammaIfEESt5arrayIPcLm3EES9_IN3c1010ScalarTypeELm3EE16OffsetCalculatorILi3EjLb0EEEEvlT_T0_T1_T2_EUlibE_EEviSJ_
	.p2align	8
	.type	_ZN2at6native32elementwise_kernel_manual_unrollILi128ELi4EZNS0_12_GLOBAL__N_142type_specialized_broadcast_kernel_launcherILi3EE5applyIN12_GLOBAL__N_110CalcIgammaIfEESt5arrayIPcLm3EES9_IN3c1010ScalarTypeELm3EE16OffsetCalculatorILi3EjLb0EEEEvlT_T0_T1_T2_EUlibE_EEviSJ_,@function
_ZN2at6native32elementwise_kernel_manual_unrollILi128ELi4EZNS0_12_GLOBAL__N_142type_specialized_broadcast_kernel_launcherILi3EE5applyIN12_GLOBAL__N_110CalcIgammaIfEESt5arrayIPcLm3EES9_IN3c1010ScalarTypeELm3EE16OffsetCalculatorILi3EjLb0EEEEvlT_T0_T1_T2_EUlibE_EEviSJ_: ; @_ZN2at6native32elementwise_kernel_manual_unrollILi128ELi4EZNS0_12_GLOBAL__N_142type_specialized_broadcast_kernel_launcherILi3EE5applyIN12_GLOBAL__N_110CalcIgammaIfEESt5arrayIPcLm3EES9_IN3c1010ScalarTypeELm3EE16OffsetCalculatorILi3EjLb0EEEEvlT_T0_T1_T2_EUlibE_EEviSJ_
; %bb.0:
	s_clause 0x1
	s_load_b32 s56, s[0:1], 0x8
	s_load_b32 s63, s[0:1], 0x0
	v_lshl_or_b32 v47, s15, 9, v0
	s_mov_b64 s[36:37], s[0:1]
	s_mov_b32 s32, 0
	s_or_b32 s36, s36, 8
	s_mov_b32 s0, exec_lo
	v_or_b32_e32 v2, 0x180, v47
	s_waitcnt lgkmcnt(0)
	s_add_i32 s57, s56, -1
	s_delay_alu instid0(SALU_CYCLE_1)
	s_cmp_gt_u32 s57, 1
	s_cselect_b32 s58, -1, 0
	v_cmpx_le_i32_e64 s63, v2
	s_xor_b32 s59, exec_lo, s0
	s_cbranch_execz .LBB48_66
; %bb.1:
	s_clause 0x6
	s_load_b32 s0, s[36:37], 0x1a0
	s_load_b128 s[48:51], s[36:37], 0x4
	s_load_b64 s[54:55], s[36:37], 0x14
	s_load_b128 s[44:47], s[36:37], 0xc4
	s_load_b64 s[52:53], s[36:37], 0xd4
	s_load_b64 s[38:39], s[36:37], 0x198
	s_load_b128 s[40:43], s[36:37], 0x188
	s_cmp_lg_u32 s56, 0
	s_mov_b32 s65, exec_lo
	s_cselect_b32 s64, -1, 0
	s_min_u32 s62, s57, 15
	s_cmp_gt_u32 s56, 1
	s_cselect_b32 s61, -1, 0
	s_waitcnt lgkmcnt(0)
	s_bitcmp1_b32 s0, 0
	s_cselect_b32 s0, -1, 0
	s_delay_alu instid0(SALU_CYCLE_1)
	s_xor_b32 s60, s0, -1
	v_cmpx_gt_i32_e64 s63, v47
	s_cbranch_execnz .LBB48_5
; %bb.2:
	s_or_b32 exec_lo, exec_lo, s65
	s_delay_alu instid0(SALU_CYCLE_1)
	s_mov_b32 s65, exec_lo
	v_cmpx_gt_i32_e64 s63, v47
	s_cbranch_execnz .LBB48_20
.LBB48_3:
	s_or_b32 exec_lo, exec_lo, s65
	s_delay_alu instid0(SALU_CYCLE_1)
	s_mov_b32 s65, exec_lo
	v_cmpx_gt_i32_e64 s63, v47
	s_cbranch_execnz .LBB48_35
.LBB48_4:
	s_or_b32 exec_lo, exec_lo, s65
	v_cmp_gt_i32_e32 vcc_lo, s63, v47
	s_and_saveexec_b32 s63, vcc_lo
	s_cbranch_execnz .LBB48_50
	s_branch .LBB48_65
.LBB48_5:
	s_and_not1_b32 vcc_lo, exec_lo, s58
	s_cbranch_vccnz .LBB48_11
; %bb.6:
	v_dual_mov_b32 v43, 0 :: v_dual_mov_b32 v0, 0
	v_mov_b32_e32 v1, 0
	s_and_not1_b32 vcc_lo, exec_lo, s64
	s_mov_b32 s2, 0
	s_cbranch_vccnz .LBB48_12
; %bb.7:
	s_add_i32 s0, s62, 1
	v_dual_mov_b32 v0, 0 :: v_dual_mov_b32 v1, 0
	v_dual_mov_b32 v43, 0 :: v_dual_mov_b32 v2, v47
	s_and_b32 s3, s0, 30
	s_add_u32 s0, s36, 0xffffffec
	s_addc_u32 s1, s37, -1
	s_set_inst_prefetch_distance 0x1
	.p2align	6
.LBB48_8:                               ; =>This Inner Loop Header: Depth=1
	s_clause 0x2
	s_load_b128 s[4:7], s[0:1], 0x18
	s_load_b64 s[12:13], s[0:1], 0x28
	s_load_b128 s[8:11], s[0:1], 0xd8
	s_waitcnt lgkmcnt(0)
	v_mul_hi_u32 v3, s5, v2
	s_delay_alu instid0(VALU_DEP_1) | instskip(NEXT) | instid1(VALU_DEP_1)
	v_add_nc_u32_e32 v3, v2, v3
	v_lshrrev_b32_e32 v3, s6, v3
	s_delay_alu instid0(VALU_DEP_1)
	v_mul_hi_u32 v4, s12, v3
	v_mul_lo_u32 v5, v3, s4
	s_load_b64 s[4:5], s[0:1], 0xe8
	s_add_u32 s0, s0, 24
	s_addc_u32 s1, s1, 0
	s_add_i32 s3, s3, -2
	s_delay_alu instid0(SALU_CYCLE_1) | instskip(NEXT) | instid1(VALU_DEP_2)
	s_cmp_lg_u32 s3, 0
	v_add_nc_u32_e32 v4, v3, v4
	s_delay_alu instid0(VALU_DEP_2) | instskip(NEXT) | instid1(VALU_DEP_2)
	v_sub_nc_u32_e32 v5, v2, v5
	v_lshrrev_b32_e32 v2, s13, v4
	s_delay_alu instid0(VALU_DEP_2) | instskip(NEXT) | instid1(VALU_DEP_2)
	v_mul_lo_u32 v6, v5, s8
	v_mul_lo_u32 v4, v2, s7
	s_delay_alu instid0(VALU_DEP_1) | instskip(SKIP_2) | instid1(VALU_DEP_3)
	v_sub_nc_u32_e32 v3, v3, v4
	v_mul_lo_u32 v4, v5, s9
	v_mul_lo_u32 v5, v5, s10
	;; [unrolled: 1-line block ×3, first 2 shown]
	s_waitcnt lgkmcnt(0)
	v_mul_lo_u32 v8, v3, s4
	v_mul_lo_u32 v3, v3, s5
	s_delay_alu instid0(VALU_DEP_3) | instskip(NEXT) | instid1(VALU_DEP_3)
	v_add3_u32 v43, v6, v43, v7
	v_add3_u32 v1, v4, v1, v8
	s_delay_alu instid0(VALU_DEP_3)
	v_add3_u32 v0, v5, v0, v3
	s_cbranch_scc1 .LBB48_8
; %bb.9:
	s_set_inst_prefetch_distance 0x2
	s_bitcmp1_b32 s62, 0
	s_cselect_b32 s3, -1, 0
	s_delay_alu instid0(SALU_CYCLE_1)
	s_and_b32 vcc_lo, exec_lo, s3
	s_cbranch_vccnz .LBB48_12
; %bb.10:
	s_clause 0x3
	s_load_b64 s[4:5], s[0:1], 0x18
	s_load_b32 s3, s[0:1], 0x20
	s_load_b64 s[6:7], s[0:1], 0xd8
	s_load_b32 s0, s[0:1], 0xe0
	s_waitcnt lgkmcnt(0)
	v_mul_hi_u32 v3, s5, v2
	s_delay_alu instid0(VALU_DEP_1) | instskip(NEXT) | instid1(VALU_DEP_1)
	v_add_nc_u32_e32 v3, v2, v3
	v_lshrrev_b32_e32 v3, s3, v3
	s_delay_alu instid0(VALU_DEP_1) | instskip(NEXT) | instid1(VALU_DEP_1)
	v_mul_lo_u32 v3, v3, s4
	v_sub_nc_u32_e32 v6, v2, v3
	s_delay_alu instid0(VALU_DEP_1) | instskip(NEXT) | instid1(VALU_DEP_1)
	v_mad_u64_u32 v[2:3], null, v6, s6, v[43:44]
	v_mad_u64_u32 v[3:4], null, v6, s7, v[1:2]
	;; [unrolled: 1-line block ×3, first 2 shown]
	v_mov_b32_e32 v43, v2
	s_delay_alu instid0(VALU_DEP_2)
	v_dual_mov_b32 v1, v3 :: v_dual_mov_b32 v0, v4
	s_branch .LBB48_12
.LBB48_11:
	s_mov_b32 s2, -1
                                        ; implicit-def: $vgpr43
                                        ; implicit-def: $vgpr1
                                        ; implicit-def: $vgpr0
.LBB48_12:
	s_delay_alu instid0(SALU_CYCLE_1)
	s_and_not1_b32 vcc_lo, exec_lo, s2
	s_cbranch_vccnz .LBB48_15
; %bb.13:
	v_mul_hi_u32 v0, s49, v47
	s_and_not1_b32 vcc_lo, exec_lo, s61
	s_delay_alu instid0(VALU_DEP_1) | instskip(NEXT) | instid1(VALU_DEP_1)
	v_add_nc_u32_e32 v0, v47, v0
	v_lshrrev_b32_e32 v2, s50, v0
	s_delay_alu instid0(VALU_DEP_1) | instskip(NEXT) | instid1(VALU_DEP_1)
	v_mul_lo_u32 v0, v2, s48
	v_sub_nc_u32_e32 v0, v47, v0
	s_delay_alu instid0(VALU_DEP_1)
	v_mul_lo_u32 v43, v0, s44
	v_mul_lo_u32 v1, v0, s45
	;; [unrolled: 1-line block ×3, first 2 shown]
	s_cbranch_vccnz .LBB48_15
; %bb.14:
	v_mul_hi_u32 v3, s54, v2
	s_delay_alu instid0(VALU_DEP_1) | instskip(NEXT) | instid1(VALU_DEP_1)
	v_add_nc_u32_e32 v3, v2, v3
	v_lshrrev_b32_e32 v3, s55, v3
	s_delay_alu instid0(VALU_DEP_1) | instskip(NEXT) | instid1(VALU_DEP_1)
	v_mul_lo_u32 v3, v3, s51
	v_sub_nc_u32_e32 v6, v2, v3
	s_delay_alu instid0(VALU_DEP_1) | instskip(NEXT) | instid1(VALU_DEP_1)
	v_mad_u64_u32 v[2:3], null, v6, s47, v[43:44]
	v_mad_u64_u32 v[3:4], null, v6, s52, v[1:2]
	;; [unrolled: 1-line block ×3, first 2 shown]
	v_mov_b32_e32 v43, v2
	s_delay_alu instid0(VALU_DEP_2)
	v_dual_mov_b32 v1, v3 :: v_dual_mov_b32 v0, v4
.LBB48_15:
	global_load_u16 v0, v0, s[38:39]
	global_load_b32 v40, v1, s[42:43]
	s_and_b32 vcc_lo, exec_lo, s60
	s_waitcnt vmcnt(1)
	v_cvt_f32_f16_e32 v42, v0
	s_cbranch_vccz .LBB48_17
; %bb.16:
	s_waitcnt vmcnt(0)
	s_delay_alu instid0(VALU_DEP_1) | instskip(SKIP_3) | instid1(SALU_CYCLE_1)
	v_dual_mov_b32 v0, v40 :: v_dual_mov_b32 v1, v42
	s_getpc_b64 s[0:1]
	s_add_u32 s0, s0, _ZN12_GLOBAL__N_111calc_igammaIfEET_S1_S1_@rel32@lo+4
	s_addc_u32 s1, s1, _ZN12_GLOBAL__N_111calc_igammaIfEET_S1_S1_@rel32@hi+12
	s_swappc_b64 s[30:31], s[0:1]
	s_cbranch_execz .LBB48_18
	s_branch .LBB48_19
.LBB48_17:
                                        ; implicit-def: $vgpr0
.LBB48_18:
	s_waitcnt vmcnt(0)
	s_delay_alu instid0(VALU_DEP_1) | instskip(SKIP_3) | instid1(SALU_CYCLE_1)
	v_dual_mov_b32 v0, v40 :: v_dual_mov_b32 v1, v42
	s_getpc_b64 s[0:1]
	s_add_u32 s0, s0, _ZN12_GLOBAL__N_112calc_igammacIfEET_S1_S1_@rel32@lo+4
	s_addc_u32 s1, s1, _ZN12_GLOBAL__N_112calc_igammacIfEET_S1_S1_@rel32@hi+12
	s_swappc_b64 s[30:31], s[0:1]
.LBB48_19:
	v_add_nc_u32_e32 v47, 0x80, v47
	global_store_b32 v43, v0, s[40:41]
	s_or_b32 exec_lo, exec_lo, s65
	s_delay_alu instid0(SALU_CYCLE_1)
	s_mov_b32 s65, exec_lo
	v_cmpx_gt_i32_e64 s63, v47
	s_cbranch_execz .LBB48_3
.LBB48_20:
	s_and_not1_b32 vcc_lo, exec_lo, s58
	s_cbranch_vccnz .LBB48_26
; %bb.21:
	v_dual_mov_b32 v43, 0 :: v_dual_mov_b32 v0, 0
	v_mov_b32_e32 v1, 0
	s_and_not1_b32 vcc_lo, exec_lo, s64
	s_mov_b32 s2, 0
	s_cbranch_vccnz .LBB48_27
; %bb.22:
	s_add_i32 s0, s62, 1
	v_dual_mov_b32 v0, 0 :: v_dual_mov_b32 v1, 0
	v_dual_mov_b32 v43, 0 :: v_dual_mov_b32 v2, v47
	s_and_b32 s3, s0, 30
	s_add_u32 s0, s36, 0xffffffec
	s_addc_u32 s1, s37, -1
	s_set_inst_prefetch_distance 0x1
	.p2align	6
.LBB48_23:                              ; =>This Inner Loop Header: Depth=1
	s_clause 0x2
	s_load_b128 s[4:7], s[0:1], 0x18
	s_load_b64 s[12:13], s[0:1], 0x28
	s_load_b128 s[8:11], s[0:1], 0xd8
	s_waitcnt lgkmcnt(0)
	v_mul_hi_u32 v3, s5, v2
	s_delay_alu instid0(VALU_DEP_1) | instskip(NEXT) | instid1(VALU_DEP_1)
	v_add_nc_u32_e32 v3, v2, v3
	v_lshrrev_b32_e32 v3, s6, v3
	s_delay_alu instid0(VALU_DEP_1)
	v_mul_hi_u32 v4, s12, v3
	v_mul_lo_u32 v5, v3, s4
	s_load_b64 s[4:5], s[0:1], 0xe8
	s_add_u32 s0, s0, 24
	s_addc_u32 s1, s1, 0
	s_add_i32 s3, s3, -2
	s_delay_alu instid0(SALU_CYCLE_1) | instskip(NEXT) | instid1(VALU_DEP_2)
	s_cmp_eq_u32 s3, 0
	v_add_nc_u32_e32 v4, v3, v4
	s_delay_alu instid0(VALU_DEP_2) | instskip(NEXT) | instid1(VALU_DEP_2)
	v_sub_nc_u32_e32 v5, v2, v5
	v_lshrrev_b32_e32 v2, s13, v4
	s_delay_alu instid0(VALU_DEP_2) | instskip(NEXT) | instid1(VALU_DEP_2)
	v_mul_lo_u32 v6, v5, s8
	v_mul_lo_u32 v4, v2, s7
	s_delay_alu instid0(VALU_DEP_1) | instskip(SKIP_2) | instid1(VALU_DEP_3)
	v_sub_nc_u32_e32 v3, v3, v4
	v_mul_lo_u32 v4, v5, s9
	v_mul_lo_u32 v5, v5, s10
	;; [unrolled: 1-line block ×3, first 2 shown]
	s_waitcnt lgkmcnt(0)
	v_mul_lo_u32 v8, v3, s4
	v_mul_lo_u32 v3, v3, s5
	s_delay_alu instid0(VALU_DEP_3) | instskip(NEXT) | instid1(VALU_DEP_3)
	v_add3_u32 v43, v6, v43, v7
	v_add3_u32 v1, v4, v1, v8
	s_delay_alu instid0(VALU_DEP_3)
	v_add3_u32 v0, v5, v0, v3
	s_cbranch_scc0 .LBB48_23
; %bb.24:
	s_set_inst_prefetch_distance 0x2
	s_bitcmp1_b32 s62, 0
	s_cselect_b32 s3, -1, 0
	s_delay_alu instid0(SALU_CYCLE_1)
	s_and_b32 vcc_lo, exec_lo, s3
	s_cbranch_vccnz .LBB48_27
; %bb.25:
	s_clause 0x3
	s_load_b64 s[4:5], s[0:1], 0x18
	s_load_b32 s3, s[0:1], 0x20
	s_load_b64 s[6:7], s[0:1], 0xd8
	s_load_b32 s0, s[0:1], 0xe0
	s_waitcnt lgkmcnt(0)
	v_mul_hi_u32 v3, s5, v2
	s_delay_alu instid0(VALU_DEP_1) | instskip(NEXT) | instid1(VALU_DEP_1)
	v_add_nc_u32_e32 v3, v2, v3
	v_lshrrev_b32_e32 v3, s3, v3
	s_delay_alu instid0(VALU_DEP_1) | instskip(NEXT) | instid1(VALU_DEP_1)
	v_mul_lo_u32 v3, v3, s4
	v_sub_nc_u32_e32 v6, v2, v3
	s_delay_alu instid0(VALU_DEP_1) | instskip(NEXT) | instid1(VALU_DEP_1)
	v_mad_u64_u32 v[2:3], null, v6, s6, v[43:44]
	v_mad_u64_u32 v[3:4], null, v6, s7, v[1:2]
	;; [unrolled: 1-line block ×3, first 2 shown]
	v_mov_b32_e32 v43, v2
	s_delay_alu instid0(VALU_DEP_2)
	v_dual_mov_b32 v1, v3 :: v_dual_mov_b32 v0, v4
	s_branch .LBB48_27
.LBB48_26:
	s_mov_b32 s2, -1
                                        ; implicit-def: $vgpr43
                                        ; implicit-def: $vgpr1
                                        ; implicit-def: $vgpr0
.LBB48_27:
	s_delay_alu instid0(SALU_CYCLE_1)
	s_and_not1_b32 vcc_lo, exec_lo, s2
	s_cbranch_vccnz .LBB48_30
; %bb.28:
	v_mul_hi_u32 v0, s49, v47
	s_and_not1_b32 vcc_lo, exec_lo, s61
	s_delay_alu instid0(VALU_DEP_1) | instskip(NEXT) | instid1(VALU_DEP_1)
	v_add_nc_u32_e32 v0, v47, v0
	v_lshrrev_b32_e32 v2, s50, v0
	s_delay_alu instid0(VALU_DEP_1) | instskip(NEXT) | instid1(VALU_DEP_1)
	v_mul_lo_u32 v0, v2, s48
	v_sub_nc_u32_e32 v0, v47, v0
	s_delay_alu instid0(VALU_DEP_1)
	v_mul_lo_u32 v43, v0, s44
	v_mul_lo_u32 v1, v0, s45
	;; [unrolled: 1-line block ×3, first 2 shown]
	s_cbranch_vccnz .LBB48_30
; %bb.29:
	v_mul_hi_u32 v3, s54, v2
	s_delay_alu instid0(VALU_DEP_1) | instskip(NEXT) | instid1(VALU_DEP_1)
	v_add_nc_u32_e32 v3, v2, v3
	v_lshrrev_b32_e32 v3, s55, v3
	s_delay_alu instid0(VALU_DEP_1) | instskip(NEXT) | instid1(VALU_DEP_1)
	v_mul_lo_u32 v3, v3, s51
	v_sub_nc_u32_e32 v6, v2, v3
	s_delay_alu instid0(VALU_DEP_1) | instskip(NEXT) | instid1(VALU_DEP_1)
	v_mad_u64_u32 v[2:3], null, v6, s47, v[43:44]
	v_mad_u64_u32 v[3:4], null, v6, s52, v[1:2]
	;; [unrolled: 1-line block ×3, first 2 shown]
	v_mov_b32_e32 v43, v2
	s_delay_alu instid0(VALU_DEP_2)
	v_dual_mov_b32 v1, v3 :: v_dual_mov_b32 v0, v4
.LBB48_30:
	global_load_u16 v0, v0, s[38:39]
	global_load_b32 v40, v1, s[42:43]
	s_and_not1_b32 vcc_lo, exec_lo, s60
	s_waitcnt vmcnt(1)
	v_cvt_f32_f16_e32 v42, v0
	s_cbranch_vccnz .LBB48_32
; %bb.31:
	s_waitcnt vmcnt(0)
	s_delay_alu instid0(VALU_DEP_1) | instskip(SKIP_3) | instid1(SALU_CYCLE_1)
	v_dual_mov_b32 v0, v40 :: v_dual_mov_b32 v1, v42
	s_getpc_b64 s[0:1]
	s_add_u32 s0, s0, _ZN12_GLOBAL__N_111calc_igammaIfEET_S1_S1_@rel32@lo+4
	s_addc_u32 s1, s1, _ZN12_GLOBAL__N_111calc_igammaIfEET_S1_S1_@rel32@hi+12
	s_swappc_b64 s[30:31], s[0:1]
	s_cbranch_execz .LBB48_33
	s_branch .LBB48_34
.LBB48_32:
                                        ; implicit-def: $vgpr0
.LBB48_33:
	s_waitcnt vmcnt(0)
	s_delay_alu instid0(VALU_DEP_1) | instskip(SKIP_3) | instid1(SALU_CYCLE_1)
	v_dual_mov_b32 v0, v40 :: v_dual_mov_b32 v1, v42
	s_getpc_b64 s[0:1]
	s_add_u32 s0, s0, _ZN12_GLOBAL__N_112calc_igammacIfEET_S1_S1_@rel32@lo+4
	s_addc_u32 s1, s1, _ZN12_GLOBAL__N_112calc_igammacIfEET_S1_S1_@rel32@hi+12
	s_swappc_b64 s[30:31], s[0:1]
.LBB48_34:
	v_add_nc_u32_e32 v47, 0x80, v47
	global_store_b32 v43, v0, s[40:41]
	s_or_b32 exec_lo, exec_lo, s65
	s_delay_alu instid0(SALU_CYCLE_1)
	s_mov_b32 s65, exec_lo
	v_cmpx_gt_i32_e64 s63, v47
	s_cbranch_execz .LBB48_4
.LBB48_35:
	s_and_not1_b32 vcc_lo, exec_lo, s58
	s_cbranch_vccnz .LBB48_41
; %bb.36:
	v_dual_mov_b32 v43, 0 :: v_dual_mov_b32 v0, 0
	v_mov_b32_e32 v1, 0
	s_and_not1_b32 vcc_lo, exec_lo, s64
	s_mov_b32 s2, 0
	s_cbranch_vccnz .LBB48_42
; %bb.37:
	s_add_i32 s0, s62, 1
	v_dual_mov_b32 v0, 0 :: v_dual_mov_b32 v1, 0
	v_dual_mov_b32 v43, 0 :: v_dual_mov_b32 v2, v47
	s_and_b32 s3, s0, 30
	s_add_u32 s0, s36, 0xffffffec
	s_addc_u32 s1, s37, -1
	s_set_inst_prefetch_distance 0x1
	.p2align	6
.LBB48_38:                              ; =>This Inner Loop Header: Depth=1
	s_clause 0x2
	s_load_b128 s[4:7], s[0:1], 0x18
	s_load_b64 s[12:13], s[0:1], 0x28
	s_load_b128 s[8:11], s[0:1], 0xd8
	s_waitcnt lgkmcnt(0)
	v_mul_hi_u32 v3, s5, v2
	s_delay_alu instid0(VALU_DEP_1) | instskip(NEXT) | instid1(VALU_DEP_1)
	v_add_nc_u32_e32 v3, v2, v3
	v_lshrrev_b32_e32 v3, s6, v3
	s_delay_alu instid0(VALU_DEP_1)
	v_mul_hi_u32 v4, s12, v3
	v_mul_lo_u32 v5, v3, s4
	s_load_b64 s[4:5], s[0:1], 0xe8
	s_add_u32 s0, s0, 24
	s_addc_u32 s1, s1, 0
	s_add_i32 s3, s3, -2
	s_delay_alu instid0(SALU_CYCLE_1) | instskip(NEXT) | instid1(VALU_DEP_2)
	s_cmp_eq_u32 s3, 0
	v_add_nc_u32_e32 v4, v3, v4
	s_delay_alu instid0(VALU_DEP_2) | instskip(NEXT) | instid1(VALU_DEP_2)
	v_sub_nc_u32_e32 v5, v2, v5
	v_lshrrev_b32_e32 v2, s13, v4
	s_delay_alu instid0(VALU_DEP_2) | instskip(NEXT) | instid1(VALU_DEP_2)
	v_mul_lo_u32 v6, v5, s8
	v_mul_lo_u32 v4, v2, s7
	s_delay_alu instid0(VALU_DEP_1) | instskip(SKIP_2) | instid1(VALU_DEP_3)
	v_sub_nc_u32_e32 v3, v3, v4
	v_mul_lo_u32 v4, v5, s9
	v_mul_lo_u32 v5, v5, s10
	;; [unrolled: 1-line block ×3, first 2 shown]
	s_waitcnt lgkmcnt(0)
	v_mul_lo_u32 v8, v3, s4
	v_mul_lo_u32 v3, v3, s5
	s_delay_alu instid0(VALU_DEP_3) | instskip(NEXT) | instid1(VALU_DEP_3)
	v_add3_u32 v43, v6, v43, v7
	v_add3_u32 v1, v4, v1, v8
	s_delay_alu instid0(VALU_DEP_3)
	v_add3_u32 v0, v5, v0, v3
	s_cbranch_scc0 .LBB48_38
; %bb.39:
	s_set_inst_prefetch_distance 0x2
	s_bitcmp1_b32 s62, 0
	s_cselect_b32 s3, -1, 0
	s_delay_alu instid0(SALU_CYCLE_1)
	s_and_b32 vcc_lo, exec_lo, s3
	s_cbranch_vccnz .LBB48_42
; %bb.40:
	s_clause 0x3
	s_load_b64 s[4:5], s[0:1], 0x18
	s_load_b32 s3, s[0:1], 0x20
	s_load_b64 s[6:7], s[0:1], 0xd8
	s_load_b32 s0, s[0:1], 0xe0
	s_waitcnt lgkmcnt(0)
	v_mul_hi_u32 v3, s5, v2
	s_delay_alu instid0(VALU_DEP_1) | instskip(NEXT) | instid1(VALU_DEP_1)
	v_add_nc_u32_e32 v3, v2, v3
	v_lshrrev_b32_e32 v3, s3, v3
	s_delay_alu instid0(VALU_DEP_1) | instskip(NEXT) | instid1(VALU_DEP_1)
	v_mul_lo_u32 v3, v3, s4
	v_sub_nc_u32_e32 v6, v2, v3
	s_delay_alu instid0(VALU_DEP_1) | instskip(NEXT) | instid1(VALU_DEP_1)
	v_mad_u64_u32 v[2:3], null, v6, s6, v[43:44]
	v_mad_u64_u32 v[3:4], null, v6, s7, v[1:2]
	;; [unrolled: 1-line block ×3, first 2 shown]
	v_mov_b32_e32 v43, v2
	s_delay_alu instid0(VALU_DEP_2)
	v_dual_mov_b32 v1, v3 :: v_dual_mov_b32 v0, v4
	s_branch .LBB48_42
.LBB48_41:
	s_mov_b32 s2, -1
                                        ; implicit-def: $vgpr43
                                        ; implicit-def: $vgpr1
                                        ; implicit-def: $vgpr0
.LBB48_42:
	s_delay_alu instid0(SALU_CYCLE_1)
	s_and_not1_b32 vcc_lo, exec_lo, s2
	s_cbranch_vccnz .LBB48_45
; %bb.43:
	v_mul_hi_u32 v0, s49, v47
	s_and_not1_b32 vcc_lo, exec_lo, s61
	s_delay_alu instid0(VALU_DEP_1) | instskip(NEXT) | instid1(VALU_DEP_1)
	v_add_nc_u32_e32 v0, v47, v0
	v_lshrrev_b32_e32 v2, s50, v0
	s_delay_alu instid0(VALU_DEP_1) | instskip(NEXT) | instid1(VALU_DEP_1)
	v_mul_lo_u32 v0, v2, s48
	v_sub_nc_u32_e32 v0, v47, v0
	s_delay_alu instid0(VALU_DEP_1)
	v_mul_lo_u32 v43, v0, s44
	v_mul_lo_u32 v1, v0, s45
	;; [unrolled: 1-line block ×3, first 2 shown]
	s_cbranch_vccnz .LBB48_45
; %bb.44:
	v_mul_hi_u32 v3, s54, v2
	s_delay_alu instid0(VALU_DEP_1) | instskip(NEXT) | instid1(VALU_DEP_1)
	v_add_nc_u32_e32 v3, v2, v3
	v_lshrrev_b32_e32 v3, s55, v3
	s_delay_alu instid0(VALU_DEP_1) | instskip(NEXT) | instid1(VALU_DEP_1)
	v_mul_lo_u32 v3, v3, s51
	v_sub_nc_u32_e32 v6, v2, v3
	s_delay_alu instid0(VALU_DEP_1) | instskip(NEXT) | instid1(VALU_DEP_1)
	v_mad_u64_u32 v[2:3], null, v6, s47, v[43:44]
	v_mad_u64_u32 v[3:4], null, v6, s52, v[1:2]
	;; [unrolled: 1-line block ×3, first 2 shown]
	v_mov_b32_e32 v43, v2
	s_delay_alu instid0(VALU_DEP_2)
	v_dual_mov_b32 v1, v3 :: v_dual_mov_b32 v0, v4
.LBB48_45:
	global_load_u16 v0, v0, s[38:39]
	global_load_b32 v40, v1, s[42:43]
	s_and_not1_b32 vcc_lo, exec_lo, s60
	s_waitcnt vmcnt(1)
	v_cvt_f32_f16_e32 v42, v0
	s_cbranch_vccnz .LBB48_47
; %bb.46:
	s_waitcnt vmcnt(0)
	s_delay_alu instid0(VALU_DEP_1) | instskip(SKIP_3) | instid1(SALU_CYCLE_1)
	v_dual_mov_b32 v0, v40 :: v_dual_mov_b32 v1, v42
	s_getpc_b64 s[0:1]
	s_add_u32 s0, s0, _ZN12_GLOBAL__N_111calc_igammaIfEET_S1_S1_@rel32@lo+4
	s_addc_u32 s1, s1, _ZN12_GLOBAL__N_111calc_igammaIfEET_S1_S1_@rel32@hi+12
	s_swappc_b64 s[30:31], s[0:1]
	s_cbranch_execz .LBB48_48
	s_branch .LBB48_49
.LBB48_47:
                                        ; implicit-def: $vgpr0
.LBB48_48:
	s_waitcnt vmcnt(0)
	s_delay_alu instid0(VALU_DEP_1) | instskip(SKIP_3) | instid1(SALU_CYCLE_1)
	v_dual_mov_b32 v0, v40 :: v_dual_mov_b32 v1, v42
	s_getpc_b64 s[0:1]
	s_add_u32 s0, s0, _ZN12_GLOBAL__N_112calc_igammacIfEET_S1_S1_@rel32@lo+4
	s_addc_u32 s1, s1, _ZN12_GLOBAL__N_112calc_igammacIfEET_S1_S1_@rel32@hi+12
	s_swappc_b64 s[30:31], s[0:1]
.LBB48_49:
	v_add_nc_u32_e32 v47, 0x80, v47
	global_store_b32 v43, v0, s[40:41]
	s_or_b32 exec_lo, exec_lo, s65
	v_cmp_gt_i32_e32 vcc_lo, s63, v47
	s_and_saveexec_b32 s63, vcc_lo
	s_cbranch_execz .LBB48_65
.LBB48_50:
	s_and_not1_b32 vcc_lo, exec_lo, s58
	s_cbranch_vccnz .LBB48_56
; %bb.51:
	v_dual_mov_b32 v43, 0 :: v_dual_mov_b32 v0, 0
	v_mov_b32_e32 v1, 0
	s_and_not1_b32 vcc_lo, exec_lo, s64
	s_mov_b32 s2, 0
	s_cbranch_vccnz .LBB48_57
; %bb.52:
	s_add_i32 s0, s62, 1
	v_dual_mov_b32 v0, 0 :: v_dual_mov_b32 v1, 0
	v_dual_mov_b32 v43, 0 :: v_dual_mov_b32 v2, v47
	s_and_b32 s3, s0, 30
	s_add_u32 s0, s36, 0xffffffec
	s_addc_u32 s1, s37, -1
	s_set_inst_prefetch_distance 0x1
	.p2align	6
.LBB48_53:                              ; =>This Inner Loop Header: Depth=1
	s_clause 0x2
	s_load_b128 s[4:7], s[0:1], 0x18
	s_load_b64 s[12:13], s[0:1], 0x28
	s_load_b128 s[8:11], s[0:1], 0xd8
	s_waitcnt lgkmcnt(0)
	v_mul_hi_u32 v3, s5, v2
	s_delay_alu instid0(VALU_DEP_1) | instskip(NEXT) | instid1(VALU_DEP_1)
	v_add_nc_u32_e32 v3, v2, v3
	v_lshrrev_b32_e32 v3, s6, v3
	s_delay_alu instid0(VALU_DEP_1)
	v_mul_hi_u32 v4, s12, v3
	v_mul_lo_u32 v5, v3, s4
	s_load_b64 s[4:5], s[0:1], 0xe8
	s_add_u32 s0, s0, 24
	s_addc_u32 s1, s1, 0
	s_add_i32 s3, s3, -2
	s_delay_alu instid0(SALU_CYCLE_1) | instskip(NEXT) | instid1(VALU_DEP_2)
	s_cmp_eq_u32 s3, 0
	v_add_nc_u32_e32 v4, v3, v4
	s_delay_alu instid0(VALU_DEP_2) | instskip(NEXT) | instid1(VALU_DEP_2)
	v_sub_nc_u32_e32 v5, v2, v5
	v_lshrrev_b32_e32 v2, s13, v4
	s_delay_alu instid0(VALU_DEP_2) | instskip(NEXT) | instid1(VALU_DEP_2)
	v_mul_lo_u32 v6, v5, s8
	v_mul_lo_u32 v4, v2, s7
	s_delay_alu instid0(VALU_DEP_1) | instskip(SKIP_2) | instid1(VALU_DEP_3)
	v_sub_nc_u32_e32 v3, v3, v4
	v_mul_lo_u32 v4, v5, s9
	v_mul_lo_u32 v5, v5, s10
	;; [unrolled: 1-line block ×3, first 2 shown]
	s_waitcnt lgkmcnt(0)
	v_mul_lo_u32 v8, v3, s4
	v_mul_lo_u32 v3, v3, s5
	s_delay_alu instid0(VALU_DEP_3) | instskip(NEXT) | instid1(VALU_DEP_3)
	v_add3_u32 v43, v6, v43, v7
	v_add3_u32 v1, v4, v1, v8
	s_delay_alu instid0(VALU_DEP_3)
	v_add3_u32 v0, v5, v0, v3
	s_cbranch_scc0 .LBB48_53
; %bb.54:
	s_set_inst_prefetch_distance 0x2
	s_bitcmp1_b32 s62, 0
	s_cselect_b32 s3, -1, 0
	s_delay_alu instid0(SALU_CYCLE_1)
	s_and_b32 vcc_lo, exec_lo, s3
	s_cbranch_vccnz .LBB48_57
; %bb.55:
	s_clause 0x3
	s_load_b64 s[4:5], s[0:1], 0x18
	s_load_b32 s3, s[0:1], 0x20
	s_load_b64 s[6:7], s[0:1], 0xd8
	s_load_b32 s0, s[0:1], 0xe0
	s_waitcnt lgkmcnt(0)
	v_mul_hi_u32 v3, s5, v2
	s_delay_alu instid0(VALU_DEP_1) | instskip(NEXT) | instid1(VALU_DEP_1)
	v_add_nc_u32_e32 v3, v2, v3
	v_lshrrev_b32_e32 v3, s3, v3
	s_delay_alu instid0(VALU_DEP_1) | instskip(NEXT) | instid1(VALU_DEP_1)
	v_mul_lo_u32 v3, v3, s4
	v_sub_nc_u32_e32 v6, v2, v3
	s_delay_alu instid0(VALU_DEP_1) | instskip(NEXT) | instid1(VALU_DEP_1)
	v_mad_u64_u32 v[2:3], null, v6, s6, v[43:44]
	v_mad_u64_u32 v[3:4], null, v6, s7, v[1:2]
	;; [unrolled: 1-line block ×3, first 2 shown]
	v_mov_b32_e32 v43, v2
	s_delay_alu instid0(VALU_DEP_2)
	v_dual_mov_b32 v1, v3 :: v_dual_mov_b32 v0, v4
	s_branch .LBB48_57
.LBB48_56:
	s_mov_b32 s2, -1
                                        ; implicit-def: $vgpr43
                                        ; implicit-def: $vgpr1
                                        ; implicit-def: $vgpr0
.LBB48_57:
	s_delay_alu instid0(SALU_CYCLE_1)
	s_and_not1_b32 vcc_lo, exec_lo, s2
	s_cbranch_vccnz .LBB48_60
; %bb.58:
	v_mul_hi_u32 v0, s49, v47
	s_and_not1_b32 vcc_lo, exec_lo, s61
	s_delay_alu instid0(VALU_DEP_1) | instskip(NEXT) | instid1(VALU_DEP_1)
	v_add_nc_u32_e32 v0, v47, v0
	v_lshrrev_b32_e32 v2, s50, v0
	s_delay_alu instid0(VALU_DEP_1) | instskip(NEXT) | instid1(VALU_DEP_1)
	v_mul_lo_u32 v0, v2, s48
	v_sub_nc_u32_e32 v0, v47, v0
	s_delay_alu instid0(VALU_DEP_1)
	v_mul_lo_u32 v43, v0, s44
	v_mul_lo_u32 v1, v0, s45
	;; [unrolled: 1-line block ×3, first 2 shown]
	s_cbranch_vccnz .LBB48_60
; %bb.59:
	v_mul_hi_u32 v3, s54, v2
	s_delay_alu instid0(VALU_DEP_1) | instskip(NEXT) | instid1(VALU_DEP_1)
	v_add_nc_u32_e32 v3, v2, v3
	v_lshrrev_b32_e32 v3, s55, v3
	s_delay_alu instid0(VALU_DEP_1) | instskip(NEXT) | instid1(VALU_DEP_1)
	v_mul_lo_u32 v3, v3, s51
	v_sub_nc_u32_e32 v6, v2, v3
	s_delay_alu instid0(VALU_DEP_1) | instskip(NEXT) | instid1(VALU_DEP_1)
	v_mad_u64_u32 v[2:3], null, v6, s47, v[43:44]
	v_mad_u64_u32 v[3:4], null, v6, s52, v[1:2]
	;; [unrolled: 1-line block ×3, first 2 shown]
	v_mov_b32_e32 v43, v2
	s_delay_alu instid0(VALU_DEP_2)
	v_dual_mov_b32 v1, v3 :: v_dual_mov_b32 v0, v4
.LBB48_60:
	global_load_u16 v0, v0, s[38:39]
	global_load_b32 v40, v1, s[42:43]
	s_and_not1_b32 vcc_lo, exec_lo, s60
	s_waitcnt vmcnt(1)
	v_cvt_f32_f16_e32 v42, v0
	s_cbranch_vccnz .LBB48_62
; %bb.61:
	s_waitcnt vmcnt(0)
	s_delay_alu instid0(VALU_DEP_1) | instskip(SKIP_3) | instid1(SALU_CYCLE_1)
	v_dual_mov_b32 v0, v40 :: v_dual_mov_b32 v1, v42
	s_getpc_b64 s[0:1]
	s_add_u32 s0, s0, _ZN12_GLOBAL__N_111calc_igammaIfEET_S1_S1_@rel32@lo+4
	s_addc_u32 s1, s1, _ZN12_GLOBAL__N_111calc_igammaIfEET_S1_S1_@rel32@hi+12
	s_swappc_b64 s[30:31], s[0:1]
	s_cbranch_execz .LBB48_63
	s_branch .LBB48_64
.LBB48_62:
                                        ; implicit-def: $vgpr0
.LBB48_63:
	s_waitcnt vmcnt(0)
	s_delay_alu instid0(VALU_DEP_1) | instskip(SKIP_3) | instid1(SALU_CYCLE_1)
	v_dual_mov_b32 v0, v40 :: v_dual_mov_b32 v1, v42
	s_getpc_b64 s[0:1]
	s_add_u32 s0, s0, _ZN12_GLOBAL__N_112calc_igammacIfEET_S1_S1_@rel32@lo+4
	s_addc_u32 s1, s1, _ZN12_GLOBAL__N_112calc_igammacIfEET_S1_S1_@rel32@hi+12
	s_swappc_b64 s[30:31], s[0:1]
.LBB48_64:
	global_store_b32 v43, v0, s[40:41]
.LBB48_65:
	s_or_b32 exec_lo, exec_lo, s63
                                        ; implicit-def: $vgpr2
                                        ; implicit-def: $vgpr47
.LBB48_66:
	s_and_not1_saveexec_b32 s0, s59
	s_cbranch_execz .LBB48_73
; %bb.67:
	v_cndmask_b32_e64 v3, 0, 1, s58
	s_and_not1_b32 vcc_lo, exec_lo, s58
	s_cbranch_vccnz .LBB48_74
; %bb.68:
	v_dual_mov_b32 v46, 0 :: v_dual_mov_b32 v1, 0
	v_mov_b32_e32 v0, 0
	s_cmp_lg_u32 s56, 0
	s_mov_b32 s2, 0
	s_cbranch_scc0 .LBB48_75
; %bb.69:
	s_min_u32 s3, s57, 15
	v_dual_mov_b32 v0, 0 :: v_dual_mov_b32 v1, 0
	s_add_i32 s0, s3, 1
	v_mov_b32_e32 v46, 0
	v_mov_b32_e32 v4, v47
	s_and_b32 s4, s0, 30
	s_add_u32 s0, s36, 0xffffffec
	s_addc_u32 s1, s37, -1
	s_set_inst_prefetch_distance 0x1
	.p2align	6
.LBB48_70:                              ; =>This Inner Loop Header: Depth=1
	s_clause 0x2
	s_load_b128 s[8:11], s[0:1], 0x18
	s_load_b64 s[6:7], s[0:1], 0x28
	s_load_b128 s[12:15], s[0:1], 0xd8
	s_waitcnt lgkmcnt(0)
	v_mul_hi_u32 v5, s9, v4
	s_delay_alu instid0(VALU_DEP_1) | instskip(NEXT) | instid1(VALU_DEP_1)
	v_add_nc_u32_e32 v5, v4, v5
	v_lshrrev_b32_e32 v5, s10, v5
	s_delay_alu instid0(VALU_DEP_1)
	v_mul_hi_u32 v6, s6, v5
	v_mul_lo_u32 v7, v5, s8
	s_load_b64 s[8:9], s[0:1], 0xe8
	s_add_u32 s0, s0, 24
	s_addc_u32 s1, s1, 0
	s_add_i32 s4, s4, -2
	s_delay_alu instid0(SALU_CYCLE_1) | instskip(NEXT) | instid1(VALU_DEP_2)
	s_cmp_lg_u32 s4, 0
	v_add_nc_u32_e32 v6, v5, v6
	s_delay_alu instid0(VALU_DEP_2) | instskip(NEXT) | instid1(VALU_DEP_2)
	v_sub_nc_u32_e32 v7, v4, v7
	v_lshrrev_b32_e32 v4, s7, v6
	s_delay_alu instid0(VALU_DEP_2) | instskip(NEXT) | instid1(VALU_DEP_2)
	v_mul_lo_u32 v8, v7, s12
	v_mul_lo_u32 v6, v4, s11
	s_delay_alu instid0(VALU_DEP_1) | instskip(SKIP_2) | instid1(VALU_DEP_3)
	v_sub_nc_u32_e32 v5, v5, v6
	v_mul_lo_u32 v6, v7, s13
	v_mul_lo_u32 v7, v7, s14
	;; [unrolled: 1-line block ×3, first 2 shown]
	s_waitcnt lgkmcnt(0)
	v_mul_lo_u32 v10, v5, s8
	v_mul_lo_u32 v5, v5, s9
	s_delay_alu instid0(VALU_DEP_3) | instskip(NEXT) | instid1(VALU_DEP_3)
	v_add3_u32 v46, v8, v46, v9
	v_add3_u32 v1, v6, v1, v10
	s_delay_alu instid0(VALU_DEP_3)
	v_add3_u32 v0, v7, v0, v5
	s_cbranch_scc1 .LBB48_70
; %bb.71:
	s_set_inst_prefetch_distance 0x2
	s_bitcmp1_b32 s3, 0
	s_cselect_b32 s3, -1, 0
	s_delay_alu instid0(SALU_CYCLE_1)
	s_and_b32 vcc_lo, exec_lo, s3
	s_cbranch_vccnz .LBB48_75
; %bb.72:
	s_clause 0x3
	s_load_b64 s[4:5], s[0:1], 0x18
	s_load_b32 s3, s[0:1], 0x20
	s_load_b64 s[6:7], s[0:1], 0xd8
	s_load_b32 s0, s[0:1], 0xe0
	s_waitcnt lgkmcnt(0)
	v_mul_hi_u32 v5, s5, v4
	s_delay_alu instid0(VALU_DEP_1) | instskip(NEXT) | instid1(VALU_DEP_1)
	v_add_nc_u32_e32 v5, v4, v5
	v_lshrrev_b32_e32 v5, s3, v5
	s_delay_alu instid0(VALU_DEP_1) | instskip(NEXT) | instid1(VALU_DEP_1)
	v_mul_lo_u32 v5, v5, s4
	v_sub_nc_u32_e32 v8, v4, v5
	s_delay_alu instid0(VALU_DEP_1) | instskip(SKIP_2) | instid1(VALU_DEP_2)
	v_mad_u64_u32 v[4:5], null, v8, s6, v[46:47]
	v_mad_u64_u32 v[5:6], null, v8, s7, v[1:2]
	;; [unrolled: 1-line block ×3, first 2 shown]
	v_dual_mov_b32 v46, v4 :: v_dual_mov_b32 v1, v5
	s_delay_alu instid0(VALU_DEP_2)
	v_mov_b32_e32 v0, v6
	s_branch .LBB48_75
.LBB48_73:
	s_endpgm
.LBB48_74:
	s_mov_b32 s2, -1
                                        ; implicit-def: $vgpr46
                                        ; implicit-def: $vgpr1
                                        ; implicit-def: $vgpr0
.LBB48_75:
	s_delay_alu instid0(SALU_CYCLE_1)
	s_and_not1_b32 vcc_lo, exec_lo, s2
	s_cbranch_vccnz .LBB48_78
; %bb.76:
	s_clause 0x1
	s_load_b128 s[0:3], s[36:37], 0x4
	s_load_b128 s[4:7], s[36:37], 0xc4
	s_cmp_lt_u32 s56, 2
	s_waitcnt lgkmcnt(0)
	v_mul_hi_u32 v0, s1, v47
	s_delay_alu instid0(VALU_DEP_1) | instskip(NEXT) | instid1(VALU_DEP_1)
	v_add_nc_u32_e32 v0, v47, v0
	v_lshrrev_b32_e32 v4, s2, v0
	s_delay_alu instid0(VALU_DEP_1) | instskip(NEXT) | instid1(VALU_DEP_1)
	v_mul_lo_u32 v0, v4, s0
	v_sub_nc_u32_e32 v0, v47, v0
	s_delay_alu instid0(VALU_DEP_1)
	v_mul_lo_u32 v46, v0, s4
	v_mul_lo_u32 v1, v0, s5
	v_mul_lo_u32 v0, v0, s6
	s_cbranch_scc1 .LBB48_78
; %bb.77:
	s_clause 0x1
	s_load_b128 s[0:3], s[36:37], 0x10
	s_load_b128 s[4:7], s[36:37], 0xd0
	s_waitcnt lgkmcnt(0)
	v_mul_hi_u32 v5, s1, v4
	s_delay_alu instid0(VALU_DEP_1) | instskip(NEXT) | instid1(VALU_DEP_1)
	v_add_nc_u32_e32 v5, v4, v5
	v_lshrrev_b32_e32 v5, s2, v5
	s_delay_alu instid0(VALU_DEP_1) | instskip(NEXT) | instid1(VALU_DEP_1)
	v_mul_lo_u32 v5, v5, s0
	v_sub_nc_u32_e32 v8, v4, v5
	s_delay_alu instid0(VALU_DEP_1) | instskip(SKIP_2) | instid1(VALU_DEP_2)
	v_mad_u64_u32 v[4:5], null, v8, s4, v[46:47]
	v_mad_u64_u32 v[5:6], null, v8, s5, v[1:2]
	;; [unrolled: 1-line block ×3, first 2 shown]
	v_dual_mov_b32 v46, v4 :: v_dual_mov_b32 v1, v5
	s_delay_alu instid0(VALU_DEP_2)
	v_mov_b32_e32 v0, v6
.LBB48_78:
	v_cmp_ne_u32_e32 vcc_lo, 1, v3
	v_add_nc_u32_e32 v4, 0x80, v47
	s_cbranch_vccnz .LBB48_84
; %bb.79:
	v_dual_mov_b32 v56, 0 :: v_dual_mov_b32 v45, 0
	v_mov_b32_e32 v44, 0
	s_cmp_lg_u32 s56, 0
	s_mov_b32 s2, 0
	s_cbranch_scc0 .LBB48_85
; %bb.80:
	s_min_u32 s3, s57, 15
	v_dual_mov_b32 v44, 0 :: v_dual_mov_b32 v45, 0
	s_add_i32 s0, s3, 1
	v_dual_mov_b32 v56, 0 :: v_dual_mov_b32 v5, v4
	s_and_b32 s4, s0, 30
	s_add_u32 s0, s36, 0xffffffec
	s_addc_u32 s1, s37, -1
	s_set_inst_prefetch_distance 0x1
	.p2align	6
.LBB48_81:                              ; =>This Inner Loop Header: Depth=1
	s_clause 0x2
	s_load_b128 s[8:11], s[0:1], 0x18
	s_load_b64 s[6:7], s[0:1], 0x28
	s_load_b128 s[12:15], s[0:1], 0xd8
	s_waitcnt lgkmcnt(0)
	v_mul_hi_u32 v6, s9, v5
	s_delay_alu instid0(VALU_DEP_1) | instskip(NEXT) | instid1(VALU_DEP_1)
	v_add_nc_u32_e32 v6, v5, v6
	v_lshrrev_b32_e32 v6, s10, v6
	s_delay_alu instid0(VALU_DEP_1)
	v_mul_hi_u32 v7, s6, v6
	v_mul_lo_u32 v8, v6, s8
	s_load_b64 s[8:9], s[0:1], 0xe8
	s_add_u32 s0, s0, 24
	s_addc_u32 s1, s1, 0
	s_add_i32 s4, s4, -2
	s_delay_alu instid0(SALU_CYCLE_1) | instskip(NEXT) | instid1(VALU_DEP_2)
	s_cmp_lg_u32 s4, 0
	v_add_nc_u32_e32 v7, v6, v7
	s_delay_alu instid0(VALU_DEP_2) | instskip(NEXT) | instid1(VALU_DEP_2)
	v_sub_nc_u32_e32 v8, v5, v8
	v_lshrrev_b32_e32 v5, s7, v7
	s_delay_alu instid0(VALU_DEP_2) | instskip(NEXT) | instid1(VALU_DEP_2)
	v_mul_lo_u32 v9, v8, s12
	v_mul_lo_u32 v7, v5, s11
	s_delay_alu instid0(VALU_DEP_1) | instskip(SKIP_2) | instid1(VALU_DEP_3)
	v_sub_nc_u32_e32 v6, v6, v7
	v_mul_lo_u32 v7, v8, s13
	v_mul_lo_u32 v8, v8, s14
	;; [unrolled: 1-line block ×3, first 2 shown]
	s_waitcnt lgkmcnt(0)
	v_mul_lo_u32 v11, v6, s8
	v_mul_lo_u32 v6, v6, s9
	s_delay_alu instid0(VALU_DEP_3) | instskip(NEXT) | instid1(VALU_DEP_3)
	v_add3_u32 v56, v9, v56, v10
	v_add3_u32 v45, v7, v45, v11
	s_delay_alu instid0(VALU_DEP_3)
	v_add3_u32 v44, v8, v44, v6
	s_cbranch_scc1 .LBB48_81
; %bb.82:
	s_set_inst_prefetch_distance 0x2
	s_bitcmp1_b32 s3, 0
	s_cselect_b32 s3, -1, 0
	s_delay_alu instid0(SALU_CYCLE_1)
	s_and_b32 vcc_lo, exec_lo, s3
	s_cbranch_vccnz .LBB48_85
; %bb.83:
	s_clause 0x3
	s_load_b64 s[4:5], s[0:1], 0x18
	s_load_b32 s3, s[0:1], 0x20
	s_load_b64 s[6:7], s[0:1], 0xd8
	s_load_b32 s0, s[0:1], 0xe0
	s_waitcnt lgkmcnt(0)
	v_mul_hi_u32 v6, s5, v5
	s_delay_alu instid0(VALU_DEP_1) | instskip(NEXT) | instid1(VALU_DEP_1)
	v_add_nc_u32_e32 v6, v5, v6
	v_lshrrev_b32_e32 v6, s3, v6
	s_delay_alu instid0(VALU_DEP_1) | instskip(NEXT) | instid1(VALU_DEP_1)
	v_mul_lo_u32 v6, v6, s4
	v_sub_nc_u32_e32 v9, v5, v6
	s_delay_alu instid0(VALU_DEP_1) | instskip(SKIP_2) | instid1(VALU_DEP_2)
	v_mad_u64_u32 v[5:6], null, v9, s6, v[56:57]
	v_mad_u64_u32 v[6:7], null, v9, s7, v[45:46]
	;; [unrolled: 1-line block ×3, first 2 shown]
	v_dual_mov_b32 v56, v5 :: v_dual_mov_b32 v45, v6
	s_delay_alu instid0(VALU_DEP_2)
	v_mov_b32_e32 v44, v7
	s_branch .LBB48_85
.LBB48_84:
	s_mov_b32 s2, -1
                                        ; implicit-def: $vgpr56
                                        ; implicit-def: $vgpr45
                                        ; implicit-def: $vgpr44
.LBB48_85:
	s_delay_alu instid0(SALU_CYCLE_1)
	s_and_not1_b32 vcc_lo, exec_lo, s2
	s_cbranch_vccnz .LBB48_88
; %bb.86:
	s_clause 0x1
	s_load_b128 s[0:3], s[36:37], 0x4
	s_load_b128 s[4:7], s[36:37], 0xc4
	s_cmp_lt_u32 s56, 2
	s_waitcnt lgkmcnt(0)
	v_mul_hi_u32 v5, s1, v4
	s_delay_alu instid0(VALU_DEP_1) | instskip(NEXT) | instid1(VALU_DEP_1)
	v_add_nc_u32_e32 v5, v4, v5
	v_lshrrev_b32_e32 v5, s2, v5
	s_delay_alu instid0(VALU_DEP_1) | instskip(NEXT) | instid1(VALU_DEP_1)
	v_mul_lo_u32 v6, v5, s0
	v_sub_nc_u32_e32 v4, v4, v6
	s_delay_alu instid0(VALU_DEP_1)
	v_mul_lo_u32 v56, v4, s4
	v_mul_lo_u32 v45, v4, s5
	;; [unrolled: 1-line block ×3, first 2 shown]
	s_cbranch_scc1 .LBB48_88
; %bb.87:
	s_clause 0x1
	s_load_b128 s[0:3], s[36:37], 0x10
	s_load_b128 s[4:7], s[36:37], 0xd0
	s_waitcnt lgkmcnt(0)
	v_mul_hi_u32 v4, s1, v5
	s_delay_alu instid0(VALU_DEP_1) | instskip(NEXT) | instid1(VALU_DEP_1)
	v_add_nc_u32_e32 v4, v5, v4
	v_lshrrev_b32_e32 v4, s2, v4
	s_delay_alu instid0(VALU_DEP_1) | instskip(NEXT) | instid1(VALU_DEP_1)
	v_mul_lo_u32 v4, v4, s0
	v_sub_nc_u32_e32 v8, v5, v4
	s_delay_alu instid0(VALU_DEP_1) | instskip(SKIP_2) | instid1(VALU_DEP_2)
	v_mad_u64_u32 v[4:5], null, v8, s4, v[56:57]
	v_mad_u64_u32 v[5:6], null, v8, s5, v[45:46]
	;; [unrolled: 1-line block ×3, first 2 shown]
	v_dual_mov_b32 v56, v4 :: v_dual_mov_b32 v45, v5
	s_delay_alu instid0(VALU_DEP_2)
	v_mov_b32_e32 v44, v6
.LBB48_88:
	v_cmp_ne_u32_e32 vcc_lo, 1, v3
	v_add_nc_u32_e32 v4, 0x100, v47
	s_cbranch_vccnz .LBB48_94
; %bb.89:
	v_dual_mov_b32 v57, 0 :: v_dual_mov_b32 v58, 0
	v_mov_b32_e32 v59, 0
	s_cmp_lg_u32 s56, 0
	s_mov_b32 s2, 0
	s_cbranch_scc0 .LBB48_95
; %bb.90:
	s_min_u32 s3, s57, 15
	v_dual_mov_b32 v58, 0 :: v_dual_mov_b32 v59, 0
	s_add_i32 s0, s3, 1
	v_mov_b32_e32 v57, 0
	v_mov_b32_e32 v5, v4
	s_and_b32 s4, s0, 30
	s_add_u32 s0, s36, 0xffffffec
	s_addc_u32 s1, s37, -1
	s_set_inst_prefetch_distance 0x1
	.p2align	6
.LBB48_91:                              ; =>This Inner Loop Header: Depth=1
	s_clause 0x2
	s_load_b128 s[8:11], s[0:1], 0x18
	s_load_b64 s[6:7], s[0:1], 0x28
	s_load_b128 s[12:15], s[0:1], 0xd8
	s_waitcnt lgkmcnt(0)
	v_mul_hi_u32 v6, s9, v5
	s_delay_alu instid0(VALU_DEP_1) | instskip(NEXT) | instid1(VALU_DEP_1)
	v_add_nc_u32_e32 v6, v5, v6
	v_lshrrev_b32_e32 v6, s10, v6
	s_delay_alu instid0(VALU_DEP_1)
	v_mul_hi_u32 v7, s6, v6
	v_mul_lo_u32 v8, v6, s8
	s_load_b64 s[8:9], s[0:1], 0xe8
	s_add_u32 s0, s0, 24
	s_addc_u32 s1, s1, 0
	s_add_i32 s4, s4, -2
	s_delay_alu instid0(SALU_CYCLE_1) | instskip(NEXT) | instid1(VALU_DEP_2)
	s_cmp_lg_u32 s4, 0
	v_add_nc_u32_e32 v7, v6, v7
	s_delay_alu instid0(VALU_DEP_2) | instskip(NEXT) | instid1(VALU_DEP_2)
	v_sub_nc_u32_e32 v8, v5, v8
	v_lshrrev_b32_e32 v5, s7, v7
	s_delay_alu instid0(VALU_DEP_2) | instskip(NEXT) | instid1(VALU_DEP_2)
	v_mul_lo_u32 v9, v8, s12
	v_mul_lo_u32 v7, v5, s11
	s_delay_alu instid0(VALU_DEP_1) | instskip(SKIP_2) | instid1(VALU_DEP_3)
	v_sub_nc_u32_e32 v6, v6, v7
	v_mul_lo_u32 v7, v8, s13
	v_mul_lo_u32 v8, v8, s14
	;; [unrolled: 1-line block ×3, first 2 shown]
	s_waitcnt lgkmcnt(0)
	v_mul_lo_u32 v11, v6, s8
	v_mul_lo_u32 v6, v6, s9
	s_delay_alu instid0(VALU_DEP_3) | instskip(NEXT) | instid1(VALU_DEP_3)
	v_add3_u32 v57, v9, v57, v10
	v_add3_u32 v59, v7, v59, v11
	s_delay_alu instid0(VALU_DEP_3)
	v_add3_u32 v58, v8, v58, v6
	s_cbranch_scc1 .LBB48_91
; %bb.92:
	s_set_inst_prefetch_distance 0x2
	s_bitcmp1_b32 s3, 0
	s_cselect_b32 s3, -1, 0
	s_delay_alu instid0(SALU_CYCLE_1)
	s_and_b32 vcc_lo, exec_lo, s3
	s_cbranch_vccnz .LBB48_95
; %bb.93:
	s_clause 0x3
	s_load_b64 s[4:5], s[0:1], 0x18
	s_load_b32 s3, s[0:1], 0x20
	s_load_b64 s[6:7], s[0:1], 0xd8
	s_load_b32 s0, s[0:1], 0xe0
	s_waitcnt lgkmcnt(0)
	v_mul_hi_u32 v6, s5, v5
	s_delay_alu instid0(VALU_DEP_1) | instskip(NEXT) | instid1(VALU_DEP_1)
	v_add_nc_u32_e32 v6, v5, v6
	v_lshrrev_b32_e32 v6, s3, v6
	s_delay_alu instid0(VALU_DEP_1) | instskip(NEXT) | instid1(VALU_DEP_1)
	v_mul_lo_u32 v6, v6, s4
	v_sub_nc_u32_e32 v9, v5, v6
	s_delay_alu instid0(VALU_DEP_1) | instskip(SKIP_2) | instid1(VALU_DEP_3)
	v_mad_u64_u32 v[5:6], null, v9, s6, v[57:58]
	v_mad_u64_u32 v[6:7], null, v9, s7, v[59:60]
	;; [unrolled: 1-line block ×3, first 2 shown]
	v_mov_b32_e32 v57, v5
	s_delay_alu instid0(VALU_DEP_2)
	v_dual_mov_b32 v59, v6 :: v_dual_mov_b32 v58, v7
	s_branch .LBB48_95
.LBB48_94:
	s_mov_b32 s2, -1
                                        ; implicit-def: $vgpr57
                                        ; implicit-def: $vgpr59
                                        ; implicit-def: $vgpr58
.LBB48_95:
	s_delay_alu instid0(SALU_CYCLE_1)
	s_and_not1_b32 vcc_lo, exec_lo, s2
	s_cbranch_vccnz .LBB48_98
; %bb.96:
	s_clause 0x1
	s_load_b128 s[0:3], s[36:37], 0x4
	s_load_b128 s[4:7], s[36:37], 0xc4
	s_cmp_lt_u32 s56, 2
	s_waitcnt lgkmcnt(0)
	v_mul_hi_u32 v5, s1, v4
	s_delay_alu instid0(VALU_DEP_1) | instskip(NEXT) | instid1(VALU_DEP_1)
	v_add_nc_u32_e32 v5, v4, v5
	v_lshrrev_b32_e32 v5, s2, v5
	s_delay_alu instid0(VALU_DEP_1) | instskip(NEXT) | instid1(VALU_DEP_1)
	v_mul_lo_u32 v6, v5, s0
	v_sub_nc_u32_e32 v4, v4, v6
	s_delay_alu instid0(VALU_DEP_1)
	v_mul_lo_u32 v57, v4, s4
	v_mul_lo_u32 v59, v4, s5
	v_mul_lo_u32 v58, v4, s6
	s_cbranch_scc1 .LBB48_98
; %bb.97:
	s_clause 0x1
	s_load_b128 s[0:3], s[36:37], 0x10
	s_load_b128 s[4:7], s[36:37], 0xd0
	s_waitcnt lgkmcnt(0)
	v_mul_hi_u32 v4, s1, v5
	s_delay_alu instid0(VALU_DEP_1) | instskip(NEXT) | instid1(VALU_DEP_1)
	v_add_nc_u32_e32 v4, v5, v4
	v_lshrrev_b32_e32 v4, s2, v4
	s_delay_alu instid0(VALU_DEP_1) | instskip(NEXT) | instid1(VALU_DEP_1)
	v_mul_lo_u32 v4, v4, s0
	v_sub_nc_u32_e32 v8, v5, v4
	s_delay_alu instid0(VALU_DEP_1) | instskip(SKIP_2) | instid1(VALU_DEP_3)
	v_mad_u64_u32 v[4:5], null, v8, s4, v[57:58]
	v_mad_u64_u32 v[5:6], null, v8, s5, v[59:60]
	;; [unrolled: 1-line block ×3, first 2 shown]
	v_mov_b32_e32 v57, v4
	s_delay_alu instid0(VALU_DEP_2)
	v_dual_mov_b32 v59, v5 :: v_dual_mov_b32 v58, v6
.LBB48_98:
	v_cmp_ne_u32_e32 vcc_lo, 1, v3
	s_cbranch_vccnz .LBB48_104
; %bb.99:
	v_dual_mov_b32 v60, 0 :: v_dual_mov_b32 v61, 0
	v_mov_b32_e32 v62, 0
	s_cmp_lg_u32 s56, 0
	s_mov_b32 s2, 0
	s_cbranch_scc0 .LBB48_105
; %bb.100:
	s_min_u32 s3, s57, 15
	v_dual_mov_b32 v61, 0 :: v_dual_mov_b32 v62, 0
	s_add_i32 s0, s3, 1
	v_dual_mov_b32 v60, 0 :: v_dual_mov_b32 v3, v2
	s_and_b32 s4, s0, 30
	s_add_u32 s0, s36, 0xffffffec
	s_addc_u32 s1, s37, -1
	s_set_inst_prefetch_distance 0x1
	.p2align	6
.LBB48_101:                             ; =>This Inner Loop Header: Depth=1
	s_clause 0x2
	s_load_b128 s[8:11], s[0:1], 0x18
	s_load_b64 s[6:7], s[0:1], 0x28
	s_load_b128 s[12:15], s[0:1], 0xd8
	s_waitcnt lgkmcnt(0)
	v_mul_hi_u32 v4, s9, v3
	s_delay_alu instid0(VALU_DEP_1) | instskip(NEXT) | instid1(VALU_DEP_1)
	v_add_nc_u32_e32 v4, v3, v4
	v_lshrrev_b32_e32 v4, s10, v4
	s_delay_alu instid0(VALU_DEP_1)
	v_mul_hi_u32 v5, s6, v4
	v_mul_lo_u32 v6, v4, s8
	s_load_b64 s[8:9], s[0:1], 0xe8
	s_add_u32 s0, s0, 24
	s_addc_u32 s1, s1, 0
	s_add_i32 s4, s4, -2
	s_delay_alu instid0(SALU_CYCLE_1) | instskip(NEXT) | instid1(VALU_DEP_2)
	s_cmp_lg_u32 s4, 0
	v_add_nc_u32_e32 v5, v4, v5
	s_delay_alu instid0(VALU_DEP_2) | instskip(NEXT) | instid1(VALU_DEP_2)
	v_sub_nc_u32_e32 v6, v3, v6
	v_lshrrev_b32_e32 v3, s7, v5
	s_delay_alu instid0(VALU_DEP_2) | instskip(NEXT) | instid1(VALU_DEP_2)
	v_mul_lo_u32 v7, v6, s12
	v_mul_lo_u32 v5, v3, s11
	s_delay_alu instid0(VALU_DEP_1) | instskip(SKIP_2) | instid1(VALU_DEP_3)
	v_sub_nc_u32_e32 v4, v4, v5
	v_mul_lo_u32 v5, v6, s13
	v_mul_lo_u32 v6, v6, s14
	;; [unrolled: 1-line block ×3, first 2 shown]
	s_waitcnt lgkmcnt(0)
	v_mul_lo_u32 v9, v4, s8
	v_mul_lo_u32 v4, v4, s9
	s_delay_alu instid0(VALU_DEP_3) | instskip(NEXT) | instid1(VALU_DEP_3)
	v_add3_u32 v60, v7, v60, v8
	v_add3_u32 v62, v5, v62, v9
	s_delay_alu instid0(VALU_DEP_3)
	v_add3_u32 v61, v6, v61, v4
	s_cbranch_scc1 .LBB48_101
; %bb.102:
	s_set_inst_prefetch_distance 0x2
	s_bitcmp1_b32 s3, 0
	s_cselect_b32 s3, -1, 0
	s_delay_alu instid0(SALU_CYCLE_1)
	s_and_b32 vcc_lo, exec_lo, s3
	s_cbranch_vccnz .LBB48_105
; %bb.103:
	s_clause 0x3
	s_load_b64 s[4:5], s[0:1], 0x18
	s_load_b32 s3, s[0:1], 0x20
	s_load_b64 s[6:7], s[0:1], 0xd8
	s_load_b32 s0, s[0:1], 0xe0
	s_waitcnt lgkmcnt(0)
	v_mul_hi_u32 v4, s5, v3
	s_delay_alu instid0(VALU_DEP_1) | instskip(NEXT) | instid1(VALU_DEP_1)
	v_add_nc_u32_e32 v4, v3, v4
	v_lshrrev_b32_e32 v4, s3, v4
	s_delay_alu instid0(VALU_DEP_1) | instskip(NEXT) | instid1(VALU_DEP_1)
	v_mul_lo_u32 v4, v4, s4
	v_sub_nc_u32_e32 v7, v3, v4
	s_delay_alu instid0(VALU_DEP_1) | instskip(SKIP_2) | instid1(VALU_DEP_3)
	v_mad_u64_u32 v[3:4], null, v7, s6, v[60:61]
	v_mad_u64_u32 v[4:5], null, v7, s7, v[62:63]
	;; [unrolled: 1-line block ×3, first 2 shown]
	v_mov_b32_e32 v60, v3
	s_delay_alu instid0(VALU_DEP_2)
	v_dual_mov_b32 v62, v4 :: v_dual_mov_b32 v61, v5
	s_branch .LBB48_105
.LBB48_104:
	s_mov_b32 s2, -1
                                        ; implicit-def: $vgpr60
                                        ; implicit-def: $vgpr62
                                        ; implicit-def: $vgpr61
.LBB48_105:
	s_delay_alu instid0(SALU_CYCLE_1)
	s_and_not1_b32 vcc_lo, exec_lo, s2
	s_cbranch_vccnz .LBB48_108
; %bb.106:
	s_clause 0x1
	s_load_b128 s[0:3], s[36:37], 0x4
	s_load_b128 s[4:7], s[36:37], 0xc4
	s_cmp_lt_u32 s56, 2
	s_waitcnt lgkmcnt(0)
	v_mul_hi_u32 v3, s1, v2
	s_delay_alu instid0(VALU_DEP_1) | instskip(NEXT) | instid1(VALU_DEP_1)
	v_add_nc_u32_e32 v3, v2, v3
	v_lshrrev_b32_e32 v3, s2, v3
	s_delay_alu instid0(VALU_DEP_1) | instskip(NEXT) | instid1(VALU_DEP_1)
	v_mul_lo_u32 v4, v3, s0
	v_sub_nc_u32_e32 v2, v2, v4
	s_delay_alu instid0(VALU_DEP_1)
	v_mul_lo_u32 v60, v2, s4
	v_mul_lo_u32 v62, v2, s5
	;; [unrolled: 1-line block ×3, first 2 shown]
	s_cbranch_scc1 .LBB48_108
; %bb.107:
	s_clause 0x1
	s_load_b128 s[0:3], s[36:37], 0x10
	s_load_b128 s[4:7], s[36:37], 0xd0
	s_waitcnt lgkmcnt(0)
	v_mul_hi_u32 v2, s1, v3
	s_delay_alu instid0(VALU_DEP_1) | instskip(NEXT) | instid1(VALU_DEP_1)
	v_add_nc_u32_e32 v2, v3, v2
	v_lshrrev_b32_e32 v2, s2, v2
	s_delay_alu instid0(VALU_DEP_1) | instskip(NEXT) | instid1(VALU_DEP_1)
	v_mul_lo_u32 v2, v2, s0
	v_sub_nc_u32_e32 v6, v3, v2
	s_delay_alu instid0(VALU_DEP_1) | instskip(SKIP_2) | instid1(VALU_DEP_3)
	v_mad_u64_u32 v[2:3], null, v6, s4, v[60:61]
	v_mad_u64_u32 v[3:4], null, v6, s5, v[62:63]
	;; [unrolled: 1-line block ×3, first 2 shown]
	v_mov_b32_e32 v60, v2
	s_delay_alu instid0(VALU_DEP_2)
	v_dual_mov_b32 v62, v3 :: v_dual_mov_b32 v61, v4
.LBB48_108:
	s_clause 0x2
	s_load_b64 s[38:39], s[36:37], 0x198
	s_load_b128 s[40:43], s[36:37], 0x188
	s_load_b32 s0, s[36:37], 0x1a0
	s_waitcnt lgkmcnt(0)
	global_load_u16 v0, v0, s[38:39]
	global_load_b32 v40, v1, s[42:43]
	s_bitcmp1_b32 s0, 0
	s_cselect_b32 s0, -1, 0
	s_delay_alu instid0(SALU_CYCLE_1)
	s_xor_b32 s36, s0, -1
	s_mov_b32 s0, -1
	s_and_b32 vcc_lo, exec_lo, s36
	s_waitcnt vmcnt(1)
	v_cvt_f32_f16_e32 v43, v0
	s_cbranch_vccz .LBB48_110
; %bb.109:
	s_waitcnt vmcnt(0)
	s_delay_alu instid0(VALU_DEP_1) | instskip(SKIP_3) | instid1(SALU_CYCLE_1)
	v_dual_mov_b32 v0, v40 :: v_dual_mov_b32 v1, v43
	s_getpc_b64 s[0:1]
	s_add_u32 s0, s0, _ZN12_GLOBAL__N_111calc_igammaIfEET_S1_S1_@rel32@lo+4
	s_addc_u32 s1, s1, _ZN12_GLOBAL__N_111calc_igammaIfEET_S1_S1_@rel32@hi+12
	s_swappc_b64 s[30:31], s[0:1]
	v_mov_b32_e32 v42, v0
	s_cbranch_execz .LBB48_111
	s_branch .LBB48_112
.LBB48_110:
                                        ; implicit-def: $vgpr42
	s_and_not1_b32 vcc_lo, exec_lo, s0
	s_cbranch_vccnz .LBB48_112
.LBB48_111:
	s_waitcnt vmcnt(0)
	v_dual_mov_b32 v0, v40 :: v_dual_mov_b32 v1, v43
	s_getpc_b64 s[0:1]
	s_add_u32 s0, s0, _ZN12_GLOBAL__N_112calc_igammacIfEET_S1_S1_@rel32@lo+4
	s_addc_u32 s1, s1, _ZN12_GLOBAL__N_112calc_igammacIfEET_S1_S1_@rel32@hi+12
	s_delay_alu instid0(SALU_CYCLE_1)
	s_swappc_b64 s[30:31], s[0:1]
	v_mov_b32_e32 v42, v0
.LBB48_112:
	global_load_u16 v0, v44, s[38:39]
	global_load_b32 v40, v45, s[42:43]
	s_and_b32 vcc_lo, exec_lo, s36
	s_waitcnt vmcnt(1)
	v_cvt_f32_f16_e32 v44, v0
	s_cbranch_vccz .LBB48_114
; %bb.113:
	s_waitcnt vmcnt(0)
	v_mov_b32_e32 v0, v40
	s_delay_alu instid0(VALU_DEP_2) | instskip(SKIP_3) | instid1(SALU_CYCLE_1)
	v_mov_b32_e32 v1, v44
	s_getpc_b64 s[0:1]
	s_add_u32 s0, s0, _ZN12_GLOBAL__N_111calc_igammaIfEET_S1_S1_@rel32@lo+4
	s_addc_u32 s1, s1, _ZN12_GLOBAL__N_111calc_igammaIfEET_S1_S1_@rel32@hi+12
	s_swappc_b64 s[30:31], s[0:1]
	v_mov_b32_e32 v43, v0
	s_cbranch_execz .LBB48_115
	s_branch .LBB48_116
.LBB48_114:
                                        ; implicit-def: $vgpr43
.LBB48_115:
	s_waitcnt vmcnt(0)
	v_mov_b32_e32 v0, v40
	s_delay_alu instid0(VALU_DEP_2) | instskip(SKIP_3) | instid1(SALU_CYCLE_1)
	v_mov_b32_e32 v1, v44
	s_getpc_b64 s[0:1]
	s_add_u32 s0, s0, _ZN12_GLOBAL__N_112calc_igammacIfEET_S1_S1_@rel32@lo+4
	s_addc_u32 s1, s1, _ZN12_GLOBAL__N_112calc_igammacIfEET_S1_S1_@rel32@hi+12
	s_swappc_b64 s[30:31], s[0:1]
	v_mov_b32_e32 v43, v0
.LBB48_116:
	global_load_u16 v0, v58, s[38:39]
	global_load_b32 v40, v59, s[42:43]
	s_and_b32 vcc_lo, exec_lo, s36
	s_waitcnt vmcnt(1)
	v_cvt_f32_f16_e32 v45, v0
	s_cbranch_vccz .LBB48_118
; %bb.117:
	s_waitcnt vmcnt(0)
	s_delay_alu instid0(VALU_DEP_1) | instskip(SKIP_3) | instid1(SALU_CYCLE_1)
	v_dual_mov_b32 v0, v40 :: v_dual_mov_b32 v1, v45
	s_getpc_b64 s[0:1]
	s_add_u32 s0, s0, _ZN12_GLOBAL__N_111calc_igammaIfEET_S1_S1_@rel32@lo+4
	s_addc_u32 s1, s1, _ZN12_GLOBAL__N_111calc_igammaIfEET_S1_S1_@rel32@hi+12
	s_swappc_b64 s[30:31], s[0:1]
	v_mov_b32_e32 v44, v0
	s_cbranch_execz .LBB48_119
	s_branch .LBB48_120
.LBB48_118:
                                        ; implicit-def: $vgpr44
.LBB48_119:
	s_waitcnt vmcnt(0)
	s_delay_alu instid0(VALU_DEP_1) | instskip(SKIP_3) | instid1(SALU_CYCLE_1)
	v_dual_mov_b32 v0, v40 :: v_dual_mov_b32 v1, v45
	s_getpc_b64 s[0:1]
	s_add_u32 s0, s0, _ZN12_GLOBAL__N_112calc_igammacIfEET_S1_S1_@rel32@lo+4
	s_addc_u32 s1, s1, _ZN12_GLOBAL__N_112calc_igammacIfEET_S1_S1_@rel32@hi+12
	s_swappc_b64 s[30:31], s[0:1]
	v_mov_b32_e32 v44, v0
.LBB48_120:
	global_load_u16 v0, v61, s[38:39]
	global_load_b32 v40, v62, s[42:43]
	s_and_b32 vcc_lo, exec_lo, s36
	s_waitcnt vmcnt(1)
	v_cvt_f32_f16_e32 v45, v0
	s_cbranch_vccz .LBB48_122
; %bb.121:
	s_waitcnt vmcnt(0)
	s_delay_alu instid0(VALU_DEP_1) | instskip(SKIP_3) | instid1(SALU_CYCLE_1)
	v_dual_mov_b32 v0, v40 :: v_dual_mov_b32 v1, v45
	s_getpc_b64 s[0:1]
	s_add_u32 s0, s0, _ZN12_GLOBAL__N_111calc_igammaIfEET_S1_S1_@rel32@lo+4
	s_addc_u32 s1, s1, _ZN12_GLOBAL__N_111calc_igammaIfEET_S1_S1_@rel32@hi+12
	s_swappc_b64 s[30:31], s[0:1]
	s_cbranch_execz .LBB48_123
	s_branch .LBB48_124
.LBB48_122:
                                        ; implicit-def: $vgpr0
.LBB48_123:
	s_waitcnt vmcnt(0)
	s_delay_alu instid0(VALU_DEP_1) | instskip(SKIP_3) | instid1(SALU_CYCLE_1)
	v_dual_mov_b32 v0, v40 :: v_dual_mov_b32 v1, v45
	s_getpc_b64 s[0:1]
	s_add_u32 s0, s0, _ZN12_GLOBAL__N_112calc_igammacIfEET_S1_S1_@rel32@lo+4
	s_addc_u32 s1, s1, _ZN12_GLOBAL__N_112calc_igammacIfEET_S1_S1_@rel32@hi+12
	s_swappc_b64 s[30:31], s[0:1]
.LBB48_124:
	s_clause 0x3
	global_store_b32 v46, v42, s[40:41]
	global_store_b32 v56, v43, s[40:41]
	global_store_b32 v57, v44, s[40:41]
	global_store_b32 v60, v0, s[40:41]
	s_endpgm
	.section	.rodata,"a",@progbits
	.p2align	6, 0x0
	.amdhsa_kernel _ZN2at6native32elementwise_kernel_manual_unrollILi128ELi4EZNS0_12_GLOBAL__N_142type_specialized_broadcast_kernel_launcherILi3EE5applyIN12_GLOBAL__N_110CalcIgammaIfEESt5arrayIPcLm3EES9_IN3c1010ScalarTypeELm3EE16OffsetCalculatorILi3EjLb0EEEEvlT_T0_T1_T2_EUlibE_EEviSJ_
		.amdhsa_group_segment_fixed_size 0
		.amdhsa_private_segment_fixed_size 144
		.amdhsa_kernarg_size 432
		.amdhsa_user_sgpr_count 15
		.amdhsa_user_sgpr_dispatch_ptr 0
		.amdhsa_user_sgpr_queue_ptr 0
		.amdhsa_user_sgpr_kernarg_segment_ptr 1
		.amdhsa_user_sgpr_dispatch_id 0
		.amdhsa_user_sgpr_private_segment_size 0
		.amdhsa_wavefront_size32 1
		.amdhsa_uses_dynamic_stack 0
		.amdhsa_enable_private_segment 1
		.amdhsa_system_sgpr_workgroup_id_x 1
		.amdhsa_system_sgpr_workgroup_id_y 0
		.amdhsa_system_sgpr_workgroup_id_z 0
		.amdhsa_system_sgpr_workgroup_info 0
		.amdhsa_system_vgpr_workitem_id 0
		.amdhsa_next_free_vgpr 66
		.amdhsa_next_free_sgpr 66
		.amdhsa_reserve_vcc 1
		.amdhsa_float_round_mode_32 0
		.amdhsa_float_round_mode_16_64 0
		.amdhsa_float_denorm_mode_32 3
		.amdhsa_float_denorm_mode_16_64 3
		.amdhsa_dx10_clamp 1
		.amdhsa_ieee_mode 1
		.amdhsa_fp16_overflow 0
		.amdhsa_workgroup_processor_mode 1
		.amdhsa_memory_ordered 1
		.amdhsa_forward_progress 0
		.amdhsa_shared_vgpr_count 0
		.amdhsa_exception_fp_ieee_invalid_op 0
		.amdhsa_exception_fp_denorm_src 0
		.amdhsa_exception_fp_ieee_div_zero 0
		.amdhsa_exception_fp_ieee_overflow 0
		.amdhsa_exception_fp_ieee_underflow 0
		.amdhsa_exception_fp_ieee_inexact 0
		.amdhsa_exception_int_div_zero 0
	.end_amdhsa_kernel
	.section	.text._ZN2at6native32elementwise_kernel_manual_unrollILi128ELi4EZNS0_12_GLOBAL__N_142type_specialized_broadcast_kernel_launcherILi3EE5applyIN12_GLOBAL__N_110CalcIgammaIfEESt5arrayIPcLm3EES9_IN3c1010ScalarTypeELm3EE16OffsetCalculatorILi3EjLb0EEEEvlT_T0_T1_T2_EUlibE_EEviSJ_,"axG",@progbits,_ZN2at6native32elementwise_kernel_manual_unrollILi128ELi4EZNS0_12_GLOBAL__N_142type_specialized_broadcast_kernel_launcherILi3EE5applyIN12_GLOBAL__N_110CalcIgammaIfEESt5arrayIPcLm3EES9_IN3c1010ScalarTypeELm3EE16OffsetCalculatorILi3EjLb0EEEEvlT_T0_T1_T2_EUlibE_EEviSJ_,comdat
.Lfunc_end48:
	.size	_ZN2at6native32elementwise_kernel_manual_unrollILi128ELi4EZNS0_12_GLOBAL__N_142type_specialized_broadcast_kernel_launcherILi3EE5applyIN12_GLOBAL__N_110CalcIgammaIfEESt5arrayIPcLm3EES9_IN3c1010ScalarTypeELm3EE16OffsetCalculatorILi3EjLb0EEEEvlT_T0_T1_T2_EUlibE_EEviSJ_, .Lfunc_end48-_ZN2at6native32elementwise_kernel_manual_unrollILi128ELi4EZNS0_12_GLOBAL__N_142type_specialized_broadcast_kernel_launcherILi3EE5applyIN12_GLOBAL__N_110CalcIgammaIfEESt5arrayIPcLm3EES9_IN3c1010ScalarTypeELm3EE16OffsetCalculatorILi3EjLb0EEEEvlT_T0_T1_T2_EUlibE_EEviSJ_
                                        ; -- End function
	.section	.AMDGPU.csdata,"",@progbits
; Kernel info:
; codeLenInByte = 6620
; NumSgprs: 68
; NumVgprs: 66
; ScratchSize: 144
; MemoryBound: 0
; FloatMode: 240
; IeeeMode: 1
; LDSByteSize: 0 bytes/workgroup (compile time only)
; SGPRBlocks: 8
; VGPRBlocks: 8
; NumSGPRsForWavesPerEU: 68
; NumVGPRsForWavesPerEU: 66
; Occupancy: 16
; WaveLimiterHint : 1
; COMPUTE_PGM_RSRC2:SCRATCH_EN: 1
; COMPUTE_PGM_RSRC2:USER_SGPR: 15
; COMPUTE_PGM_RSRC2:TRAP_HANDLER: 0
; COMPUTE_PGM_RSRC2:TGID_X_EN: 1
; COMPUTE_PGM_RSRC2:TGID_Y_EN: 0
; COMPUTE_PGM_RSRC2:TGID_Z_EN: 0
; COMPUTE_PGM_RSRC2:TIDIG_COMP_CNT: 0
	.section	.text._ZN2at6native32elementwise_kernel_manual_unrollILi128ELi4EZNS0_12_GLOBAL__N_142type_specialized_broadcast_kernel_launcherILi4EE5applyIN12_GLOBAL__N_110CalcIgammaIfEESt5arrayIPcLm3EES9_IN3c1010ScalarTypeELm3EE16OffsetCalculatorILi3EjLb0EEEEvlT_T0_T1_T2_EUlibE_EEviSJ_,"axG",@progbits,_ZN2at6native32elementwise_kernel_manual_unrollILi128ELi4EZNS0_12_GLOBAL__N_142type_specialized_broadcast_kernel_launcherILi4EE5applyIN12_GLOBAL__N_110CalcIgammaIfEESt5arrayIPcLm3EES9_IN3c1010ScalarTypeELm3EE16OffsetCalculatorILi3EjLb0EEEEvlT_T0_T1_T2_EUlibE_EEviSJ_,comdat
	.globl	_ZN2at6native32elementwise_kernel_manual_unrollILi128ELi4EZNS0_12_GLOBAL__N_142type_specialized_broadcast_kernel_launcherILi4EE5applyIN12_GLOBAL__N_110CalcIgammaIfEESt5arrayIPcLm3EES9_IN3c1010ScalarTypeELm3EE16OffsetCalculatorILi3EjLb0EEEEvlT_T0_T1_T2_EUlibE_EEviSJ_ ; -- Begin function _ZN2at6native32elementwise_kernel_manual_unrollILi128ELi4EZNS0_12_GLOBAL__N_142type_specialized_broadcast_kernel_launcherILi4EE5applyIN12_GLOBAL__N_110CalcIgammaIfEESt5arrayIPcLm3EES9_IN3c1010ScalarTypeELm3EE16OffsetCalculatorILi3EjLb0EEEEvlT_T0_T1_T2_EUlibE_EEviSJ_
	.p2align	8
	.type	_ZN2at6native32elementwise_kernel_manual_unrollILi128ELi4EZNS0_12_GLOBAL__N_142type_specialized_broadcast_kernel_launcherILi4EE5applyIN12_GLOBAL__N_110CalcIgammaIfEESt5arrayIPcLm3EES9_IN3c1010ScalarTypeELm3EE16OffsetCalculatorILi3EjLb0EEEEvlT_T0_T1_T2_EUlibE_EEviSJ_,@function
_ZN2at6native32elementwise_kernel_manual_unrollILi128ELi4EZNS0_12_GLOBAL__N_142type_specialized_broadcast_kernel_launcherILi4EE5applyIN12_GLOBAL__N_110CalcIgammaIfEESt5arrayIPcLm3EES9_IN3c1010ScalarTypeELm3EE16OffsetCalculatorILi3EjLb0EEEEvlT_T0_T1_T2_EUlibE_EEviSJ_: ; @_ZN2at6native32elementwise_kernel_manual_unrollILi128ELi4EZNS0_12_GLOBAL__N_142type_specialized_broadcast_kernel_launcherILi4EE5applyIN12_GLOBAL__N_110CalcIgammaIfEESt5arrayIPcLm3EES9_IN3c1010ScalarTypeELm3EE16OffsetCalculatorILi3EjLb0EEEEvlT_T0_T1_T2_EUlibE_EEviSJ_
; %bb.0:
	s_clause 0x1
	s_load_b32 s56, s[0:1], 0x8
	s_load_b32 s63, s[0:1], 0x0
	v_lshl_or_b32 v47, s15, 9, v0
	s_mov_b64 s[36:37], s[0:1]
	s_mov_b32 s32, 0
	s_or_b32 s36, s36, 8
	s_mov_b32 s0, exec_lo
	v_or_b32_e32 v2, 0x180, v47
	s_waitcnt lgkmcnt(0)
	s_add_i32 s57, s56, -1
	s_delay_alu instid0(SALU_CYCLE_1)
	s_cmp_gt_u32 s57, 1
	s_cselect_b32 s58, -1, 0
	v_cmpx_le_i32_e64 s63, v2
	s_xor_b32 s59, exec_lo, s0
	s_cbranch_execz .LBB49_66
; %bb.1:
	s_clause 0x6
	s_load_b32 s0, s[36:37], 0x1a0
	s_load_b128 s[48:51], s[36:37], 0x4
	s_load_b64 s[54:55], s[36:37], 0x14
	s_load_b128 s[44:47], s[36:37], 0xc4
	s_load_b64 s[52:53], s[36:37], 0xd4
	s_load_b64 s[38:39], s[36:37], 0x198
	s_load_b128 s[40:43], s[36:37], 0x188
	s_cmp_lg_u32 s56, 0
	s_mov_b32 s65, exec_lo
	s_cselect_b32 s64, -1, 0
	s_min_u32 s62, s57, 15
	s_cmp_gt_u32 s56, 1
	s_cselect_b32 s61, -1, 0
	s_waitcnt lgkmcnt(0)
	s_bitcmp1_b32 s0, 0
	s_cselect_b32 s0, -1, 0
	s_delay_alu instid0(SALU_CYCLE_1)
	s_xor_b32 s60, s0, -1
	v_cmpx_gt_i32_e64 s63, v47
	s_cbranch_execnz .LBB49_5
; %bb.2:
	s_or_b32 exec_lo, exec_lo, s65
	s_delay_alu instid0(SALU_CYCLE_1)
	s_mov_b32 s65, exec_lo
	v_cmpx_gt_i32_e64 s63, v47
	s_cbranch_execnz .LBB49_20
.LBB49_3:
	s_or_b32 exec_lo, exec_lo, s65
	s_delay_alu instid0(SALU_CYCLE_1)
	s_mov_b32 s65, exec_lo
	v_cmpx_gt_i32_e64 s63, v47
	s_cbranch_execnz .LBB49_35
.LBB49_4:
	s_or_b32 exec_lo, exec_lo, s65
	v_cmp_gt_i32_e32 vcc_lo, s63, v47
	s_and_saveexec_b32 s63, vcc_lo
	s_cbranch_execnz .LBB49_50
	s_branch .LBB49_65
.LBB49_5:
	s_and_not1_b32 vcc_lo, exec_lo, s58
	s_cbranch_vccnz .LBB49_11
; %bb.6:
	v_dual_mov_b32 v43, 0 :: v_dual_mov_b32 v0, 0
	v_mov_b32_e32 v1, 0
	s_and_not1_b32 vcc_lo, exec_lo, s64
	s_mov_b32 s2, 0
	s_cbranch_vccnz .LBB49_12
; %bb.7:
	s_add_i32 s0, s62, 1
	v_dual_mov_b32 v0, 0 :: v_dual_mov_b32 v1, 0
	v_dual_mov_b32 v43, 0 :: v_dual_mov_b32 v2, v47
	s_and_b32 s3, s0, 30
	s_add_u32 s0, s36, 0xffffffec
	s_addc_u32 s1, s37, -1
	s_set_inst_prefetch_distance 0x1
	.p2align	6
.LBB49_8:                               ; =>This Inner Loop Header: Depth=1
	s_clause 0x2
	s_load_b128 s[4:7], s[0:1], 0x18
	s_load_b64 s[12:13], s[0:1], 0x28
	s_load_b128 s[8:11], s[0:1], 0xd8
	s_waitcnt lgkmcnt(0)
	v_mul_hi_u32 v3, s5, v2
	s_delay_alu instid0(VALU_DEP_1) | instskip(NEXT) | instid1(VALU_DEP_1)
	v_add_nc_u32_e32 v3, v2, v3
	v_lshrrev_b32_e32 v3, s6, v3
	s_delay_alu instid0(VALU_DEP_1)
	v_mul_hi_u32 v4, s12, v3
	v_mul_lo_u32 v5, v3, s4
	s_load_b64 s[4:5], s[0:1], 0xe8
	s_add_u32 s0, s0, 24
	s_addc_u32 s1, s1, 0
	s_add_i32 s3, s3, -2
	s_delay_alu instid0(SALU_CYCLE_1) | instskip(NEXT) | instid1(VALU_DEP_2)
	s_cmp_lg_u32 s3, 0
	v_add_nc_u32_e32 v4, v3, v4
	s_delay_alu instid0(VALU_DEP_2) | instskip(NEXT) | instid1(VALU_DEP_2)
	v_sub_nc_u32_e32 v5, v2, v5
	v_lshrrev_b32_e32 v2, s13, v4
	s_delay_alu instid0(VALU_DEP_2) | instskip(NEXT) | instid1(VALU_DEP_2)
	v_mul_lo_u32 v6, v5, s8
	v_mul_lo_u32 v4, v2, s7
	s_delay_alu instid0(VALU_DEP_1) | instskip(SKIP_2) | instid1(VALU_DEP_3)
	v_sub_nc_u32_e32 v3, v3, v4
	v_mul_lo_u32 v4, v5, s9
	v_mul_lo_u32 v5, v5, s10
	;; [unrolled: 1-line block ×3, first 2 shown]
	s_waitcnt lgkmcnt(0)
	v_mul_lo_u32 v8, v3, s4
	v_mul_lo_u32 v3, v3, s5
	s_delay_alu instid0(VALU_DEP_3) | instskip(NEXT) | instid1(VALU_DEP_3)
	v_add3_u32 v43, v6, v43, v7
	v_add3_u32 v1, v4, v1, v8
	s_delay_alu instid0(VALU_DEP_3)
	v_add3_u32 v0, v5, v0, v3
	s_cbranch_scc1 .LBB49_8
; %bb.9:
	s_set_inst_prefetch_distance 0x2
	s_bitcmp1_b32 s62, 0
	s_cselect_b32 s3, -1, 0
	s_delay_alu instid0(SALU_CYCLE_1)
	s_and_b32 vcc_lo, exec_lo, s3
	s_cbranch_vccnz .LBB49_12
; %bb.10:
	s_clause 0x3
	s_load_b64 s[4:5], s[0:1], 0x18
	s_load_b32 s3, s[0:1], 0x20
	s_load_b64 s[6:7], s[0:1], 0xd8
	s_load_b32 s0, s[0:1], 0xe0
	s_waitcnt lgkmcnt(0)
	v_mul_hi_u32 v3, s5, v2
	s_delay_alu instid0(VALU_DEP_1) | instskip(NEXT) | instid1(VALU_DEP_1)
	v_add_nc_u32_e32 v3, v2, v3
	v_lshrrev_b32_e32 v3, s3, v3
	s_delay_alu instid0(VALU_DEP_1) | instskip(NEXT) | instid1(VALU_DEP_1)
	v_mul_lo_u32 v3, v3, s4
	v_sub_nc_u32_e32 v6, v2, v3
	s_delay_alu instid0(VALU_DEP_1) | instskip(NEXT) | instid1(VALU_DEP_1)
	v_mad_u64_u32 v[2:3], null, v6, s6, v[43:44]
	v_mad_u64_u32 v[3:4], null, v6, s7, v[1:2]
	;; [unrolled: 1-line block ×3, first 2 shown]
	v_mov_b32_e32 v43, v2
	s_delay_alu instid0(VALU_DEP_2)
	v_dual_mov_b32 v1, v3 :: v_dual_mov_b32 v0, v4
	s_branch .LBB49_12
.LBB49_11:
	s_mov_b32 s2, -1
                                        ; implicit-def: $vgpr43
                                        ; implicit-def: $vgpr1
                                        ; implicit-def: $vgpr0
.LBB49_12:
	s_delay_alu instid0(SALU_CYCLE_1)
	s_and_not1_b32 vcc_lo, exec_lo, s2
	s_cbranch_vccnz .LBB49_15
; %bb.13:
	v_mul_hi_u32 v0, s49, v47
	s_and_not1_b32 vcc_lo, exec_lo, s61
	s_delay_alu instid0(VALU_DEP_1) | instskip(NEXT) | instid1(VALU_DEP_1)
	v_add_nc_u32_e32 v0, v47, v0
	v_lshrrev_b32_e32 v2, s50, v0
	s_delay_alu instid0(VALU_DEP_1) | instskip(NEXT) | instid1(VALU_DEP_1)
	v_mul_lo_u32 v0, v2, s48
	v_sub_nc_u32_e32 v0, v47, v0
	s_delay_alu instid0(VALU_DEP_1)
	v_mul_lo_u32 v43, v0, s44
	v_mul_lo_u32 v1, v0, s45
	;; [unrolled: 1-line block ×3, first 2 shown]
	s_cbranch_vccnz .LBB49_15
; %bb.14:
	v_mul_hi_u32 v3, s54, v2
	s_delay_alu instid0(VALU_DEP_1) | instskip(NEXT) | instid1(VALU_DEP_1)
	v_add_nc_u32_e32 v3, v2, v3
	v_lshrrev_b32_e32 v3, s55, v3
	s_delay_alu instid0(VALU_DEP_1) | instskip(NEXT) | instid1(VALU_DEP_1)
	v_mul_lo_u32 v3, v3, s51
	v_sub_nc_u32_e32 v6, v2, v3
	s_delay_alu instid0(VALU_DEP_1) | instskip(NEXT) | instid1(VALU_DEP_1)
	v_mad_u64_u32 v[2:3], null, v6, s47, v[43:44]
	v_mad_u64_u32 v[3:4], null, v6, s52, v[1:2]
	;; [unrolled: 1-line block ×3, first 2 shown]
	v_mov_b32_e32 v43, v2
	s_delay_alu instid0(VALU_DEP_2)
	v_dual_mov_b32 v1, v3 :: v_dual_mov_b32 v0, v4
.LBB49_15:
	global_load_u16 v1, v1, s[42:43]
	global_load_b32 v40, v0, s[38:39]
	s_and_b32 vcc_lo, exec_lo, s60
	s_waitcnt vmcnt(1)
	v_cvt_f32_f16_e32 v42, v1
	s_cbranch_vccz .LBB49_17
; %bb.16:
	s_waitcnt vmcnt(0)
	s_delay_alu instid0(VALU_DEP_1) | instskip(SKIP_3) | instid1(SALU_CYCLE_1)
	v_dual_mov_b32 v0, v42 :: v_dual_mov_b32 v1, v40
	s_getpc_b64 s[0:1]
	s_add_u32 s0, s0, _ZN12_GLOBAL__N_111calc_igammaIfEET_S1_S1_@rel32@lo+4
	s_addc_u32 s1, s1, _ZN12_GLOBAL__N_111calc_igammaIfEET_S1_S1_@rel32@hi+12
	s_swappc_b64 s[30:31], s[0:1]
	s_cbranch_execz .LBB49_18
	s_branch .LBB49_19
.LBB49_17:
                                        ; implicit-def: $vgpr0
.LBB49_18:
	s_waitcnt vmcnt(0)
	s_delay_alu instid0(VALU_DEP_1) | instskip(SKIP_3) | instid1(SALU_CYCLE_1)
	v_dual_mov_b32 v0, v42 :: v_dual_mov_b32 v1, v40
	s_getpc_b64 s[0:1]
	s_add_u32 s0, s0, _ZN12_GLOBAL__N_112calc_igammacIfEET_S1_S1_@rel32@lo+4
	s_addc_u32 s1, s1, _ZN12_GLOBAL__N_112calc_igammacIfEET_S1_S1_@rel32@hi+12
	s_swappc_b64 s[30:31], s[0:1]
.LBB49_19:
	v_add_nc_u32_e32 v47, 0x80, v47
	global_store_b32 v43, v0, s[40:41]
	s_or_b32 exec_lo, exec_lo, s65
	s_delay_alu instid0(SALU_CYCLE_1)
	s_mov_b32 s65, exec_lo
	v_cmpx_gt_i32_e64 s63, v47
	s_cbranch_execz .LBB49_3
.LBB49_20:
	s_and_not1_b32 vcc_lo, exec_lo, s58
	s_cbranch_vccnz .LBB49_26
; %bb.21:
	v_dual_mov_b32 v43, 0 :: v_dual_mov_b32 v0, 0
	v_mov_b32_e32 v1, 0
	s_and_not1_b32 vcc_lo, exec_lo, s64
	s_mov_b32 s2, 0
	s_cbranch_vccnz .LBB49_27
; %bb.22:
	s_add_i32 s0, s62, 1
	v_dual_mov_b32 v0, 0 :: v_dual_mov_b32 v1, 0
	v_dual_mov_b32 v43, 0 :: v_dual_mov_b32 v2, v47
	s_and_b32 s3, s0, 30
	s_add_u32 s0, s36, 0xffffffec
	s_addc_u32 s1, s37, -1
	s_set_inst_prefetch_distance 0x1
	.p2align	6
.LBB49_23:                              ; =>This Inner Loop Header: Depth=1
	s_clause 0x2
	s_load_b128 s[4:7], s[0:1], 0x18
	s_load_b64 s[12:13], s[0:1], 0x28
	s_load_b128 s[8:11], s[0:1], 0xd8
	s_waitcnt lgkmcnt(0)
	v_mul_hi_u32 v3, s5, v2
	s_delay_alu instid0(VALU_DEP_1) | instskip(NEXT) | instid1(VALU_DEP_1)
	v_add_nc_u32_e32 v3, v2, v3
	v_lshrrev_b32_e32 v3, s6, v3
	s_delay_alu instid0(VALU_DEP_1)
	v_mul_hi_u32 v4, s12, v3
	v_mul_lo_u32 v5, v3, s4
	s_load_b64 s[4:5], s[0:1], 0xe8
	s_add_u32 s0, s0, 24
	s_addc_u32 s1, s1, 0
	s_add_i32 s3, s3, -2
	s_delay_alu instid0(SALU_CYCLE_1) | instskip(NEXT) | instid1(VALU_DEP_2)
	s_cmp_eq_u32 s3, 0
	v_add_nc_u32_e32 v4, v3, v4
	s_delay_alu instid0(VALU_DEP_2) | instskip(NEXT) | instid1(VALU_DEP_2)
	v_sub_nc_u32_e32 v5, v2, v5
	v_lshrrev_b32_e32 v2, s13, v4
	s_delay_alu instid0(VALU_DEP_2) | instskip(NEXT) | instid1(VALU_DEP_2)
	v_mul_lo_u32 v6, v5, s8
	v_mul_lo_u32 v4, v2, s7
	s_delay_alu instid0(VALU_DEP_1) | instskip(SKIP_2) | instid1(VALU_DEP_3)
	v_sub_nc_u32_e32 v3, v3, v4
	v_mul_lo_u32 v4, v5, s9
	v_mul_lo_u32 v5, v5, s10
	;; [unrolled: 1-line block ×3, first 2 shown]
	s_waitcnt lgkmcnt(0)
	v_mul_lo_u32 v8, v3, s4
	v_mul_lo_u32 v3, v3, s5
	s_delay_alu instid0(VALU_DEP_3) | instskip(NEXT) | instid1(VALU_DEP_3)
	v_add3_u32 v43, v6, v43, v7
	v_add3_u32 v1, v4, v1, v8
	s_delay_alu instid0(VALU_DEP_3)
	v_add3_u32 v0, v5, v0, v3
	s_cbranch_scc0 .LBB49_23
; %bb.24:
	s_set_inst_prefetch_distance 0x2
	s_bitcmp1_b32 s62, 0
	s_cselect_b32 s3, -1, 0
	s_delay_alu instid0(SALU_CYCLE_1)
	s_and_b32 vcc_lo, exec_lo, s3
	s_cbranch_vccnz .LBB49_27
; %bb.25:
	s_clause 0x3
	s_load_b64 s[4:5], s[0:1], 0x18
	s_load_b32 s3, s[0:1], 0x20
	s_load_b64 s[6:7], s[0:1], 0xd8
	s_load_b32 s0, s[0:1], 0xe0
	s_waitcnt lgkmcnt(0)
	v_mul_hi_u32 v3, s5, v2
	s_delay_alu instid0(VALU_DEP_1) | instskip(NEXT) | instid1(VALU_DEP_1)
	v_add_nc_u32_e32 v3, v2, v3
	v_lshrrev_b32_e32 v3, s3, v3
	s_delay_alu instid0(VALU_DEP_1) | instskip(NEXT) | instid1(VALU_DEP_1)
	v_mul_lo_u32 v3, v3, s4
	v_sub_nc_u32_e32 v6, v2, v3
	s_delay_alu instid0(VALU_DEP_1) | instskip(NEXT) | instid1(VALU_DEP_1)
	v_mad_u64_u32 v[2:3], null, v6, s6, v[43:44]
	v_mad_u64_u32 v[3:4], null, v6, s7, v[1:2]
	;; [unrolled: 1-line block ×3, first 2 shown]
	v_mov_b32_e32 v43, v2
	s_delay_alu instid0(VALU_DEP_2)
	v_dual_mov_b32 v1, v3 :: v_dual_mov_b32 v0, v4
	s_branch .LBB49_27
.LBB49_26:
	s_mov_b32 s2, -1
                                        ; implicit-def: $vgpr43
                                        ; implicit-def: $vgpr1
                                        ; implicit-def: $vgpr0
.LBB49_27:
	s_delay_alu instid0(SALU_CYCLE_1)
	s_and_not1_b32 vcc_lo, exec_lo, s2
	s_cbranch_vccnz .LBB49_30
; %bb.28:
	v_mul_hi_u32 v0, s49, v47
	s_and_not1_b32 vcc_lo, exec_lo, s61
	s_delay_alu instid0(VALU_DEP_1) | instskip(NEXT) | instid1(VALU_DEP_1)
	v_add_nc_u32_e32 v0, v47, v0
	v_lshrrev_b32_e32 v2, s50, v0
	s_delay_alu instid0(VALU_DEP_1) | instskip(NEXT) | instid1(VALU_DEP_1)
	v_mul_lo_u32 v0, v2, s48
	v_sub_nc_u32_e32 v0, v47, v0
	s_delay_alu instid0(VALU_DEP_1)
	v_mul_lo_u32 v43, v0, s44
	v_mul_lo_u32 v1, v0, s45
	;; [unrolled: 1-line block ×3, first 2 shown]
	s_cbranch_vccnz .LBB49_30
; %bb.29:
	v_mul_hi_u32 v3, s54, v2
	s_delay_alu instid0(VALU_DEP_1) | instskip(NEXT) | instid1(VALU_DEP_1)
	v_add_nc_u32_e32 v3, v2, v3
	v_lshrrev_b32_e32 v3, s55, v3
	s_delay_alu instid0(VALU_DEP_1) | instskip(NEXT) | instid1(VALU_DEP_1)
	v_mul_lo_u32 v3, v3, s51
	v_sub_nc_u32_e32 v6, v2, v3
	s_delay_alu instid0(VALU_DEP_1) | instskip(NEXT) | instid1(VALU_DEP_1)
	v_mad_u64_u32 v[2:3], null, v6, s47, v[43:44]
	v_mad_u64_u32 v[3:4], null, v6, s52, v[1:2]
	;; [unrolled: 1-line block ×3, first 2 shown]
	v_mov_b32_e32 v43, v2
	s_delay_alu instid0(VALU_DEP_2)
	v_dual_mov_b32 v1, v3 :: v_dual_mov_b32 v0, v4
.LBB49_30:
	global_load_u16 v1, v1, s[42:43]
	global_load_b32 v40, v0, s[38:39]
	s_and_not1_b32 vcc_lo, exec_lo, s60
	s_waitcnt vmcnt(1)
	v_cvt_f32_f16_e32 v42, v1
	s_cbranch_vccnz .LBB49_32
; %bb.31:
	s_waitcnt vmcnt(0)
	s_delay_alu instid0(VALU_DEP_1) | instskip(SKIP_3) | instid1(SALU_CYCLE_1)
	v_dual_mov_b32 v0, v42 :: v_dual_mov_b32 v1, v40
	s_getpc_b64 s[0:1]
	s_add_u32 s0, s0, _ZN12_GLOBAL__N_111calc_igammaIfEET_S1_S1_@rel32@lo+4
	s_addc_u32 s1, s1, _ZN12_GLOBAL__N_111calc_igammaIfEET_S1_S1_@rel32@hi+12
	s_swappc_b64 s[30:31], s[0:1]
	s_cbranch_execz .LBB49_33
	s_branch .LBB49_34
.LBB49_32:
                                        ; implicit-def: $vgpr0
.LBB49_33:
	s_waitcnt vmcnt(0)
	s_delay_alu instid0(VALU_DEP_1) | instskip(SKIP_3) | instid1(SALU_CYCLE_1)
	v_dual_mov_b32 v0, v42 :: v_dual_mov_b32 v1, v40
	s_getpc_b64 s[0:1]
	s_add_u32 s0, s0, _ZN12_GLOBAL__N_112calc_igammacIfEET_S1_S1_@rel32@lo+4
	s_addc_u32 s1, s1, _ZN12_GLOBAL__N_112calc_igammacIfEET_S1_S1_@rel32@hi+12
	s_swappc_b64 s[30:31], s[0:1]
.LBB49_34:
	v_add_nc_u32_e32 v47, 0x80, v47
	global_store_b32 v43, v0, s[40:41]
	s_or_b32 exec_lo, exec_lo, s65
	s_delay_alu instid0(SALU_CYCLE_1)
	s_mov_b32 s65, exec_lo
	v_cmpx_gt_i32_e64 s63, v47
	s_cbranch_execz .LBB49_4
.LBB49_35:
	s_and_not1_b32 vcc_lo, exec_lo, s58
	s_cbranch_vccnz .LBB49_41
; %bb.36:
	v_dual_mov_b32 v43, 0 :: v_dual_mov_b32 v0, 0
	v_mov_b32_e32 v1, 0
	s_and_not1_b32 vcc_lo, exec_lo, s64
	s_mov_b32 s2, 0
	s_cbranch_vccnz .LBB49_42
; %bb.37:
	s_add_i32 s0, s62, 1
	v_dual_mov_b32 v0, 0 :: v_dual_mov_b32 v1, 0
	v_dual_mov_b32 v43, 0 :: v_dual_mov_b32 v2, v47
	s_and_b32 s3, s0, 30
	s_add_u32 s0, s36, 0xffffffec
	s_addc_u32 s1, s37, -1
	s_set_inst_prefetch_distance 0x1
	.p2align	6
.LBB49_38:                              ; =>This Inner Loop Header: Depth=1
	s_clause 0x2
	s_load_b128 s[4:7], s[0:1], 0x18
	s_load_b64 s[12:13], s[0:1], 0x28
	s_load_b128 s[8:11], s[0:1], 0xd8
	s_waitcnt lgkmcnt(0)
	v_mul_hi_u32 v3, s5, v2
	s_delay_alu instid0(VALU_DEP_1) | instskip(NEXT) | instid1(VALU_DEP_1)
	v_add_nc_u32_e32 v3, v2, v3
	v_lshrrev_b32_e32 v3, s6, v3
	s_delay_alu instid0(VALU_DEP_1)
	v_mul_hi_u32 v4, s12, v3
	v_mul_lo_u32 v5, v3, s4
	s_load_b64 s[4:5], s[0:1], 0xe8
	s_add_u32 s0, s0, 24
	s_addc_u32 s1, s1, 0
	s_add_i32 s3, s3, -2
	s_delay_alu instid0(SALU_CYCLE_1) | instskip(NEXT) | instid1(VALU_DEP_2)
	s_cmp_eq_u32 s3, 0
	v_add_nc_u32_e32 v4, v3, v4
	s_delay_alu instid0(VALU_DEP_2) | instskip(NEXT) | instid1(VALU_DEP_2)
	v_sub_nc_u32_e32 v5, v2, v5
	v_lshrrev_b32_e32 v2, s13, v4
	s_delay_alu instid0(VALU_DEP_2) | instskip(NEXT) | instid1(VALU_DEP_2)
	v_mul_lo_u32 v6, v5, s8
	v_mul_lo_u32 v4, v2, s7
	s_delay_alu instid0(VALU_DEP_1) | instskip(SKIP_2) | instid1(VALU_DEP_3)
	v_sub_nc_u32_e32 v3, v3, v4
	v_mul_lo_u32 v4, v5, s9
	v_mul_lo_u32 v5, v5, s10
	;; [unrolled: 1-line block ×3, first 2 shown]
	s_waitcnt lgkmcnt(0)
	v_mul_lo_u32 v8, v3, s4
	v_mul_lo_u32 v3, v3, s5
	s_delay_alu instid0(VALU_DEP_3) | instskip(NEXT) | instid1(VALU_DEP_3)
	v_add3_u32 v43, v6, v43, v7
	v_add3_u32 v1, v4, v1, v8
	s_delay_alu instid0(VALU_DEP_3)
	v_add3_u32 v0, v5, v0, v3
	s_cbranch_scc0 .LBB49_38
; %bb.39:
	s_set_inst_prefetch_distance 0x2
	s_bitcmp1_b32 s62, 0
	s_cselect_b32 s3, -1, 0
	s_delay_alu instid0(SALU_CYCLE_1)
	s_and_b32 vcc_lo, exec_lo, s3
	s_cbranch_vccnz .LBB49_42
; %bb.40:
	s_clause 0x3
	s_load_b64 s[4:5], s[0:1], 0x18
	s_load_b32 s3, s[0:1], 0x20
	s_load_b64 s[6:7], s[0:1], 0xd8
	s_load_b32 s0, s[0:1], 0xe0
	s_waitcnt lgkmcnt(0)
	v_mul_hi_u32 v3, s5, v2
	s_delay_alu instid0(VALU_DEP_1) | instskip(NEXT) | instid1(VALU_DEP_1)
	v_add_nc_u32_e32 v3, v2, v3
	v_lshrrev_b32_e32 v3, s3, v3
	s_delay_alu instid0(VALU_DEP_1) | instskip(NEXT) | instid1(VALU_DEP_1)
	v_mul_lo_u32 v3, v3, s4
	v_sub_nc_u32_e32 v6, v2, v3
	s_delay_alu instid0(VALU_DEP_1) | instskip(NEXT) | instid1(VALU_DEP_1)
	v_mad_u64_u32 v[2:3], null, v6, s6, v[43:44]
	v_mad_u64_u32 v[3:4], null, v6, s7, v[1:2]
	;; [unrolled: 1-line block ×3, first 2 shown]
	v_mov_b32_e32 v43, v2
	s_delay_alu instid0(VALU_DEP_2)
	v_dual_mov_b32 v1, v3 :: v_dual_mov_b32 v0, v4
	s_branch .LBB49_42
.LBB49_41:
	s_mov_b32 s2, -1
                                        ; implicit-def: $vgpr43
                                        ; implicit-def: $vgpr1
                                        ; implicit-def: $vgpr0
.LBB49_42:
	s_delay_alu instid0(SALU_CYCLE_1)
	s_and_not1_b32 vcc_lo, exec_lo, s2
	s_cbranch_vccnz .LBB49_45
; %bb.43:
	v_mul_hi_u32 v0, s49, v47
	s_and_not1_b32 vcc_lo, exec_lo, s61
	s_delay_alu instid0(VALU_DEP_1) | instskip(NEXT) | instid1(VALU_DEP_1)
	v_add_nc_u32_e32 v0, v47, v0
	v_lshrrev_b32_e32 v2, s50, v0
	s_delay_alu instid0(VALU_DEP_1) | instskip(NEXT) | instid1(VALU_DEP_1)
	v_mul_lo_u32 v0, v2, s48
	v_sub_nc_u32_e32 v0, v47, v0
	s_delay_alu instid0(VALU_DEP_1)
	v_mul_lo_u32 v43, v0, s44
	v_mul_lo_u32 v1, v0, s45
	;; [unrolled: 1-line block ×3, first 2 shown]
	s_cbranch_vccnz .LBB49_45
; %bb.44:
	v_mul_hi_u32 v3, s54, v2
	s_delay_alu instid0(VALU_DEP_1) | instskip(NEXT) | instid1(VALU_DEP_1)
	v_add_nc_u32_e32 v3, v2, v3
	v_lshrrev_b32_e32 v3, s55, v3
	s_delay_alu instid0(VALU_DEP_1) | instskip(NEXT) | instid1(VALU_DEP_1)
	v_mul_lo_u32 v3, v3, s51
	v_sub_nc_u32_e32 v6, v2, v3
	s_delay_alu instid0(VALU_DEP_1) | instskip(NEXT) | instid1(VALU_DEP_1)
	v_mad_u64_u32 v[2:3], null, v6, s47, v[43:44]
	v_mad_u64_u32 v[3:4], null, v6, s52, v[1:2]
	;; [unrolled: 1-line block ×3, first 2 shown]
	v_mov_b32_e32 v43, v2
	s_delay_alu instid0(VALU_DEP_2)
	v_dual_mov_b32 v1, v3 :: v_dual_mov_b32 v0, v4
.LBB49_45:
	global_load_u16 v1, v1, s[42:43]
	global_load_b32 v40, v0, s[38:39]
	s_and_not1_b32 vcc_lo, exec_lo, s60
	s_waitcnt vmcnt(1)
	v_cvt_f32_f16_e32 v42, v1
	s_cbranch_vccnz .LBB49_47
; %bb.46:
	s_waitcnt vmcnt(0)
	s_delay_alu instid0(VALU_DEP_1) | instskip(SKIP_3) | instid1(SALU_CYCLE_1)
	v_dual_mov_b32 v0, v42 :: v_dual_mov_b32 v1, v40
	s_getpc_b64 s[0:1]
	s_add_u32 s0, s0, _ZN12_GLOBAL__N_111calc_igammaIfEET_S1_S1_@rel32@lo+4
	s_addc_u32 s1, s1, _ZN12_GLOBAL__N_111calc_igammaIfEET_S1_S1_@rel32@hi+12
	s_swappc_b64 s[30:31], s[0:1]
	s_cbranch_execz .LBB49_48
	s_branch .LBB49_49
.LBB49_47:
                                        ; implicit-def: $vgpr0
.LBB49_48:
	s_waitcnt vmcnt(0)
	s_delay_alu instid0(VALU_DEP_1) | instskip(SKIP_3) | instid1(SALU_CYCLE_1)
	v_dual_mov_b32 v0, v42 :: v_dual_mov_b32 v1, v40
	s_getpc_b64 s[0:1]
	s_add_u32 s0, s0, _ZN12_GLOBAL__N_112calc_igammacIfEET_S1_S1_@rel32@lo+4
	s_addc_u32 s1, s1, _ZN12_GLOBAL__N_112calc_igammacIfEET_S1_S1_@rel32@hi+12
	s_swappc_b64 s[30:31], s[0:1]
.LBB49_49:
	v_add_nc_u32_e32 v47, 0x80, v47
	global_store_b32 v43, v0, s[40:41]
	s_or_b32 exec_lo, exec_lo, s65
	v_cmp_gt_i32_e32 vcc_lo, s63, v47
	s_and_saveexec_b32 s63, vcc_lo
	s_cbranch_execz .LBB49_65
.LBB49_50:
	s_and_not1_b32 vcc_lo, exec_lo, s58
	s_cbranch_vccnz .LBB49_56
; %bb.51:
	v_dual_mov_b32 v43, 0 :: v_dual_mov_b32 v0, 0
	v_mov_b32_e32 v1, 0
	s_and_not1_b32 vcc_lo, exec_lo, s64
	s_mov_b32 s2, 0
	s_cbranch_vccnz .LBB49_57
; %bb.52:
	s_add_i32 s0, s62, 1
	v_dual_mov_b32 v0, 0 :: v_dual_mov_b32 v1, 0
	v_dual_mov_b32 v43, 0 :: v_dual_mov_b32 v2, v47
	s_and_b32 s3, s0, 30
	s_add_u32 s0, s36, 0xffffffec
	s_addc_u32 s1, s37, -1
	s_set_inst_prefetch_distance 0x1
	.p2align	6
.LBB49_53:                              ; =>This Inner Loop Header: Depth=1
	s_clause 0x2
	s_load_b128 s[4:7], s[0:1], 0x18
	s_load_b64 s[12:13], s[0:1], 0x28
	s_load_b128 s[8:11], s[0:1], 0xd8
	s_waitcnt lgkmcnt(0)
	v_mul_hi_u32 v3, s5, v2
	s_delay_alu instid0(VALU_DEP_1) | instskip(NEXT) | instid1(VALU_DEP_1)
	v_add_nc_u32_e32 v3, v2, v3
	v_lshrrev_b32_e32 v3, s6, v3
	s_delay_alu instid0(VALU_DEP_1)
	v_mul_hi_u32 v4, s12, v3
	v_mul_lo_u32 v5, v3, s4
	s_load_b64 s[4:5], s[0:1], 0xe8
	s_add_u32 s0, s0, 24
	s_addc_u32 s1, s1, 0
	s_add_i32 s3, s3, -2
	s_delay_alu instid0(SALU_CYCLE_1) | instskip(NEXT) | instid1(VALU_DEP_2)
	s_cmp_eq_u32 s3, 0
	v_add_nc_u32_e32 v4, v3, v4
	s_delay_alu instid0(VALU_DEP_2) | instskip(NEXT) | instid1(VALU_DEP_2)
	v_sub_nc_u32_e32 v5, v2, v5
	v_lshrrev_b32_e32 v2, s13, v4
	s_delay_alu instid0(VALU_DEP_2) | instskip(NEXT) | instid1(VALU_DEP_2)
	v_mul_lo_u32 v6, v5, s8
	v_mul_lo_u32 v4, v2, s7
	s_delay_alu instid0(VALU_DEP_1) | instskip(SKIP_2) | instid1(VALU_DEP_3)
	v_sub_nc_u32_e32 v3, v3, v4
	v_mul_lo_u32 v4, v5, s9
	v_mul_lo_u32 v5, v5, s10
	;; [unrolled: 1-line block ×3, first 2 shown]
	s_waitcnt lgkmcnt(0)
	v_mul_lo_u32 v8, v3, s4
	v_mul_lo_u32 v3, v3, s5
	s_delay_alu instid0(VALU_DEP_3) | instskip(NEXT) | instid1(VALU_DEP_3)
	v_add3_u32 v43, v6, v43, v7
	v_add3_u32 v1, v4, v1, v8
	s_delay_alu instid0(VALU_DEP_3)
	v_add3_u32 v0, v5, v0, v3
	s_cbranch_scc0 .LBB49_53
; %bb.54:
	s_set_inst_prefetch_distance 0x2
	s_bitcmp1_b32 s62, 0
	s_cselect_b32 s3, -1, 0
	s_delay_alu instid0(SALU_CYCLE_1)
	s_and_b32 vcc_lo, exec_lo, s3
	s_cbranch_vccnz .LBB49_57
; %bb.55:
	s_clause 0x3
	s_load_b64 s[4:5], s[0:1], 0x18
	s_load_b32 s3, s[0:1], 0x20
	s_load_b64 s[6:7], s[0:1], 0xd8
	s_load_b32 s0, s[0:1], 0xe0
	s_waitcnt lgkmcnt(0)
	v_mul_hi_u32 v3, s5, v2
	s_delay_alu instid0(VALU_DEP_1) | instskip(NEXT) | instid1(VALU_DEP_1)
	v_add_nc_u32_e32 v3, v2, v3
	v_lshrrev_b32_e32 v3, s3, v3
	s_delay_alu instid0(VALU_DEP_1) | instskip(NEXT) | instid1(VALU_DEP_1)
	v_mul_lo_u32 v3, v3, s4
	v_sub_nc_u32_e32 v6, v2, v3
	s_delay_alu instid0(VALU_DEP_1) | instskip(NEXT) | instid1(VALU_DEP_1)
	v_mad_u64_u32 v[2:3], null, v6, s6, v[43:44]
	v_mad_u64_u32 v[3:4], null, v6, s7, v[1:2]
	;; [unrolled: 1-line block ×3, first 2 shown]
	v_mov_b32_e32 v43, v2
	s_delay_alu instid0(VALU_DEP_2)
	v_dual_mov_b32 v1, v3 :: v_dual_mov_b32 v0, v4
	s_branch .LBB49_57
.LBB49_56:
	s_mov_b32 s2, -1
                                        ; implicit-def: $vgpr43
                                        ; implicit-def: $vgpr1
                                        ; implicit-def: $vgpr0
.LBB49_57:
	s_delay_alu instid0(SALU_CYCLE_1)
	s_and_not1_b32 vcc_lo, exec_lo, s2
	s_cbranch_vccnz .LBB49_60
; %bb.58:
	v_mul_hi_u32 v0, s49, v47
	s_and_not1_b32 vcc_lo, exec_lo, s61
	s_delay_alu instid0(VALU_DEP_1) | instskip(NEXT) | instid1(VALU_DEP_1)
	v_add_nc_u32_e32 v0, v47, v0
	v_lshrrev_b32_e32 v2, s50, v0
	s_delay_alu instid0(VALU_DEP_1) | instskip(NEXT) | instid1(VALU_DEP_1)
	v_mul_lo_u32 v0, v2, s48
	v_sub_nc_u32_e32 v0, v47, v0
	s_delay_alu instid0(VALU_DEP_1)
	v_mul_lo_u32 v43, v0, s44
	v_mul_lo_u32 v1, v0, s45
	;; [unrolled: 1-line block ×3, first 2 shown]
	s_cbranch_vccnz .LBB49_60
; %bb.59:
	v_mul_hi_u32 v3, s54, v2
	s_delay_alu instid0(VALU_DEP_1) | instskip(NEXT) | instid1(VALU_DEP_1)
	v_add_nc_u32_e32 v3, v2, v3
	v_lshrrev_b32_e32 v3, s55, v3
	s_delay_alu instid0(VALU_DEP_1) | instskip(NEXT) | instid1(VALU_DEP_1)
	v_mul_lo_u32 v3, v3, s51
	v_sub_nc_u32_e32 v6, v2, v3
	s_delay_alu instid0(VALU_DEP_1) | instskip(NEXT) | instid1(VALU_DEP_1)
	v_mad_u64_u32 v[2:3], null, v6, s47, v[43:44]
	v_mad_u64_u32 v[3:4], null, v6, s52, v[1:2]
	;; [unrolled: 1-line block ×3, first 2 shown]
	v_mov_b32_e32 v43, v2
	s_delay_alu instid0(VALU_DEP_2)
	v_dual_mov_b32 v1, v3 :: v_dual_mov_b32 v0, v4
.LBB49_60:
	global_load_u16 v1, v1, s[42:43]
	global_load_b32 v40, v0, s[38:39]
	s_and_not1_b32 vcc_lo, exec_lo, s60
	s_waitcnt vmcnt(1)
	v_cvt_f32_f16_e32 v42, v1
	s_cbranch_vccnz .LBB49_62
; %bb.61:
	s_waitcnt vmcnt(0)
	s_delay_alu instid0(VALU_DEP_1) | instskip(SKIP_3) | instid1(SALU_CYCLE_1)
	v_dual_mov_b32 v0, v42 :: v_dual_mov_b32 v1, v40
	s_getpc_b64 s[0:1]
	s_add_u32 s0, s0, _ZN12_GLOBAL__N_111calc_igammaIfEET_S1_S1_@rel32@lo+4
	s_addc_u32 s1, s1, _ZN12_GLOBAL__N_111calc_igammaIfEET_S1_S1_@rel32@hi+12
	s_swappc_b64 s[30:31], s[0:1]
	s_cbranch_execz .LBB49_63
	s_branch .LBB49_64
.LBB49_62:
                                        ; implicit-def: $vgpr0
.LBB49_63:
	s_waitcnt vmcnt(0)
	s_delay_alu instid0(VALU_DEP_1) | instskip(SKIP_3) | instid1(SALU_CYCLE_1)
	v_dual_mov_b32 v0, v42 :: v_dual_mov_b32 v1, v40
	s_getpc_b64 s[0:1]
	s_add_u32 s0, s0, _ZN12_GLOBAL__N_112calc_igammacIfEET_S1_S1_@rel32@lo+4
	s_addc_u32 s1, s1, _ZN12_GLOBAL__N_112calc_igammacIfEET_S1_S1_@rel32@hi+12
	s_swappc_b64 s[30:31], s[0:1]
.LBB49_64:
	global_store_b32 v43, v0, s[40:41]
.LBB49_65:
	s_or_b32 exec_lo, exec_lo, s63
                                        ; implicit-def: $vgpr2
                                        ; implicit-def: $vgpr47
.LBB49_66:
	s_and_not1_saveexec_b32 s0, s59
	s_cbranch_execz .LBB49_73
; %bb.67:
	v_cndmask_b32_e64 v3, 0, 1, s58
	s_and_not1_b32 vcc_lo, exec_lo, s58
	s_cbranch_vccnz .LBB49_74
; %bb.68:
	v_dual_mov_b32 v46, 0 :: v_dual_mov_b32 v1, 0
	v_mov_b32_e32 v0, 0
	s_cmp_lg_u32 s56, 0
	s_mov_b32 s2, 0
	s_cbranch_scc0 .LBB49_75
; %bb.69:
	s_min_u32 s3, s57, 15
	v_dual_mov_b32 v0, 0 :: v_dual_mov_b32 v1, 0
	s_add_i32 s0, s3, 1
	v_mov_b32_e32 v46, 0
	v_mov_b32_e32 v4, v47
	s_and_b32 s4, s0, 30
	s_add_u32 s0, s36, 0xffffffec
	s_addc_u32 s1, s37, -1
	s_set_inst_prefetch_distance 0x1
	.p2align	6
.LBB49_70:                              ; =>This Inner Loop Header: Depth=1
	s_clause 0x2
	s_load_b128 s[8:11], s[0:1], 0x18
	s_load_b64 s[6:7], s[0:1], 0x28
	s_load_b128 s[12:15], s[0:1], 0xd8
	s_waitcnt lgkmcnt(0)
	v_mul_hi_u32 v5, s9, v4
	s_delay_alu instid0(VALU_DEP_1) | instskip(NEXT) | instid1(VALU_DEP_1)
	v_add_nc_u32_e32 v5, v4, v5
	v_lshrrev_b32_e32 v5, s10, v5
	s_delay_alu instid0(VALU_DEP_1)
	v_mul_hi_u32 v6, s6, v5
	v_mul_lo_u32 v7, v5, s8
	s_load_b64 s[8:9], s[0:1], 0xe8
	s_add_u32 s0, s0, 24
	s_addc_u32 s1, s1, 0
	s_add_i32 s4, s4, -2
	s_delay_alu instid0(SALU_CYCLE_1) | instskip(NEXT) | instid1(VALU_DEP_2)
	s_cmp_lg_u32 s4, 0
	v_add_nc_u32_e32 v6, v5, v6
	s_delay_alu instid0(VALU_DEP_2) | instskip(NEXT) | instid1(VALU_DEP_2)
	v_sub_nc_u32_e32 v7, v4, v7
	v_lshrrev_b32_e32 v4, s7, v6
	s_delay_alu instid0(VALU_DEP_2) | instskip(NEXT) | instid1(VALU_DEP_2)
	v_mul_lo_u32 v8, v7, s12
	v_mul_lo_u32 v6, v4, s11
	s_delay_alu instid0(VALU_DEP_1) | instskip(SKIP_2) | instid1(VALU_DEP_3)
	v_sub_nc_u32_e32 v5, v5, v6
	v_mul_lo_u32 v6, v7, s13
	v_mul_lo_u32 v7, v7, s14
	;; [unrolled: 1-line block ×3, first 2 shown]
	s_waitcnt lgkmcnt(0)
	v_mul_lo_u32 v10, v5, s8
	v_mul_lo_u32 v5, v5, s9
	s_delay_alu instid0(VALU_DEP_3) | instskip(NEXT) | instid1(VALU_DEP_3)
	v_add3_u32 v46, v8, v46, v9
	v_add3_u32 v1, v6, v1, v10
	s_delay_alu instid0(VALU_DEP_3)
	v_add3_u32 v0, v7, v0, v5
	s_cbranch_scc1 .LBB49_70
; %bb.71:
	s_set_inst_prefetch_distance 0x2
	s_bitcmp1_b32 s3, 0
	s_cselect_b32 s3, -1, 0
	s_delay_alu instid0(SALU_CYCLE_1)
	s_and_b32 vcc_lo, exec_lo, s3
	s_cbranch_vccnz .LBB49_75
; %bb.72:
	s_clause 0x3
	s_load_b64 s[4:5], s[0:1], 0x18
	s_load_b32 s3, s[0:1], 0x20
	s_load_b64 s[6:7], s[0:1], 0xd8
	s_load_b32 s0, s[0:1], 0xe0
	s_waitcnt lgkmcnt(0)
	v_mul_hi_u32 v5, s5, v4
	s_delay_alu instid0(VALU_DEP_1) | instskip(NEXT) | instid1(VALU_DEP_1)
	v_add_nc_u32_e32 v5, v4, v5
	v_lshrrev_b32_e32 v5, s3, v5
	s_delay_alu instid0(VALU_DEP_1) | instskip(NEXT) | instid1(VALU_DEP_1)
	v_mul_lo_u32 v5, v5, s4
	v_sub_nc_u32_e32 v8, v4, v5
	s_delay_alu instid0(VALU_DEP_1) | instskip(SKIP_2) | instid1(VALU_DEP_2)
	v_mad_u64_u32 v[4:5], null, v8, s6, v[46:47]
	v_mad_u64_u32 v[5:6], null, v8, s7, v[1:2]
	;; [unrolled: 1-line block ×3, first 2 shown]
	v_dual_mov_b32 v46, v4 :: v_dual_mov_b32 v1, v5
	s_delay_alu instid0(VALU_DEP_2)
	v_mov_b32_e32 v0, v6
	s_branch .LBB49_75
.LBB49_73:
	s_endpgm
.LBB49_74:
	s_mov_b32 s2, -1
                                        ; implicit-def: $vgpr46
                                        ; implicit-def: $vgpr1
                                        ; implicit-def: $vgpr0
.LBB49_75:
	s_delay_alu instid0(SALU_CYCLE_1)
	s_and_not1_b32 vcc_lo, exec_lo, s2
	s_cbranch_vccnz .LBB49_78
; %bb.76:
	s_clause 0x1
	s_load_b128 s[0:3], s[36:37], 0x4
	s_load_b128 s[4:7], s[36:37], 0xc4
	s_cmp_lt_u32 s56, 2
	s_waitcnt lgkmcnt(0)
	v_mul_hi_u32 v0, s1, v47
	s_delay_alu instid0(VALU_DEP_1) | instskip(NEXT) | instid1(VALU_DEP_1)
	v_add_nc_u32_e32 v0, v47, v0
	v_lshrrev_b32_e32 v4, s2, v0
	s_delay_alu instid0(VALU_DEP_1) | instskip(NEXT) | instid1(VALU_DEP_1)
	v_mul_lo_u32 v0, v4, s0
	v_sub_nc_u32_e32 v0, v47, v0
	s_delay_alu instid0(VALU_DEP_1)
	v_mul_lo_u32 v46, v0, s4
	v_mul_lo_u32 v1, v0, s5
	v_mul_lo_u32 v0, v0, s6
	s_cbranch_scc1 .LBB49_78
; %bb.77:
	s_clause 0x1
	s_load_b128 s[0:3], s[36:37], 0x10
	s_load_b128 s[4:7], s[36:37], 0xd0
	s_waitcnt lgkmcnt(0)
	v_mul_hi_u32 v5, s1, v4
	s_delay_alu instid0(VALU_DEP_1) | instskip(NEXT) | instid1(VALU_DEP_1)
	v_add_nc_u32_e32 v5, v4, v5
	v_lshrrev_b32_e32 v5, s2, v5
	s_delay_alu instid0(VALU_DEP_1) | instskip(NEXT) | instid1(VALU_DEP_1)
	v_mul_lo_u32 v5, v5, s0
	v_sub_nc_u32_e32 v8, v4, v5
	s_delay_alu instid0(VALU_DEP_1) | instskip(SKIP_2) | instid1(VALU_DEP_2)
	v_mad_u64_u32 v[4:5], null, v8, s4, v[46:47]
	v_mad_u64_u32 v[5:6], null, v8, s5, v[1:2]
	;; [unrolled: 1-line block ×3, first 2 shown]
	v_dual_mov_b32 v46, v4 :: v_dual_mov_b32 v1, v5
	s_delay_alu instid0(VALU_DEP_2)
	v_mov_b32_e32 v0, v6
.LBB49_78:
	v_cmp_ne_u32_e32 vcc_lo, 1, v3
	v_add_nc_u32_e32 v4, 0x80, v47
	s_cbranch_vccnz .LBB49_84
; %bb.79:
	v_dual_mov_b32 v56, 0 :: v_dual_mov_b32 v45, 0
	v_mov_b32_e32 v44, 0
	s_cmp_lg_u32 s56, 0
	s_mov_b32 s2, 0
	s_cbranch_scc0 .LBB49_85
; %bb.80:
	s_min_u32 s3, s57, 15
	v_dual_mov_b32 v44, 0 :: v_dual_mov_b32 v45, 0
	s_add_i32 s0, s3, 1
	v_dual_mov_b32 v56, 0 :: v_dual_mov_b32 v5, v4
	s_and_b32 s4, s0, 30
	s_add_u32 s0, s36, 0xffffffec
	s_addc_u32 s1, s37, -1
	s_set_inst_prefetch_distance 0x1
	.p2align	6
.LBB49_81:                              ; =>This Inner Loop Header: Depth=1
	s_clause 0x2
	s_load_b128 s[8:11], s[0:1], 0x18
	s_load_b64 s[6:7], s[0:1], 0x28
	s_load_b128 s[12:15], s[0:1], 0xd8
	s_waitcnt lgkmcnt(0)
	v_mul_hi_u32 v6, s9, v5
	s_delay_alu instid0(VALU_DEP_1) | instskip(NEXT) | instid1(VALU_DEP_1)
	v_add_nc_u32_e32 v6, v5, v6
	v_lshrrev_b32_e32 v6, s10, v6
	s_delay_alu instid0(VALU_DEP_1)
	v_mul_hi_u32 v7, s6, v6
	v_mul_lo_u32 v8, v6, s8
	s_load_b64 s[8:9], s[0:1], 0xe8
	s_add_u32 s0, s0, 24
	s_addc_u32 s1, s1, 0
	s_add_i32 s4, s4, -2
	s_delay_alu instid0(SALU_CYCLE_1) | instskip(NEXT) | instid1(VALU_DEP_2)
	s_cmp_lg_u32 s4, 0
	v_add_nc_u32_e32 v7, v6, v7
	s_delay_alu instid0(VALU_DEP_2) | instskip(NEXT) | instid1(VALU_DEP_2)
	v_sub_nc_u32_e32 v8, v5, v8
	v_lshrrev_b32_e32 v5, s7, v7
	s_delay_alu instid0(VALU_DEP_2) | instskip(NEXT) | instid1(VALU_DEP_2)
	v_mul_lo_u32 v9, v8, s12
	v_mul_lo_u32 v7, v5, s11
	s_delay_alu instid0(VALU_DEP_1) | instskip(SKIP_2) | instid1(VALU_DEP_3)
	v_sub_nc_u32_e32 v6, v6, v7
	v_mul_lo_u32 v7, v8, s13
	v_mul_lo_u32 v8, v8, s14
	;; [unrolled: 1-line block ×3, first 2 shown]
	s_waitcnt lgkmcnt(0)
	v_mul_lo_u32 v11, v6, s8
	v_mul_lo_u32 v6, v6, s9
	s_delay_alu instid0(VALU_DEP_3) | instskip(NEXT) | instid1(VALU_DEP_3)
	v_add3_u32 v56, v9, v56, v10
	v_add3_u32 v45, v7, v45, v11
	s_delay_alu instid0(VALU_DEP_3)
	v_add3_u32 v44, v8, v44, v6
	s_cbranch_scc1 .LBB49_81
; %bb.82:
	s_set_inst_prefetch_distance 0x2
	s_bitcmp1_b32 s3, 0
	s_cselect_b32 s3, -1, 0
	s_delay_alu instid0(SALU_CYCLE_1)
	s_and_b32 vcc_lo, exec_lo, s3
	s_cbranch_vccnz .LBB49_85
; %bb.83:
	s_clause 0x3
	s_load_b64 s[4:5], s[0:1], 0x18
	s_load_b32 s3, s[0:1], 0x20
	s_load_b64 s[6:7], s[0:1], 0xd8
	s_load_b32 s0, s[0:1], 0xe0
	s_waitcnt lgkmcnt(0)
	v_mul_hi_u32 v6, s5, v5
	s_delay_alu instid0(VALU_DEP_1) | instskip(NEXT) | instid1(VALU_DEP_1)
	v_add_nc_u32_e32 v6, v5, v6
	v_lshrrev_b32_e32 v6, s3, v6
	s_delay_alu instid0(VALU_DEP_1) | instskip(NEXT) | instid1(VALU_DEP_1)
	v_mul_lo_u32 v6, v6, s4
	v_sub_nc_u32_e32 v9, v5, v6
	s_delay_alu instid0(VALU_DEP_1) | instskip(SKIP_2) | instid1(VALU_DEP_2)
	v_mad_u64_u32 v[5:6], null, v9, s6, v[56:57]
	v_mad_u64_u32 v[6:7], null, v9, s7, v[45:46]
	;; [unrolled: 1-line block ×3, first 2 shown]
	v_dual_mov_b32 v56, v5 :: v_dual_mov_b32 v45, v6
	s_delay_alu instid0(VALU_DEP_2)
	v_mov_b32_e32 v44, v7
	s_branch .LBB49_85
.LBB49_84:
	s_mov_b32 s2, -1
                                        ; implicit-def: $vgpr56
                                        ; implicit-def: $vgpr45
                                        ; implicit-def: $vgpr44
.LBB49_85:
	s_delay_alu instid0(SALU_CYCLE_1)
	s_and_not1_b32 vcc_lo, exec_lo, s2
	s_cbranch_vccnz .LBB49_88
; %bb.86:
	s_clause 0x1
	s_load_b128 s[0:3], s[36:37], 0x4
	s_load_b128 s[4:7], s[36:37], 0xc4
	s_cmp_lt_u32 s56, 2
	s_waitcnt lgkmcnt(0)
	v_mul_hi_u32 v5, s1, v4
	s_delay_alu instid0(VALU_DEP_1) | instskip(NEXT) | instid1(VALU_DEP_1)
	v_add_nc_u32_e32 v5, v4, v5
	v_lshrrev_b32_e32 v5, s2, v5
	s_delay_alu instid0(VALU_DEP_1) | instskip(NEXT) | instid1(VALU_DEP_1)
	v_mul_lo_u32 v6, v5, s0
	v_sub_nc_u32_e32 v4, v4, v6
	s_delay_alu instid0(VALU_DEP_1)
	v_mul_lo_u32 v56, v4, s4
	v_mul_lo_u32 v45, v4, s5
	;; [unrolled: 1-line block ×3, first 2 shown]
	s_cbranch_scc1 .LBB49_88
; %bb.87:
	s_clause 0x1
	s_load_b128 s[0:3], s[36:37], 0x10
	s_load_b128 s[4:7], s[36:37], 0xd0
	s_waitcnt lgkmcnt(0)
	v_mul_hi_u32 v4, s1, v5
	s_delay_alu instid0(VALU_DEP_1) | instskip(NEXT) | instid1(VALU_DEP_1)
	v_add_nc_u32_e32 v4, v5, v4
	v_lshrrev_b32_e32 v4, s2, v4
	s_delay_alu instid0(VALU_DEP_1) | instskip(NEXT) | instid1(VALU_DEP_1)
	v_mul_lo_u32 v4, v4, s0
	v_sub_nc_u32_e32 v8, v5, v4
	s_delay_alu instid0(VALU_DEP_1) | instskip(SKIP_2) | instid1(VALU_DEP_2)
	v_mad_u64_u32 v[4:5], null, v8, s4, v[56:57]
	v_mad_u64_u32 v[5:6], null, v8, s5, v[45:46]
	;; [unrolled: 1-line block ×3, first 2 shown]
	v_dual_mov_b32 v56, v4 :: v_dual_mov_b32 v45, v5
	s_delay_alu instid0(VALU_DEP_2)
	v_mov_b32_e32 v44, v6
.LBB49_88:
	v_cmp_ne_u32_e32 vcc_lo, 1, v3
	v_add_nc_u32_e32 v4, 0x100, v47
	s_cbranch_vccnz .LBB49_94
; %bb.89:
	v_dual_mov_b32 v57, 0 :: v_dual_mov_b32 v58, 0
	v_mov_b32_e32 v59, 0
	s_cmp_lg_u32 s56, 0
	s_mov_b32 s2, 0
	s_cbranch_scc0 .LBB49_95
; %bb.90:
	s_min_u32 s3, s57, 15
	v_dual_mov_b32 v58, 0 :: v_dual_mov_b32 v59, 0
	s_add_i32 s0, s3, 1
	v_mov_b32_e32 v57, 0
	v_mov_b32_e32 v5, v4
	s_and_b32 s4, s0, 30
	s_add_u32 s0, s36, 0xffffffec
	s_addc_u32 s1, s37, -1
	s_set_inst_prefetch_distance 0x1
	.p2align	6
.LBB49_91:                              ; =>This Inner Loop Header: Depth=1
	s_clause 0x2
	s_load_b128 s[8:11], s[0:1], 0x18
	s_load_b64 s[6:7], s[0:1], 0x28
	s_load_b128 s[12:15], s[0:1], 0xd8
	s_waitcnt lgkmcnt(0)
	v_mul_hi_u32 v6, s9, v5
	s_delay_alu instid0(VALU_DEP_1) | instskip(NEXT) | instid1(VALU_DEP_1)
	v_add_nc_u32_e32 v6, v5, v6
	v_lshrrev_b32_e32 v6, s10, v6
	s_delay_alu instid0(VALU_DEP_1)
	v_mul_hi_u32 v7, s6, v6
	v_mul_lo_u32 v8, v6, s8
	s_load_b64 s[8:9], s[0:1], 0xe8
	s_add_u32 s0, s0, 24
	s_addc_u32 s1, s1, 0
	s_add_i32 s4, s4, -2
	s_delay_alu instid0(SALU_CYCLE_1) | instskip(NEXT) | instid1(VALU_DEP_2)
	s_cmp_lg_u32 s4, 0
	v_add_nc_u32_e32 v7, v6, v7
	s_delay_alu instid0(VALU_DEP_2) | instskip(NEXT) | instid1(VALU_DEP_2)
	v_sub_nc_u32_e32 v8, v5, v8
	v_lshrrev_b32_e32 v5, s7, v7
	s_delay_alu instid0(VALU_DEP_2) | instskip(NEXT) | instid1(VALU_DEP_2)
	v_mul_lo_u32 v9, v8, s12
	v_mul_lo_u32 v7, v5, s11
	s_delay_alu instid0(VALU_DEP_1) | instskip(SKIP_2) | instid1(VALU_DEP_3)
	v_sub_nc_u32_e32 v6, v6, v7
	v_mul_lo_u32 v7, v8, s13
	v_mul_lo_u32 v8, v8, s14
	;; [unrolled: 1-line block ×3, first 2 shown]
	s_waitcnt lgkmcnt(0)
	v_mul_lo_u32 v11, v6, s8
	v_mul_lo_u32 v6, v6, s9
	s_delay_alu instid0(VALU_DEP_3) | instskip(NEXT) | instid1(VALU_DEP_3)
	v_add3_u32 v57, v9, v57, v10
	v_add3_u32 v59, v7, v59, v11
	s_delay_alu instid0(VALU_DEP_3)
	v_add3_u32 v58, v8, v58, v6
	s_cbranch_scc1 .LBB49_91
; %bb.92:
	s_set_inst_prefetch_distance 0x2
	s_bitcmp1_b32 s3, 0
	s_cselect_b32 s3, -1, 0
	s_delay_alu instid0(SALU_CYCLE_1)
	s_and_b32 vcc_lo, exec_lo, s3
	s_cbranch_vccnz .LBB49_95
; %bb.93:
	s_clause 0x3
	s_load_b64 s[4:5], s[0:1], 0x18
	s_load_b32 s3, s[0:1], 0x20
	s_load_b64 s[6:7], s[0:1], 0xd8
	s_load_b32 s0, s[0:1], 0xe0
	s_waitcnt lgkmcnt(0)
	v_mul_hi_u32 v6, s5, v5
	s_delay_alu instid0(VALU_DEP_1) | instskip(NEXT) | instid1(VALU_DEP_1)
	v_add_nc_u32_e32 v6, v5, v6
	v_lshrrev_b32_e32 v6, s3, v6
	s_delay_alu instid0(VALU_DEP_1) | instskip(NEXT) | instid1(VALU_DEP_1)
	v_mul_lo_u32 v6, v6, s4
	v_sub_nc_u32_e32 v9, v5, v6
	s_delay_alu instid0(VALU_DEP_1) | instskip(SKIP_2) | instid1(VALU_DEP_3)
	v_mad_u64_u32 v[5:6], null, v9, s6, v[57:58]
	v_mad_u64_u32 v[6:7], null, v9, s7, v[59:60]
	;; [unrolled: 1-line block ×3, first 2 shown]
	v_mov_b32_e32 v57, v5
	s_delay_alu instid0(VALU_DEP_2)
	v_dual_mov_b32 v59, v6 :: v_dual_mov_b32 v58, v7
	s_branch .LBB49_95
.LBB49_94:
	s_mov_b32 s2, -1
                                        ; implicit-def: $vgpr57
                                        ; implicit-def: $vgpr59
                                        ; implicit-def: $vgpr58
.LBB49_95:
	s_delay_alu instid0(SALU_CYCLE_1)
	s_and_not1_b32 vcc_lo, exec_lo, s2
	s_cbranch_vccnz .LBB49_98
; %bb.96:
	s_clause 0x1
	s_load_b128 s[0:3], s[36:37], 0x4
	s_load_b128 s[4:7], s[36:37], 0xc4
	s_cmp_lt_u32 s56, 2
	s_waitcnt lgkmcnt(0)
	v_mul_hi_u32 v5, s1, v4
	s_delay_alu instid0(VALU_DEP_1) | instskip(NEXT) | instid1(VALU_DEP_1)
	v_add_nc_u32_e32 v5, v4, v5
	v_lshrrev_b32_e32 v5, s2, v5
	s_delay_alu instid0(VALU_DEP_1) | instskip(NEXT) | instid1(VALU_DEP_1)
	v_mul_lo_u32 v6, v5, s0
	v_sub_nc_u32_e32 v4, v4, v6
	s_delay_alu instid0(VALU_DEP_1)
	v_mul_lo_u32 v57, v4, s4
	v_mul_lo_u32 v59, v4, s5
	;; [unrolled: 1-line block ×3, first 2 shown]
	s_cbranch_scc1 .LBB49_98
; %bb.97:
	s_clause 0x1
	s_load_b128 s[0:3], s[36:37], 0x10
	s_load_b128 s[4:7], s[36:37], 0xd0
	s_waitcnt lgkmcnt(0)
	v_mul_hi_u32 v4, s1, v5
	s_delay_alu instid0(VALU_DEP_1) | instskip(NEXT) | instid1(VALU_DEP_1)
	v_add_nc_u32_e32 v4, v5, v4
	v_lshrrev_b32_e32 v4, s2, v4
	s_delay_alu instid0(VALU_DEP_1) | instskip(NEXT) | instid1(VALU_DEP_1)
	v_mul_lo_u32 v4, v4, s0
	v_sub_nc_u32_e32 v8, v5, v4
	s_delay_alu instid0(VALU_DEP_1) | instskip(SKIP_2) | instid1(VALU_DEP_3)
	v_mad_u64_u32 v[4:5], null, v8, s4, v[57:58]
	v_mad_u64_u32 v[5:6], null, v8, s5, v[59:60]
	;; [unrolled: 1-line block ×3, first 2 shown]
	v_mov_b32_e32 v57, v4
	s_delay_alu instid0(VALU_DEP_2)
	v_dual_mov_b32 v59, v5 :: v_dual_mov_b32 v58, v6
.LBB49_98:
	v_cmp_ne_u32_e32 vcc_lo, 1, v3
	s_cbranch_vccnz .LBB49_104
; %bb.99:
	v_dual_mov_b32 v60, 0 :: v_dual_mov_b32 v61, 0
	v_mov_b32_e32 v62, 0
	s_cmp_lg_u32 s56, 0
	s_mov_b32 s2, 0
	s_cbranch_scc0 .LBB49_105
; %bb.100:
	s_min_u32 s3, s57, 15
	v_dual_mov_b32 v61, 0 :: v_dual_mov_b32 v62, 0
	s_add_i32 s0, s3, 1
	v_dual_mov_b32 v60, 0 :: v_dual_mov_b32 v3, v2
	s_and_b32 s4, s0, 30
	s_add_u32 s0, s36, 0xffffffec
	s_addc_u32 s1, s37, -1
	s_set_inst_prefetch_distance 0x1
	.p2align	6
.LBB49_101:                             ; =>This Inner Loop Header: Depth=1
	s_clause 0x2
	s_load_b128 s[8:11], s[0:1], 0x18
	s_load_b64 s[6:7], s[0:1], 0x28
	s_load_b128 s[12:15], s[0:1], 0xd8
	s_waitcnt lgkmcnt(0)
	v_mul_hi_u32 v4, s9, v3
	s_delay_alu instid0(VALU_DEP_1) | instskip(NEXT) | instid1(VALU_DEP_1)
	v_add_nc_u32_e32 v4, v3, v4
	v_lshrrev_b32_e32 v4, s10, v4
	s_delay_alu instid0(VALU_DEP_1)
	v_mul_hi_u32 v5, s6, v4
	v_mul_lo_u32 v6, v4, s8
	s_load_b64 s[8:9], s[0:1], 0xe8
	s_add_u32 s0, s0, 24
	s_addc_u32 s1, s1, 0
	s_add_i32 s4, s4, -2
	s_delay_alu instid0(SALU_CYCLE_1) | instskip(NEXT) | instid1(VALU_DEP_2)
	s_cmp_lg_u32 s4, 0
	v_add_nc_u32_e32 v5, v4, v5
	s_delay_alu instid0(VALU_DEP_2) | instskip(NEXT) | instid1(VALU_DEP_2)
	v_sub_nc_u32_e32 v6, v3, v6
	v_lshrrev_b32_e32 v3, s7, v5
	s_delay_alu instid0(VALU_DEP_2) | instskip(NEXT) | instid1(VALU_DEP_2)
	v_mul_lo_u32 v7, v6, s12
	v_mul_lo_u32 v5, v3, s11
	s_delay_alu instid0(VALU_DEP_1) | instskip(SKIP_2) | instid1(VALU_DEP_3)
	v_sub_nc_u32_e32 v4, v4, v5
	v_mul_lo_u32 v5, v6, s13
	v_mul_lo_u32 v6, v6, s14
	;; [unrolled: 1-line block ×3, first 2 shown]
	s_waitcnt lgkmcnt(0)
	v_mul_lo_u32 v9, v4, s8
	v_mul_lo_u32 v4, v4, s9
	s_delay_alu instid0(VALU_DEP_3) | instskip(NEXT) | instid1(VALU_DEP_3)
	v_add3_u32 v60, v7, v60, v8
	v_add3_u32 v62, v5, v62, v9
	s_delay_alu instid0(VALU_DEP_3)
	v_add3_u32 v61, v6, v61, v4
	s_cbranch_scc1 .LBB49_101
; %bb.102:
	s_set_inst_prefetch_distance 0x2
	s_bitcmp1_b32 s3, 0
	s_cselect_b32 s3, -1, 0
	s_delay_alu instid0(SALU_CYCLE_1)
	s_and_b32 vcc_lo, exec_lo, s3
	s_cbranch_vccnz .LBB49_105
; %bb.103:
	s_clause 0x3
	s_load_b64 s[4:5], s[0:1], 0x18
	s_load_b32 s3, s[0:1], 0x20
	s_load_b64 s[6:7], s[0:1], 0xd8
	s_load_b32 s0, s[0:1], 0xe0
	s_waitcnt lgkmcnt(0)
	v_mul_hi_u32 v4, s5, v3
	s_delay_alu instid0(VALU_DEP_1) | instskip(NEXT) | instid1(VALU_DEP_1)
	v_add_nc_u32_e32 v4, v3, v4
	v_lshrrev_b32_e32 v4, s3, v4
	s_delay_alu instid0(VALU_DEP_1) | instskip(NEXT) | instid1(VALU_DEP_1)
	v_mul_lo_u32 v4, v4, s4
	v_sub_nc_u32_e32 v7, v3, v4
	s_delay_alu instid0(VALU_DEP_1) | instskip(SKIP_2) | instid1(VALU_DEP_3)
	v_mad_u64_u32 v[3:4], null, v7, s6, v[60:61]
	v_mad_u64_u32 v[4:5], null, v7, s7, v[62:63]
	;; [unrolled: 1-line block ×3, first 2 shown]
	v_mov_b32_e32 v60, v3
	s_delay_alu instid0(VALU_DEP_2)
	v_dual_mov_b32 v62, v4 :: v_dual_mov_b32 v61, v5
	s_branch .LBB49_105
.LBB49_104:
	s_mov_b32 s2, -1
                                        ; implicit-def: $vgpr60
                                        ; implicit-def: $vgpr62
                                        ; implicit-def: $vgpr61
.LBB49_105:
	s_delay_alu instid0(SALU_CYCLE_1)
	s_and_not1_b32 vcc_lo, exec_lo, s2
	s_cbranch_vccnz .LBB49_108
; %bb.106:
	s_clause 0x1
	s_load_b128 s[0:3], s[36:37], 0x4
	s_load_b128 s[4:7], s[36:37], 0xc4
	s_cmp_lt_u32 s56, 2
	s_waitcnt lgkmcnt(0)
	v_mul_hi_u32 v3, s1, v2
	s_delay_alu instid0(VALU_DEP_1) | instskip(NEXT) | instid1(VALU_DEP_1)
	v_add_nc_u32_e32 v3, v2, v3
	v_lshrrev_b32_e32 v3, s2, v3
	s_delay_alu instid0(VALU_DEP_1) | instskip(NEXT) | instid1(VALU_DEP_1)
	v_mul_lo_u32 v4, v3, s0
	v_sub_nc_u32_e32 v2, v2, v4
	s_delay_alu instid0(VALU_DEP_1)
	v_mul_lo_u32 v60, v2, s4
	v_mul_lo_u32 v62, v2, s5
	;; [unrolled: 1-line block ×3, first 2 shown]
	s_cbranch_scc1 .LBB49_108
; %bb.107:
	s_clause 0x1
	s_load_b128 s[0:3], s[36:37], 0x10
	s_load_b128 s[4:7], s[36:37], 0xd0
	s_waitcnt lgkmcnt(0)
	v_mul_hi_u32 v2, s1, v3
	s_delay_alu instid0(VALU_DEP_1) | instskip(NEXT) | instid1(VALU_DEP_1)
	v_add_nc_u32_e32 v2, v3, v2
	v_lshrrev_b32_e32 v2, s2, v2
	s_delay_alu instid0(VALU_DEP_1) | instskip(NEXT) | instid1(VALU_DEP_1)
	v_mul_lo_u32 v2, v2, s0
	v_sub_nc_u32_e32 v6, v3, v2
	s_delay_alu instid0(VALU_DEP_1) | instskip(SKIP_2) | instid1(VALU_DEP_3)
	v_mad_u64_u32 v[2:3], null, v6, s4, v[60:61]
	v_mad_u64_u32 v[3:4], null, v6, s5, v[62:63]
	;; [unrolled: 1-line block ×3, first 2 shown]
	v_mov_b32_e32 v60, v2
	s_delay_alu instid0(VALU_DEP_2)
	v_dual_mov_b32 v62, v3 :: v_dual_mov_b32 v61, v4
.LBB49_108:
	s_clause 0x2
	s_load_b128 s[40:43], s[36:37], 0x188
	s_load_b64 s[38:39], s[36:37], 0x198
	s_load_b32 s0, s[36:37], 0x1a0
	s_waitcnt lgkmcnt(0)
	global_load_u16 v1, v1, s[42:43]
	global_load_b32 v40, v0, s[38:39]
	s_bitcmp1_b32 s0, 0
	s_cselect_b32 s0, -1, 0
	s_delay_alu instid0(SALU_CYCLE_1)
	s_xor_b32 s36, s0, -1
	s_mov_b32 s0, -1
	s_and_b32 vcc_lo, exec_lo, s36
	s_waitcnt vmcnt(1)
	v_cvt_f32_f16_e32 v43, v1
	s_cbranch_vccz .LBB49_110
; %bb.109:
	s_waitcnt vmcnt(0)
	s_delay_alu instid0(VALU_DEP_1) | instskip(SKIP_3) | instid1(SALU_CYCLE_1)
	v_dual_mov_b32 v0, v43 :: v_dual_mov_b32 v1, v40
	s_getpc_b64 s[0:1]
	s_add_u32 s0, s0, _ZN12_GLOBAL__N_111calc_igammaIfEET_S1_S1_@rel32@lo+4
	s_addc_u32 s1, s1, _ZN12_GLOBAL__N_111calc_igammaIfEET_S1_S1_@rel32@hi+12
	s_swappc_b64 s[30:31], s[0:1]
	v_mov_b32_e32 v42, v0
	s_cbranch_execz .LBB49_111
	s_branch .LBB49_112
.LBB49_110:
                                        ; implicit-def: $vgpr42
	s_and_not1_b32 vcc_lo, exec_lo, s0
	s_cbranch_vccnz .LBB49_112
.LBB49_111:
	s_waitcnt vmcnt(0)
	v_dual_mov_b32 v0, v43 :: v_dual_mov_b32 v1, v40
	s_getpc_b64 s[0:1]
	s_add_u32 s0, s0, _ZN12_GLOBAL__N_112calc_igammacIfEET_S1_S1_@rel32@lo+4
	s_addc_u32 s1, s1, _ZN12_GLOBAL__N_112calc_igammacIfEET_S1_S1_@rel32@hi+12
	s_delay_alu instid0(SALU_CYCLE_1)
	s_swappc_b64 s[30:31], s[0:1]
	v_mov_b32_e32 v42, v0
.LBB49_112:
	global_load_u16 v0, v45, s[42:43]
	global_load_b32 v40, v44, s[38:39]
	s_and_b32 vcc_lo, exec_lo, s36
	s_waitcnt vmcnt(1)
	v_cvt_f32_f16_e32 v44, v0
	s_cbranch_vccz .LBB49_114
; %bb.113:
	s_delay_alu instid0(VALU_DEP_1)
	v_mov_b32_e32 v0, v44
	s_waitcnt vmcnt(0)
	v_mov_b32_e32 v1, v40
	s_getpc_b64 s[0:1]
	s_add_u32 s0, s0, _ZN12_GLOBAL__N_111calc_igammaIfEET_S1_S1_@rel32@lo+4
	s_addc_u32 s1, s1, _ZN12_GLOBAL__N_111calc_igammaIfEET_S1_S1_@rel32@hi+12
	s_delay_alu instid0(SALU_CYCLE_1)
	s_swappc_b64 s[30:31], s[0:1]
	v_mov_b32_e32 v43, v0
	s_cbranch_execz .LBB49_115
	s_branch .LBB49_116
.LBB49_114:
                                        ; implicit-def: $vgpr43
.LBB49_115:
	s_delay_alu instid0(VALU_DEP_1)
	v_mov_b32_e32 v0, v44
	s_waitcnt vmcnt(0)
	v_mov_b32_e32 v1, v40
	s_getpc_b64 s[0:1]
	s_add_u32 s0, s0, _ZN12_GLOBAL__N_112calc_igammacIfEET_S1_S1_@rel32@lo+4
	s_addc_u32 s1, s1, _ZN12_GLOBAL__N_112calc_igammacIfEET_S1_S1_@rel32@hi+12
	s_delay_alu instid0(SALU_CYCLE_1)
	s_swappc_b64 s[30:31], s[0:1]
	v_mov_b32_e32 v43, v0
.LBB49_116:
	global_load_u16 v0, v59, s[42:43]
	global_load_b32 v40, v58, s[38:39]
	s_and_b32 vcc_lo, exec_lo, s36
	s_waitcnt vmcnt(1)
	v_cvt_f32_f16_e32 v45, v0
	s_cbranch_vccz .LBB49_118
; %bb.117:
	s_waitcnt vmcnt(0)
	s_delay_alu instid0(VALU_DEP_1) | instskip(SKIP_3) | instid1(SALU_CYCLE_1)
	v_dual_mov_b32 v0, v45 :: v_dual_mov_b32 v1, v40
	s_getpc_b64 s[0:1]
	s_add_u32 s0, s0, _ZN12_GLOBAL__N_111calc_igammaIfEET_S1_S1_@rel32@lo+4
	s_addc_u32 s1, s1, _ZN12_GLOBAL__N_111calc_igammaIfEET_S1_S1_@rel32@hi+12
	s_swappc_b64 s[30:31], s[0:1]
	v_mov_b32_e32 v44, v0
	s_cbranch_execz .LBB49_119
	s_branch .LBB49_120
.LBB49_118:
                                        ; implicit-def: $vgpr44
.LBB49_119:
	s_waitcnt vmcnt(0)
	s_delay_alu instid0(VALU_DEP_1) | instskip(SKIP_3) | instid1(SALU_CYCLE_1)
	v_dual_mov_b32 v0, v45 :: v_dual_mov_b32 v1, v40
	s_getpc_b64 s[0:1]
	s_add_u32 s0, s0, _ZN12_GLOBAL__N_112calc_igammacIfEET_S1_S1_@rel32@lo+4
	s_addc_u32 s1, s1, _ZN12_GLOBAL__N_112calc_igammacIfEET_S1_S1_@rel32@hi+12
	s_swappc_b64 s[30:31], s[0:1]
	v_mov_b32_e32 v44, v0
.LBB49_120:
	global_load_u16 v0, v62, s[42:43]
	global_load_b32 v40, v61, s[38:39]
	s_and_b32 vcc_lo, exec_lo, s36
	s_waitcnt vmcnt(1)
	v_cvt_f32_f16_e32 v45, v0
	s_cbranch_vccz .LBB49_122
; %bb.121:
	s_waitcnt vmcnt(0)
	s_delay_alu instid0(VALU_DEP_1) | instskip(SKIP_3) | instid1(SALU_CYCLE_1)
	v_dual_mov_b32 v0, v45 :: v_dual_mov_b32 v1, v40
	s_getpc_b64 s[0:1]
	s_add_u32 s0, s0, _ZN12_GLOBAL__N_111calc_igammaIfEET_S1_S1_@rel32@lo+4
	s_addc_u32 s1, s1, _ZN12_GLOBAL__N_111calc_igammaIfEET_S1_S1_@rel32@hi+12
	s_swappc_b64 s[30:31], s[0:1]
	s_cbranch_execz .LBB49_123
	s_branch .LBB49_124
.LBB49_122:
                                        ; implicit-def: $vgpr0
.LBB49_123:
	s_waitcnt vmcnt(0)
	s_delay_alu instid0(VALU_DEP_1) | instskip(SKIP_3) | instid1(SALU_CYCLE_1)
	v_dual_mov_b32 v0, v45 :: v_dual_mov_b32 v1, v40
	s_getpc_b64 s[0:1]
	s_add_u32 s0, s0, _ZN12_GLOBAL__N_112calc_igammacIfEET_S1_S1_@rel32@lo+4
	s_addc_u32 s1, s1, _ZN12_GLOBAL__N_112calc_igammacIfEET_S1_S1_@rel32@hi+12
	s_swappc_b64 s[30:31], s[0:1]
.LBB49_124:
	s_clause 0x3
	global_store_b32 v46, v42, s[40:41]
	global_store_b32 v56, v43, s[40:41]
	global_store_b32 v57, v44, s[40:41]
	global_store_b32 v60, v0, s[40:41]
	s_endpgm
	.section	.rodata,"a",@progbits
	.p2align	6, 0x0
	.amdhsa_kernel _ZN2at6native32elementwise_kernel_manual_unrollILi128ELi4EZNS0_12_GLOBAL__N_142type_specialized_broadcast_kernel_launcherILi4EE5applyIN12_GLOBAL__N_110CalcIgammaIfEESt5arrayIPcLm3EES9_IN3c1010ScalarTypeELm3EE16OffsetCalculatorILi3EjLb0EEEEvlT_T0_T1_T2_EUlibE_EEviSJ_
		.amdhsa_group_segment_fixed_size 0
		.amdhsa_private_segment_fixed_size 144
		.amdhsa_kernarg_size 432
		.amdhsa_user_sgpr_count 15
		.amdhsa_user_sgpr_dispatch_ptr 0
		.amdhsa_user_sgpr_queue_ptr 0
		.amdhsa_user_sgpr_kernarg_segment_ptr 1
		.amdhsa_user_sgpr_dispatch_id 0
		.amdhsa_user_sgpr_private_segment_size 0
		.amdhsa_wavefront_size32 1
		.amdhsa_uses_dynamic_stack 0
		.amdhsa_enable_private_segment 1
		.amdhsa_system_sgpr_workgroup_id_x 1
		.amdhsa_system_sgpr_workgroup_id_y 0
		.amdhsa_system_sgpr_workgroup_id_z 0
		.amdhsa_system_sgpr_workgroup_info 0
		.amdhsa_system_vgpr_workitem_id 0
		.amdhsa_next_free_vgpr 66
		.amdhsa_next_free_sgpr 66
		.amdhsa_reserve_vcc 1
		.amdhsa_float_round_mode_32 0
		.amdhsa_float_round_mode_16_64 0
		.amdhsa_float_denorm_mode_32 3
		.amdhsa_float_denorm_mode_16_64 3
		.amdhsa_dx10_clamp 1
		.amdhsa_ieee_mode 1
		.amdhsa_fp16_overflow 0
		.amdhsa_workgroup_processor_mode 1
		.amdhsa_memory_ordered 1
		.amdhsa_forward_progress 0
		.amdhsa_shared_vgpr_count 0
		.amdhsa_exception_fp_ieee_invalid_op 0
		.amdhsa_exception_fp_denorm_src 0
		.amdhsa_exception_fp_ieee_div_zero 0
		.amdhsa_exception_fp_ieee_overflow 0
		.amdhsa_exception_fp_ieee_underflow 0
		.amdhsa_exception_fp_ieee_inexact 0
		.amdhsa_exception_int_div_zero 0
	.end_amdhsa_kernel
	.section	.text._ZN2at6native32elementwise_kernel_manual_unrollILi128ELi4EZNS0_12_GLOBAL__N_142type_specialized_broadcast_kernel_launcherILi4EE5applyIN12_GLOBAL__N_110CalcIgammaIfEESt5arrayIPcLm3EES9_IN3c1010ScalarTypeELm3EE16OffsetCalculatorILi3EjLb0EEEEvlT_T0_T1_T2_EUlibE_EEviSJ_,"axG",@progbits,_ZN2at6native32elementwise_kernel_manual_unrollILi128ELi4EZNS0_12_GLOBAL__N_142type_specialized_broadcast_kernel_launcherILi4EE5applyIN12_GLOBAL__N_110CalcIgammaIfEESt5arrayIPcLm3EES9_IN3c1010ScalarTypeELm3EE16OffsetCalculatorILi3EjLb0EEEEvlT_T0_T1_T2_EUlibE_EEviSJ_,comdat
.Lfunc_end49:
	.size	_ZN2at6native32elementwise_kernel_manual_unrollILi128ELi4EZNS0_12_GLOBAL__N_142type_specialized_broadcast_kernel_launcherILi4EE5applyIN12_GLOBAL__N_110CalcIgammaIfEESt5arrayIPcLm3EES9_IN3c1010ScalarTypeELm3EE16OffsetCalculatorILi3EjLb0EEEEvlT_T0_T1_T2_EUlibE_EEviSJ_, .Lfunc_end49-_ZN2at6native32elementwise_kernel_manual_unrollILi128ELi4EZNS0_12_GLOBAL__N_142type_specialized_broadcast_kernel_launcherILi4EE5applyIN12_GLOBAL__N_110CalcIgammaIfEESt5arrayIPcLm3EES9_IN3c1010ScalarTypeELm3EE16OffsetCalculatorILi3EjLb0EEEEvlT_T0_T1_T2_EUlibE_EEviSJ_
                                        ; -- End function
	.section	.AMDGPU.csdata,"",@progbits
; Kernel info:
; codeLenInByte = 6628
; NumSgprs: 68
; NumVgprs: 66
; ScratchSize: 144
; MemoryBound: 0
; FloatMode: 240
; IeeeMode: 1
; LDSByteSize: 0 bytes/workgroup (compile time only)
; SGPRBlocks: 8
; VGPRBlocks: 8
; NumSGPRsForWavesPerEU: 68
; NumVGPRsForWavesPerEU: 66
; Occupancy: 16
; WaveLimiterHint : 1
; COMPUTE_PGM_RSRC2:SCRATCH_EN: 1
; COMPUTE_PGM_RSRC2:USER_SGPR: 15
; COMPUTE_PGM_RSRC2:TRAP_HANDLER: 0
; COMPUTE_PGM_RSRC2:TGID_X_EN: 1
; COMPUTE_PGM_RSRC2:TGID_Y_EN: 0
; COMPUTE_PGM_RSRC2:TGID_Z_EN: 0
; COMPUTE_PGM_RSRC2:TIDIG_COMP_CNT: 0
	.section	.text._ZN2at6native32elementwise_kernel_manual_unrollILi128ELi4EZNS0_12_GLOBAL__N_142type_specialized_broadcast_kernel_launcherILi5EE5applyIN12_GLOBAL__N_110CalcIgammaIfEESt5arrayIPcLm3EES9_IN3c1010ScalarTypeELm3EE16OffsetCalculatorILi3EjLb0EEEEvlT_T0_T1_T2_EUlibE_EEviSJ_,"axG",@progbits,_ZN2at6native32elementwise_kernel_manual_unrollILi128ELi4EZNS0_12_GLOBAL__N_142type_specialized_broadcast_kernel_launcherILi5EE5applyIN12_GLOBAL__N_110CalcIgammaIfEESt5arrayIPcLm3EES9_IN3c1010ScalarTypeELm3EE16OffsetCalculatorILi3EjLb0EEEEvlT_T0_T1_T2_EUlibE_EEviSJ_,comdat
	.globl	_ZN2at6native32elementwise_kernel_manual_unrollILi128ELi4EZNS0_12_GLOBAL__N_142type_specialized_broadcast_kernel_launcherILi5EE5applyIN12_GLOBAL__N_110CalcIgammaIfEESt5arrayIPcLm3EES9_IN3c1010ScalarTypeELm3EE16OffsetCalculatorILi3EjLb0EEEEvlT_T0_T1_T2_EUlibE_EEviSJ_ ; -- Begin function _ZN2at6native32elementwise_kernel_manual_unrollILi128ELi4EZNS0_12_GLOBAL__N_142type_specialized_broadcast_kernel_launcherILi5EE5applyIN12_GLOBAL__N_110CalcIgammaIfEESt5arrayIPcLm3EES9_IN3c1010ScalarTypeELm3EE16OffsetCalculatorILi3EjLb0EEEEvlT_T0_T1_T2_EUlibE_EEviSJ_
	.p2align	8
	.type	_ZN2at6native32elementwise_kernel_manual_unrollILi128ELi4EZNS0_12_GLOBAL__N_142type_specialized_broadcast_kernel_launcherILi5EE5applyIN12_GLOBAL__N_110CalcIgammaIfEESt5arrayIPcLm3EES9_IN3c1010ScalarTypeELm3EE16OffsetCalculatorILi3EjLb0EEEEvlT_T0_T1_T2_EUlibE_EEviSJ_,@function
_ZN2at6native32elementwise_kernel_manual_unrollILi128ELi4EZNS0_12_GLOBAL__N_142type_specialized_broadcast_kernel_launcherILi5EE5applyIN12_GLOBAL__N_110CalcIgammaIfEESt5arrayIPcLm3EES9_IN3c1010ScalarTypeELm3EE16OffsetCalculatorILi3EjLb0EEEEvlT_T0_T1_T2_EUlibE_EEviSJ_: ; @_ZN2at6native32elementwise_kernel_manual_unrollILi128ELi4EZNS0_12_GLOBAL__N_142type_specialized_broadcast_kernel_launcherILi5EE5applyIN12_GLOBAL__N_110CalcIgammaIfEESt5arrayIPcLm3EES9_IN3c1010ScalarTypeELm3EE16OffsetCalculatorILi3EjLb0EEEEvlT_T0_T1_T2_EUlibE_EEviSJ_
; %bb.0:
	s_clause 0x1
	s_load_b32 s56, s[0:1], 0x8
	s_load_b32 s63, s[0:1], 0x0
	v_lshl_or_b32 v47, s15, 9, v0
	s_mov_b64 s[36:37], s[0:1]
	s_mov_b32 s44, 0
	s_or_b32 s36, s36, 8
	s_mov_b32 s32, 0
	v_or_b32_e32 v2, 0x180, v47
                                        ; implicit-def: $vgpr43_vgpr44
                                        ; implicit-def: $vgpr0
	s_mov_b32 s0, exec_lo
	s_waitcnt lgkmcnt(0)
	s_add_i32 s57, s56, -1
	s_delay_alu instid0(SALU_CYCLE_1)
	s_cmp_gt_u32 s57, 1
	s_cselect_b32 s58, -1, 0
	v_cmpx_le_i32_e64 s63, v2
	s_xor_b32 s59, exec_lo, s0
	s_cbranch_execnz .LBB50_4
; %bb.1:
	s_and_not1_saveexec_b32 s45, s59
	s_cbranch_execnz .LBB50_69
.LBB50_2:
	s_or_b32 exec_lo, exec_lo, s45
	s_and_saveexec_b32 s0, s44
	s_cbranch_execnz .LBB50_126
.LBB50_3:
	s_endpgm
.LBB50_4:
	s_clause 0x6
	s_load_b32 s0, s[36:37], 0x1a0
	s_load_b128 s[48:51], s[36:37], 0x4
	s_load_b64 s[54:55], s[36:37], 0x14
	s_load_b128 s[44:47], s[36:37], 0xc4
	s_load_b64 s[52:53], s[36:37], 0xd4
	s_load_b64 s[38:39], s[36:37], 0x198
	s_load_b128 s[40:43], s[36:37], 0x188
	s_cmp_lg_u32 s56, 0
	s_mov_b32 s65, exec_lo
	s_cselect_b32 s64, -1, 0
	s_min_u32 s62, s57, 15
	s_cmp_gt_u32 s56, 1
	s_cselect_b32 s61, -1, 0
	s_waitcnt lgkmcnt(0)
	s_bitcmp1_b32 s0, 0
	s_cselect_b32 s0, -1, 0
	s_delay_alu instid0(SALU_CYCLE_1)
	s_xor_b32 s60, s0, -1
	v_cmpx_gt_i32_e64 s63, v47
	s_cbranch_execnz .LBB50_7
; %bb.5:
	s_or_b32 exec_lo, exec_lo, s65
	s_delay_alu instid0(SALU_CYCLE_1)
	s_mov_b32 s65, exec_lo
	v_cmpx_gt_i32_e64 s63, v47
	s_cbranch_execnz .LBB50_22
.LBB50_6:
	s_or_b32 exec_lo, exec_lo, s65
	s_delay_alu instid0(SALU_CYCLE_1)
	s_mov_b32 s65, exec_lo
	v_cmpx_gt_i32_e64 s63, v47
	s_cbranch_execnz .LBB50_37
	s_branch .LBB50_52
.LBB50_7:
	s_and_not1_b32 vcc_lo, exec_lo, s58
	s_cbranch_vccnz .LBB50_13
; %bb.8:
	v_dual_mov_b32 v43, 0 :: v_dual_mov_b32 v0, 0
	v_mov_b32_e32 v1, 0
	s_and_not1_b32 vcc_lo, exec_lo, s64
	s_mov_b32 s2, 0
	s_cbranch_vccnz .LBB50_14
; %bb.9:
	s_add_i32 s0, s62, 1
	v_dual_mov_b32 v0, 0 :: v_dual_mov_b32 v1, 0
	v_dual_mov_b32 v43, 0 :: v_dual_mov_b32 v2, v47
	s_and_b32 s3, s0, 30
	s_add_u32 s0, s36, 0xffffffec
	s_addc_u32 s1, s37, -1
	s_set_inst_prefetch_distance 0x1
	.p2align	6
.LBB50_10:                              ; =>This Inner Loop Header: Depth=1
	s_clause 0x2
	s_load_b128 s[4:7], s[0:1], 0x18
	s_load_b64 s[12:13], s[0:1], 0x28
	s_load_b128 s[8:11], s[0:1], 0xd8
	s_waitcnt lgkmcnt(0)
	v_mul_hi_u32 v3, s5, v2
	s_delay_alu instid0(VALU_DEP_1) | instskip(NEXT) | instid1(VALU_DEP_1)
	v_add_nc_u32_e32 v3, v2, v3
	v_lshrrev_b32_e32 v3, s6, v3
	s_delay_alu instid0(VALU_DEP_1)
	v_mul_hi_u32 v4, s12, v3
	v_mul_lo_u32 v5, v3, s4
	s_load_b64 s[4:5], s[0:1], 0xe8
	s_add_u32 s0, s0, 24
	s_addc_u32 s1, s1, 0
	s_add_i32 s3, s3, -2
	s_delay_alu instid0(SALU_CYCLE_1) | instskip(NEXT) | instid1(VALU_DEP_2)
	s_cmp_lg_u32 s3, 0
	v_add_nc_u32_e32 v4, v3, v4
	s_delay_alu instid0(VALU_DEP_2) | instskip(NEXT) | instid1(VALU_DEP_2)
	v_sub_nc_u32_e32 v5, v2, v5
	v_lshrrev_b32_e32 v2, s13, v4
	s_delay_alu instid0(VALU_DEP_2) | instskip(NEXT) | instid1(VALU_DEP_2)
	v_mul_lo_u32 v6, v5, s8
	v_mul_lo_u32 v4, v2, s7
	s_delay_alu instid0(VALU_DEP_1) | instskip(SKIP_2) | instid1(VALU_DEP_3)
	v_sub_nc_u32_e32 v3, v3, v4
	v_mul_lo_u32 v4, v5, s9
	v_mul_lo_u32 v5, v5, s10
	;; [unrolled: 1-line block ×3, first 2 shown]
	s_waitcnt lgkmcnt(0)
	v_mul_lo_u32 v8, v3, s4
	v_mul_lo_u32 v3, v3, s5
	s_delay_alu instid0(VALU_DEP_3) | instskip(NEXT) | instid1(VALU_DEP_3)
	v_add3_u32 v43, v6, v43, v7
	v_add3_u32 v1, v4, v1, v8
	s_delay_alu instid0(VALU_DEP_3)
	v_add3_u32 v0, v5, v0, v3
	s_cbranch_scc1 .LBB50_10
; %bb.11:
	s_set_inst_prefetch_distance 0x2
	s_bitcmp1_b32 s62, 0
	s_cselect_b32 s3, -1, 0
	s_delay_alu instid0(SALU_CYCLE_1)
	s_and_b32 vcc_lo, exec_lo, s3
	s_cbranch_vccnz .LBB50_14
; %bb.12:
	s_clause 0x3
	s_load_b64 s[4:5], s[0:1], 0x18
	s_load_b32 s3, s[0:1], 0x20
	s_load_b64 s[6:7], s[0:1], 0xd8
	s_load_b32 s0, s[0:1], 0xe0
	s_waitcnt lgkmcnt(0)
	v_mul_hi_u32 v3, s5, v2
	s_delay_alu instid0(VALU_DEP_1) | instskip(NEXT) | instid1(VALU_DEP_1)
	v_add_nc_u32_e32 v3, v2, v3
	v_lshrrev_b32_e32 v3, s3, v3
	s_delay_alu instid0(VALU_DEP_1) | instskip(NEXT) | instid1(VALU_DEP_1)
	v_mul_lo_u32 v3, v3, s4
	v_sub_nc_u32_e32 v6, v2, v3
	s_delay_alu instid0(VALU_DEP_1) | instskip(NEXT) | instid1(VALU_DEP_1)
	v_mad_u64_u32 v[2:3], null, v6, s6, v[43:44]
	v_mad_u64_u32 v[3:4], null, v6, s7, v[1:2]
	;; [unrolled: 1-line block ×3, first 2 shown]
	v_mov_b32_e32 v43, v2
	s_delay_alu instid0(VALU_DEP_2)
	v_dual_mov_b32 v1, v3 :: v_dual_mov_b32 v0, v4
	s_branch .LBB50_14
.LBB50_13:
	s_mov_b32 s2, -1
                                        ; implicit-def: $vgpr43
                                        ; implicit-def: $vgpr1
                                        ; implicit-def: $vgpr0
.LBB50_14:
	s_delay_alu instid0(SALU_CYCLE_1)
	s_and_not1_b32 vcc_lo, exec_lo, s2
	s_cbranch_vccnz .LBB50_17
; %bb.15:
	v_mul_hi_u32 v0, s49, v47
	s_and_not1_b32 vcc_lo, exec_lo, s61
	s_delay_alu instid0(VALU_DEP_1) | instskip(NEXT) | instid1(VALU_DEP_1)
	v_add_nc_u32_e32 v0, v47, v0
	v_lshrrev_b32_e32 v2, s50, v0
	s_delay_alu instid0(VALU_DEP_1) | instskip(NEXT) | instid1(VALU_DEP_1)
	v_mul_lo_u32 v0, v2, s48
	v_sub_nc_u32_e32 v0, v47, v0
	s_delay_alu instid0(VALU_DEP_1)
	v_mul_lo_u32 v43, v0, s44
	v_mul_lo_u32 v1, v0, s45
	;; [unrolled: 1-line block ×3, first 2 shown]
	s_cbranch_vccnz .LBB50_17
; %bb.16:
	v_mul_hi_u32 v3, s54, v2
	s_delay_alu instid0(VALU_DEP_1) | instskip(NEXT) | instid1(VALU_DEP_1)
	v_add_nc_u32_e32 v3, v2, v3
	v_lshrrev_b32_e32 v3, s55, v3
	s_delay_alu instid0(VALU_DEP_1) | instskip(NEXT) | instid1(VALU_DEP_1)
	v_mul_lo_u32 v3, v3, s51
	v_sub_nc_u32_e32 v6, v2, v3
	s_delay_alu instid0(VALU_DEP_1) | instskip(NEXT) | instid1(VALU_DEP_1)
	v_mad_u64_u32 v[2:3], null, v6, s47, v[43:44]
	v_mad_u64_u32 v[3:4], null, v6, s52, v[1:2]
	;; [unrolled: 1-line block ×3, first 2 shown]
	v_mov_b32_e32 v43, v2
	s_delay_alu instid0(VALU_DEP_2)
	v_dual_mov_b32 v1, v3 :: v_dual_mov_b32 v0, v4
.LBB50_17:
	global_load_u16 v1, v1, s[42:43]
	global_load_b32 v40, v0, s[38:39]
	s_and_b32 vcc_lo, exec_lo, s60
	s_waitcnt vmcnt(1)
	v_cvt_f32_f16_e32 v42, v1
	s_cbranch_vccz .LBB50_19
; %bb.18:
	s_waitcnt vmcnt(0)
	s_delay_alu instid0(VALU_DEP_1) | instskip(SKIP_3) | instid1(SALU_CYCLE_1)
	v_dual_mov_b32 v0, v42 :: v_dual_mov_b32 v1, v40
	s_getpc_b64 s[0:1]
	s_add_u32 s0, s0, _ZN12_GLOBAL__N_111calc_igammaIfEET_S1_S1_@rel32@lo+4
	s_addc_u32 s1, s1, _ZN12_GLOBAL__N_111calc_igammaIfEET_S1_S1_@rel32@hi+12
	s_swappc_b64 s[30:31], s[0:1]
	s_cbranch_execz .LBB50_20
	s_branch .LBB50_21
.LBB50_19:
                                        ; implicit-def: $vgpr0
.LBB50_20:
	s_waitcnt vmcnt(0)
	s_delay_alu instid0(VALU_DEP_1) | instskip(SKIP_3) | instid1(SALU_CYCLE_1)
	v_dual_mov_b32 v0, v42 :: v_dual_mov_b32 v1, v40
	s_getpc_b64 s[0:1]
	s_add_u32 s0, s0, _ZN12_GLOBAL__N_112calc_igammacIfEET_S1_S1_@rel32@lo+4
	s_addc_u32 s1, s1, _ZN12_GLOBAL__N_112calc_igammacIfEET_S1_S1_@rel32@hi+12
	s_swappc_b64 s[30:31], s[0:1]
.LBB50_21:
	v_cvt_f16_f32_e32 v0, v0
	v_add_nc_u32_e32 v47, 0x80, v47
	global_store_b16 v43, v0, s[40:41]
	s_or_b32 exec_lo, exec_lo, s65
	s_delay_alu instid0(SALU_CYCLE_1)
	s_mov_b32 s65, exec_lo
	v_cmpx_gt_i32_e64 s63, v47
	s_cbranch_execz .LBB50_6
.LBB50_22:
	s_and_not1_b32 vcc_lo, exec_lo, s58
	s_cbranch_vccnz .LBB50_28
; %bb.23:
	v_dual_mov_b32 v43, 0 :: v_dual_mov_b32 v0, 0
	v_mov_b32_e32 v1, 0
	s_and_not1_b32 vcc_lo, exec_lo, s64
	s_mov_b32 s2, 0
	s_cbranch_vccnz .LBB50_29
; %bb.24:
	s_add_i32 s0, s62, 1
	v_dual_mov_b32 v0, 0 :: v_dual_mov_b32 v1, 0
	v_dual_mov_b32 v43, 0 :: v_dual_mov_b32 v2, v47
	s_and_b32 s3, s0, 30
	s_add_u32 s0, s36, 0xffffffec
	s_addc_u32 s1, s37, -1
	s_set_inst_prefetch_distance 0x1
	.p2align	6
.LBB50_25:                              ; =>This Inner Loop Header: Depth=1
	s_clause 0x2
	s_load_b128 s[4:7], s[0:1], 0x18
	s_load_b64 s[12:13], s[0:1], 0x28
	s_load_b128 s[8:11], s[0:1], 0xd8
	s_waitcnt lgkmcnt(0)
	v_mul_hi_u32 v3, s5, v2
	s_delay_alu instid0(VALU_DEP_1) | instskip(NEXT) | instid1(VALU_DEP_1)
	v_add_nc_u32_e32 v3, v2, v3
	v_lshrrev_b32_e32 v3, s6, v3
	s_delay_alu instid0(VALU_DEP_1)
	v_mul_hi_u32 v4, s12, v3
	v_mul_lo_u32 v5, v3, s4
	s_load_b64 s[4:5], s[0:1], 0xe8
	s_add_u32 s0, s0, 24
	s_addc_u32 s1, s1, 0
	s_add_i32 s3, s3, -2
	s_delay_alu instid0(SALU_CYCLE_1) | instskip(NEXT) | instid1(VALU_DEP_2)
	s_cmp_eq_u32 s3, 0
	v_add_nc_u32_e32 v4, v3, v4
	s_delay_alu instid0(VALU_DEP_2) | instskip(NEXT) | instid1(VALU_DEP_2)
	v_sub_nc_u32_e32 v5, v2, v5
	v_lshrrev_b32_e32 v2, s13, v4
	s_delay_alu instid0(VALU_DEP_2) | instskip(NEXT) | instid1(VALU_DEP_2)
	v_mul_lo_u32 v6, v5, s8
	v_mul_lo_u32 v4, v2, s7
	s_delay_alu instid0(VALU_DEP_1) | instskip(SKIP_2) | instid1(VALU_DEP_3)
	v_sub_nc_u32_e32 v3, v3, v4
	v_mul_lo_u32 v4, v5, s9
	v_mul_lo_u32 v5, v5, s10
	;; [unrolled: 1-line block ×3, first 2 shown]
	s_waitcnt lgkmcnt(0)
	v_mul_lo_u32 v8, v3, s4
	v_mul_lo_u32 v3, v3, s5
	s_delay_alu instid0(VALU_DEP_3) | instskip(NEXT) | instid1(VALU_DEP_3)
	v_add3_u32 v43, v6, v43, v7
	v_add3_u32 v1, v4, v1, v8
	s_delay_alu instid0(VALU_DEP_3)
	v_add3_u32 v0, v5, v0, v3
	s_cbranch_scc0 .LBB50_25
; %bb.26:
	s_set_inst_prefetch_distance 0x2
	s_bitcmp1_b32 s62, 0
	s_cselect_b32 s3, -1, 0
	s_delay_alu instid0(SALU_CYCLE_1)
	s_and_b32 vcc_lo, exec_lo, s3
	s_cbranch_vccnz .LBB50_29
; %bb.27:
	s_clause 0x3
	s_load_b64 s[4:5], s[0:1], 0x18
	s_load_b32 s3, s[0:1], 0x20
	s_load_b64 s[6:7], s[0:1], 0xd8
	s_load_b32 s0, s[0:1], 0xe0
	s_waitcnt lgkmcnt(0)
	v_mul_hi_u32 v3, s5, v2
	s_delay_alu instid0(VALU_DEP_1) | instskip(NEXT) | instid1(VALU_DEP_1)
	v_add_nc_u32_e32 v3, v2, v3
	v_lshrrev_b32_e32 v3, s3, v3
	s_delay_alu instid0(VALU_DEP_1) | instskip(NEXT) | instid1(VALU_DEP_1)
	v_mul_lo_u32 v3, v3, s4
	v_sub_nc_u32_e32 v6, v2, v3
	s_delay_alu instid0(VALU_DEP_1) | instskip(NEXT) | instid1(VALU_DEP_1)
	v_mad_u64_u32 v[2:3], null, v6, s6, v[43:44]
	v_mad_u64_u32 v[3:4], null, v6, s7, v[1:2]
	;; [unrolled: 1-line block ×3, first 2 shown]
	v_mov_b32_e32 v43, v2
	s_delay_alu instid0(VALU_DEP_2)
	v_dual_mov_b32 v1, v3 :: v_dual_mov_b32 v0, v4
	s_branch .LBB50_29
.LBB50_28:
	s_mov_b32 s2, -1
                                        ; implicit-def: $vgpr43
                                        ; implicit-def: $vgpr1
                                        ; implicit-def: $vgpr0
.LBB50_29:
	s_delay_alu instid0(SALU_CYCLE_1)
	s_and_not1_b32 vcc_lo, exec_lo, s2
	s_cbranch_vccnz .LBB50_32
; %bb.30:
	v_mul_hi_u32 v0, s49, v47
	s_and_not1_b32 vcc_lo, exec_lo, s61
	s_delay_alu instid0(VALU_DEP_1) | instskip(NEXT) | instid1(VALU_DEP_1)
	v_add_nc_u32_e32 v0, v47, v0
	v_lshrrev_b32_e32 v2, s50, v0
	s_delay_alu instid0(VALU_DEP_1) | instskip(NEXT) | instid1(VALU_DEP_1)
	v_mul_lo_u32 v0, v2, s48
	v_sub_nc_u32_e32 v0, v47, v0
	s_delay_alu instid0(VALU_DEP_1)
	v_mul_lo_u32 v43, v0, s44
	v_mul_lo_u32 v1, v0, s45
	;; [unrolled: 1-line block ×3, first 2 shown]
	s_cbranch_vccnz .LBB50_32
; %bb.31:
	v_mul_hi_u32 v3, s54, v2
	s_delay_alu instid0(VALU_DEP_1) | instskip(NEXT) | instid1(VALU_DEP_1)
	v_add_nc_u32_e32 v3, v2, v3
	v_lshrrev_b32_e32 v3, s55, v3
	s_delay_alu instid0(VALU_DEP_1) | instskip(NEXT) | instid1(VALU_DEP_1)
	v_mul_lo_u32 v3, v3, s51
	v_sub_nc_u32_e32 v6, v2, v3
	s_delay_alu instid0(VALU_DEP_1) | instskip(NEXT) | instid1(VALU_DEP_1)
	v_mad_u64_u32 v[2:3], null, v6, s47, v[43:44]
	v_mad_u64_u32 v[3:4], null, v6, s52, v[1:2]
	;; [unrolled: 1-line block ×3, first 2 shown]
	v_mov_b32_e32 v43, v2
	s_delay_alu instid0(VALU_DEP_2)
	v_dual_mov_b32 v1, v3 :: v_dual_mov_b32 v0, v4
.LBB50_32:
	global_load_u16 v1, v1, s[42:43]
	global_load_b32 v40, v0, s[38:39]
	s_and_not1_b32 vcc_lo, exec_lo, s60
	s_waitcnt vmcnt(1)
	v_cvt_f32_f16_e32 v42, v1
	s_cbranch_vccnz .LBB50_34
; %bb.33:
	s_waitcnt vmcnt(0)
	s_delay_alu instid0(VALU_DEP_1) | instskip(SKIP_3) | instid1(SALU_CYCLE_1)
	v_dual_mov_b32 v0, v42 :: v_dual_mov_b32 v1, v40
	s_getpc_b64 s[0:1]
	s_add_u32 s0, s0, _ZN12_GLOBAL__N_111calc_igammaIfEET_S1_S1_@rel32@lo+4
	s_addc_u32 s1, s1, _ZN12_GLOBAL__N_111calc_igammaIfEET_S1_S1_@rel32@hi+12
	s_swappc_b64 s[30:31], s[0:1]
	s_cbranch_execz .LBB50_35
	s_branch .LBB50_36
.LBB50_34:
                                        ; implicit-def: $vgpr0
.LBB50_35:
	s_waitcnt vmcnt(0)
	s_delay_alu instid0(VALU_DEP_1) | instskip(SKIP_3) | instid1(SALU_CYCLE_1)
	v_dual_mov_b32 v0, v42 :: v_dual_mov_b32 v1, v40
	s_getpc_b64 s[0:1]
	s_add_u32 s0, s0, _ZN12_GLOBAL__N_112calc_igammacIfEET_S1_S1_@rel32@lo+4
	s_addc_u32 s1, s1, _ZN12_GLOBAL__N_112calc_igammacIfEET_S1_S1_@rel32@hi+12
	s_swappc_b64 s[30:31], s[0:1]
.LBB50_36:
	v_cvt_f16_f32_e32 v0, v0
	v_add_nc_u32_e32 v47, 0x80, v47
	global_store_b16 v43, v0, s[40:41]
	s_or_b32 exec_lo, exec_lo, s65
	s_delay_alu instid0(SALU_CYCLE_1)
	s_mov_b32 s65, exec_lo
	v_cmpx_gt_i32_e64 s63, v47
	s_cbranch_execz .LBB50_52
.LBB50_37:
	s_and_not1_b32 vcc_lo, exec_lo, s58
	s_cbranch_vccnz .LBB50_43
; %bb.38:
	v_dual_mov_b32 v43, 0 :: v_dual_mov_b32 v0, 0
	v_mov_b32_e32 v1, 0
	s_and_not1_b32 vcc_lo, exec_lo, s64
	s_mov_b32 s2, 0
	s_cbranch_vccnz .LBB50_44
; %bb.39:
	s_add_i32 s0, s62, 1
	v_dual_mov_b32 v0, 0 :: v_dual_mov_b32 v1, 0
	v_dual_mov_b32 v43, 0 :: v_dual_mov_b32 v2, v47
	s_and_b32 s3, s0, 30
	s_add_u32 s0, s36, 0xffffffec
	s_addc_u32 s1, s37, -1
	s_set_inst_prefetch_distance 0x1
	.p2align	6
.LBB50_40:                              ; =>This Inner Loop Header: Depth=1
	s_clause 0x2
	s_load_b128 s[4:7], s[0:1], 0x18
	s_load_b64 s[12:13], s[0:1], 0x28
	s_load_b128 s[8:11], s[0:1], 0xd8
	s_waitcnt lgkmcnt(0)
	v_mul_hi_u32 v3, s5, v2
	s_delay_alu instid0(VALU_DEP_1) | instskip(NEXT) | instid1(VALU_DEP_1)
	v_add_nc_u32_e32 v3, v2, v3
	v_lshrrev_b32_e32 v3, s6, v3
	s_delay_alu instid0(VALU_DEP_1)
	v_mul_hi_u32 v4, s12, v3
	v_mul_lo_u32 v5, v3, s4
	s_load_b64 s[4:5], s[0:1], 0xe8
	s_add_u32 s0, s0, 24
	s_addc_u32 s1, s1, 0
	s_add_i32 s3, s3, -2
	s_delay_alu instid0(SALU_CYCLE_1) | instskip(NEXT) | instid1(VALU_DEP_2)
	s_cmp_eq_u32 s3, 0
	v_add_nc_u32_e32 v4, v3, v4
	s_delay_alu instid0(VALU_DEP_2) | instskip(NEXT) | instid1(VALU_DEP_2)
	v_sub_nc_u32_e32 v5, v2, v5
	v_lshrrev_b32_e32 v2, s13, v4
	s_delay_alu instid0(VALU_DEP_2) | instskip(NEXT) | instid1(VALU_DEP_2)
	v_mul_lo_u32 v6, v5, s8
	v_mul_lo_u32 v4, v2, s7
	s_delay_alu instid0(VALU_DEP_1) | instskip(SKIP_2) | instid1(VALU_DEP_3)
	v_sub_nc_u32_e32 v3, v3, v4
	v_mul_lo_u32 v4, v5, s9
	v_mul_lo_u32 v5, v5, s10
	;; [unrolled: 1-line block ×3, first 2 shown]
	s_waitcnt lgkmcnt(0)
	v_mul_lo_u32 v8, v3, s4
	v_mul_lo_u32 v3, v3, s5
	s_delay_alu instid0(VALU_DEP_3) | instskip(NEXT) | instid1(VALU_DEP_3)
	v_add3_u32 v43, v6, v43, v7
	v_add3_u32 v1, v4, v1, v8
	s_delay_alu instid0(VALU_DEP_3)
	v_add3_u32 v0, v5, v0, v3
	s_cbranch_scc0 .LBB50_40
; %bb.41:
	s_set_inst_prefetch_distance 0x2
	s_bitcmp1_b32 s62, 0
	s_cselect_b32 s3, -1, 0
	s_delay_alu instid0(SALU_CYCLE_1)
	s_and_b32 vcc_lo, exec_lo, s3
	s_cbranch_vccnz .LBB50_44
; %bb.42:
	s_clause 0x3
	s_load_b64 s[4:5], s[0:1], 0x18
	s_load_b32 s3, s[0:1], 0x20
	s_load_b64 s[6:7], s[0:1], 0xd8
	s_load_b32 s0, s[0:1], 0xe0
	s_waitcnt lgkmcnt(0)
	v_mul_hi_u32 v3, s5, v2
	s_delay_alu instid0(VALU_DEP_1) | instskip(NEXT) | instid1(VALU_DEP_1)
	v_add_nc_u32_e32 v3, v2, v3
	v_lshrrev_b32_e32 v3, s3, v3
	s_delay_alu instid0(VALU_DEP_1) | instskip(NEXT) | instid1(VALU_DEP_1)
	v_mul_lo_u32 v3, v3, s4
	v_sub_nc_u32_e32 v6, v2, v3
	s_delay_alu instid0(VALU_DEP_1) | instskip(NEXT) | instid1(VALU_DEP_1)
	v_mad_u64_u32 v[2:3], null, v6, s6, v[43:44]
	v_mad_u64_u32 v[3:4], null, v6, s7, v[1:2]
	;; [unrolled: 1-line block ×3, first 2 shown]
	v_mov_b32_e32 v43, v2
	s_delay_alu instid0(VALU_DEP_2)
	v_dual_mov_b32 v1, v3 :: v_dual_mov_b32 v0, v4
	s_branch .LBB50_44
.LBB50_43:
	s_mov_b32 s2, -1
                                        ; implicit-def: $vgpr43
                                        ; implicit-def: $vgpr1
                                        ; implicit-def: $vgpr0
.LBB50_44:
	s_delay_alu instid0(SALU_CYCLE_1)
	s_and_not1_b32 vcc_lo, exec_lo, s2
	s_cbranch_vccnz .LBB50_47
; %bb.45:
	v_mul_hi_u32 v0, s49, v47
	s_and_not1_b32 vcc_lo, exec_lo, s61
	s_delay_alu instid0(VALU_DEP_1) | instskip(NEXT) | instid1(VALU_DEP_1)
	v_add_nc_u32_e32 v0, v47, v0
	v_lshrrev_b32_e32 v2, s50, v0
	s_delay_alu instid0(VALU_DEP_1) | instskip(NEXT) | instid1(VALU_DEP_1)
	v_mul_lo_u32 v0, v2, s48
	v_sub_nc_u32_e32 v0, v47, v0
	s_delay_alu instid0(VALU_DEP_1)
	v_mul_lo_u32 v43, v0, s44
	v_mul_lo_u32 v1, v0, s45
	;; [unrolled: 1-line block ×3, first 2 shown]
	s_cbranch_vccnz .LBB50_47
; %bb.46:
	v_mul_hi_u32 v3, s54, v2
	s_delay_alu instid0(VALU_DEP_1) | instskip(NEXT) | instid1(VALU_DEP_1)
	v_add_nc_u32_e32 v3, v2, v3
	v_lshrrev_b32_e32 v3, s55, v3
	s_delay_alu instid0(VALU_DEP_1) | instskip(NEXT) | instid1(VALU_DEP_1)
	v_mul_lo_u32 v3, v3, s51
	v_sub_nc_u32_e32 v6, v2, v3
	s_delay_alu instid0(VALU_DEP_1) | instskip(NEXT) | instid1(VALU_DEP_1)
	v_mad_u64_u32 v[2:3], null, v6, s47, v[43:44]
	v_mad_u64_u32 v[3:4], null, v6, s52, v[1:2]
	;; [unrolled: 1-line block ×3, first 2 shown]
	v_mov_b32_e32 v43, v2
	s_delay_alu instid0(VALU_DEP_2)
	v_dual_mov_b32 v1, v3 :: v_dual_mov_b32 v0, v4
.LBB50_47:
	global_load_u16 v1, v1, s[42:43]
	global_load_b32 v40, v0, s[38:39]
	s_and_not1_b32 vcc_lo, exec_lo, s60
	s_waitcnt vmcnt(1)
	v_cvt_f32_f16_e32 v42, v1
	s_cbranch_vccnz .LBB50_49
; %bb.48:
	s_waitcnt vmcnt(0)
	s_delay_alu instid0(VALU_DEP_1) | instskip(SKIP_3) | instid1(SALU_CYCLE_1)
	v_dual_mov_b32 v0, v42 :: v_dual_mov_b32 v1, v40
	s_getpc_b64 s[0:1]
	s_add_u32 s0, s0, _ZN12_GLOBAL__N_111calc_igammaIfEET_S1_S1_@rel32@lo+4
	s_addc_u32 s1, s1, _ZN12_GLOBAL__N_111calc_igammaIfEET_S1_S1_@rel32@hi+12
	s_swappc_b64 s[30:31], s[0:1]
	s_cbranch_execz .LBB50_50
	s_branch .LBB50_51
.LBB50_49:
                                        ; implicit-def: $vgpr0
.LBB50_50:
	s_waitcnt vmcnt(0)
	s_delay_alu instid0(VALU_DEP_1) | instskip(SKIP_3) | instid1(SALU_CYCLE_1)
	v_dual_mov_b32 v0, v42 :: v_dual_mov_b32 v1, v40
	s_getpc_b64 s[0:1]
	s_add_u32 s0, s0, _ZN12_GLOBAL__N_112calc_igammacIfEET_S1_S1_@rel32@lo+4
	s_addc_u32 s1, s1, _ZN12_GLOBAL__N_112calc_igammacIfEET_S1_S1_@rel32@hi+12
	s_swappc_b64 s[30:31], s[0:1]
.LBB50_51:
	v_cvt_f16_f32_e32 v0, v0
	v_add_nc_u32_e32 v47, 0x80, v47
	global_store_b16 v43, v0, s[40:41]
.LBB50_52:
	s_or_b32 exec_lo, exec_lo, s65
	v_cmp_gt_i32_e32 vcc_lo, s63, v47
	s_mov_b32 s0, 0
                                        ; implicit-def: $vgpr43_vgpr44
                                        ; implicit-def: $vgpr0
	s_and_saveexec_b32 s63, vcc_lo
	s_cbranch_execz .LBB50_68
; %bb.53:
	s_and_not1_b32 vcc_lo, exec_lo, s58
	s_cbranch_vccnz .LBB50_59
; %bb.54:
	v_dual_mov_b32 v1, 0 :: v_dual_mov_b32 v2, 0
	v_mov_b32_e32 v0, 0
	s_and_not1_b32 vcc_lo, exec_lo, s64
	s_mov_b32 s2, 0
	s_cbranch_vccnz .LBB50_60
; %bb.55:
	s_add_i32 s0, s62, 1
	v_dual_mov_b32 v0, 0 :: v_dual_mov_b32 v1, 0
	v_dual_mov_b32 v2, 0 :: v_dual_mov_b32 v3, v47
	s_and_b32 s3, s0, 30
	s_add_u32 s0, s36, 0xffffffec
	s_addc_u32 s1, s37, -1
	s_set_inst_prefetch_distance 0x1
	.p2align	6
.LBB50_56:                              ; =>This Inner Loop Header: Depth=1
	s_clause 0x2
	s_load_b128 s[4:7], s[0:1], 0x18
	s_load_b64 s[12:13], s[0:1], 0x28
	s_load_b128 s[8:11], s[0:1], 0xd8
	s_waitcnt lgkmcnt(0)
	v_mul_hi_u32 v4, s5, v3
	s_delay_alu instid0(VALU_DEP_1) | instskip(NEXT) | instid1(VALU_DEP_1)
	v_add_nc_u32_e32 v4, v3, v4
	v_lshrrev_b32_e32 v4, s6, v4
	s_delay_alu instid0(VALU_DEP_1)
	v_mul_hi_u32 v5, s12, v4
	v_mul_lo_u32 v6, v4, s4
	s_load_b64 s[4:5], s[0:1], 0xe8
	s_add_u32 s0, s0, 24
	s_addc_u32 s1, s1, 0
	s_add_i32 s3, s3, -2
	s_delay_alu instid0(SALU_CYCLE_1) | instskip(NEXT) | instid1(VALU_DEP_2)
	s_cmp_eq_u32 s3, 0
	v_add_nc_u32_e32 v5, v4, v5
	s_delay_alu instid0(VALU_DEP_2) | instskip(NEXT) | instid1(VALU_DEP_2)
	v_sub_nc_u32_e32 v6, v3, v6
	v_lshrrev_b32_e32 v3, s13, v5
	s_delay_alu instid0(VALU_DEP_2) | instskip(NEXT) | instid1(VALU_DEP_2)
	v_mul_lo_u32 v7, v6, s8
	v_mul_lo_u32 v5, v3, s7
	s_delay_alu instid0(VALU_DEP_1) | instskip(SKIP_2) | instid1(VALU_DEP_3)
	v_sub_nc_u32_e32 v4, v4, v5
	v_mul_lo_u32 v5, v6, s9
	v_mul_lo_u32 v6, v6, s10
	;; [unrolled: 1-line block ×3, first 2 shown]
	s_waitcnt lgkmcnt(0)
	v_mul_lo_u32 v9, v4, s4
	v_mul_lo_u32 v4, v4, s5
	s_delay_alu instid0(VALU_DEP_3) | instskip(NEXT) | instid1(VALU_DEP_3)
	v_add3_u32 v1, v7, v1, v8
	v_add3_u32 v2, v5, v2, v9
	s_delay_alu instid0(VALU_DEP_3)
	v_add3_u32 v0, v6, v0, v4
	s_cbranch_scc0 .LBB50_56
; %bb.57:
	s_set_inst_prefetch_distance 0x2
	s_bitcmp1_b32 s62, 0
	s_cselect_b32 s3, -1, 0
	s_delay_alu instid0(SALU_CYCLE_1)
	s_and_b32 vcc_lo, exec_lo, s3
	s_cbranch_vccnz .LBB50_60
; %bb.58:
	s_clause 0x3
	s_load_b64 s[4:5], s[0:1], 0x18
	s_load_b32 s3, s[0:1], 0x20
	s_load_b64 s[6:7], s[0:1], 0xd8
	s_load_b32 s0, s[0:1], 0xe0
	s_waitcnt lgkmcnt(0)
	v_mul_hi_u32 v4, s5, v3
	s_delay_alu instid0(VALU_DEP_1) | instskip(NEXT) | instid1(VALU_DEP_1)
	v_add_nc_u32_e32 v4, v3, v4
	v_lshrrev_b32_e32 v4, s3, v4
	s_delay_alu instid0(VALU_DEP_1) | instskip(NEXT) | instid1(VALU_DEP_1)
	v_mul_lo_u32 v4, v4, s4
	v_sub_nc_u32_e32 v7, v3, v4
	s_delay_alu instid0(VALU_DEP_1) | instskip(NEXT) | instid1(VALU_DEP_1)
	v_mad_u64_u32 v[3:4], null, v7, s6, v[1:2]
	v_mad_u64_u32 v[4:5], null, v7, s7, v[2:3]
	;; [unrolled: 1-line block ×3, first 2 shown]
	s_delay_alu instid0(VALU_DEP_2) | instskip(NEXT) | instid1(VALU_DEP_2)
	v_dual_mov_b32 v1, v3 :: v_dual_mov_b32 v2, v4
	v_mov_b32_e32 v0, v5
	s_branch .LBB50_60
.LBB50_59:
	s_mov_b32 s2, -1
                                        ; implicit-def: $vgpr1
                                        ; implicit-def: $vgpr2
                                        ; implicit-def: $vgpr0
.LBB50_60:
	s_delay_alu instid0(SALU_CYCLE_1)
	s_and_not1_b32 vcc_lo, exec_lo, s2
	s_cbranch_vccnz .LBB50_63
; %bb.61:
	v_mul_hi_u32 v0, s49, v47
	s_and_not1_b32 vcc_lo, exec_lo, s61
	s_delay_alu instid0(VALU_DEP_1) | instskip(NEXT) | instid1(VALU_DEP_1)
	v_add_nc_u32_e32 v0, v47, v0
	v_lshrrev_b32_e32 v3, s50, v0
	s_delay_alu instid0(VALU_DEP_1) | instskip(NEXT) | instid1(VALU_DEP_1)
	v_mul_lo_u32 v0, v3, s48
	v_sub_nc_u32_e32 v0, v47, v0
	s_delay_alu instid0(VALU_DEP_1)
	v_mul_lo_u32 v1, v0, s44
	v_mul_lo_u32 v2, v0, s45
	;; [unrolled: 1-line block ×3, first 2 shown]
	s_cbranch_vccnz .LBB50_63
; %bb.62:
	v_mul_hi_u32 v4, s54, v3
	s_delay_alu instid0(VALU_DEP_1) | instskip(NEXT) | instid1(VALU_DEP_1)
	v_add_nc_u32_e32 v4, v3, v4
	v_lshrrev_b32_e32 v4, s55, v4
	s_delay_alu instid0(VALU_DEP_1) | instskip(NEXT) | instid1(VALU_DEP_1)
	v_mul_lo_u32 v4, v4, s51
	v_sub_nc_u32_e32 v7, v3, v4
	s_delay_alu instid0(VALU_DEP_1) | instskip(NEXT) | instid1(VALU_DEP_1)
	v_mad_u64_u32 v[3:4], null, v7, s47, v[1:2]
	v_mad_u64_u32 v[4:5], null, v7, s52, v[2:3]
	;; [unrolled: 1-line block ×3, first 2 shown]
	s_delay_alu instid0(VALU_DEP_2) | instskip(NEXT) | instid1(VALU_DEP_2)
	v_dual_mov_b32 v1, v3 :: v_dual_mov_b32 v2, v4
	v_mov_b32_e32 v0, v5
.LBB50_63:
	global_load_u16 v2, v2, s[42:43]
	global_load_b32 v40, v0, s[38:39]
	v_add_co_u32 v43, s0, s40, v1
	s_delay_alu instid0(VALU_DEP_1)
	v_add_co_ci_u32_e64 v44, null, s41, 0, s0
	s_and_not1_b32 vcc_lo, exec_lo, s60
	s_waitcnt vmcnt(1)
	v_cvt_f32_f16_e32 v42, v2
	s_cbranch_vccnz .LBB50_65
; %bb.64:
	s_waitcnt vmcnt(0)
	s_delay_alu instid0(VALU_DEP_1) | instskip(SKIP_3) | instid1(SALU_CYCLE_1)
	v_dual_mov_b32 v0, v42 :: v_dual_mov_b32 v1, v40
	s_getpc_b64 s[0:1]
	s_add_u32 s0, s0, _ZN12_GLOBAL__N_111calc_igammaIfEET_S1_S1_@rel32@lo+4
	s_addc_u32 s1, s1, _ZN12_GLOBAL__N_111calc_igammaIfEET_S1_S1_@rel32@hi+12
	s_swappc_b64 s[30:31], s[0:1]
	s_cbranch_execz .LBB50_66
	s_branch .LBB50_67
.LBB50_65:
                                        ; implicit-def: $vgpr0
.LBB50_66:
	s_waitcnt vmcnt(0)
	s_delay_alu instid0(VALU_DEP_1) | instskip(SKIP_3) | instid1(SALU_CYCLE_1)
	v_dual_mov_b32 v0, v42 :: v_dual_mov_b32 v1, v40
	s_getpc_b64 s[0:1]
	s_add_u32 s0, s0, _ZN12_GLOBAL__N_112calc_igammacIfEET_S1_S1_@rel32@lo+4
	s_addc_u32 s1, s1, _ZN12_GLOBAL__N_112calc_igammacIfEET_S1_S1_@rel32@hi+12
	s_swappc_b64 s[30:31], s[0:1]
.LBB50_67:
	s_mov_b32 s0, exec_lo
.LBB50_68:
	s_or_b32 exec_lo, exec_lo, s63
	s_delay_alu instid0(SALU_CYCLE_1)
	s_and_b32 s44, s0, exec_lo
                                        ; implicit-def: $vgpr2
                                        ; implicit-def: $vgpr47
	s_and_not1_saveexec_b32 s45, s59
	s_cbranch_execz .LBB50_2
.LBB50_69:
	v_cndmask_b32_e64 v3, 0, 1, s58
	s_and_not1_b32 vcc_lo, exec_lo, s58
	s_cbranch_vccnz .LBB50_75
; %bb.70:
	v_dual_mov_b32 v46, 0 :: v_dual_mov_b32 v1, 0
	v_mov_b32_e32 v0, 0
	s_cmp_lg_u32 s56, 0
	s_mov_b32 s2, 0
	s_cbranch_scc0 .LBB50_76
; %bb.71:
	s_min_u32 s3, s57, 15
	v_dual_mov_b32 v0, 0 :: v_dual_mov_b32 v1, 0
	s_add_i32 s0, s3, 1
	v_mov_b32_e32 v46, 0
	v_mov_b32_e32 v4, v47
	s_and_b32 s4, s0, 30
	s_add_u32 s0, s36, 0xffffffec
	s_addc_u32 s1, s37, -1
	s_set_inst_prefetch_distance 0x1
	.p2align	6
.LBB50_72:                              ; =>This Inner Loop Header: Depth=1
	s_clause 0x2
	s_load_b128 s[8:11], s[0:1], 0x18
	s_load_b64 s[6:7], s[0:1], 0x28
	s_load_b128 s[12:15], s[0:1], 0xd8
	s_waitcnt lgkmcnt(0)
	v_mul_hi_u32 v5, s9, v4
	s_delay_alu instid0(VALU_DEP_1) | instskip(NEXT) | instid1(VALU_DEP_1)
	v_add_nc_u32_e32 v5, v4, v5
	v_lshrrev_b32_e32 v5, s10, v5
	s_delay_alu instid0(VALU_DEP_1)
	v_mul_hi_u32 v6, s6, v5
	v_mul_lo_u32 v7, v5, s8
	s_load_b64 s[8:9], s[0:1], 0xe8
	s_add_u32 s0, s0, 24
	s_addc_u32 s1, s1, 0
	s_add_i32 s4, s4, -2
	s_delay_alu instid0(SALU_CYCLE_1) | instskip(NEXT) | instid1(VALU_DEP_2)
	s_cmp_lg_u32 s4, 0
	v_add_nc_u32_e32 v6, v5, v6
	s_delay_alu instid0(VALU_DEP_2) | instskip(NEXT) | instid1(VALU_DEP_2)
	v_sub_nc_u32_e32 v7, v4, v7
	v_lshrrev_b32_e32 v4, s7, v6
	s_delay_alu instid0(VALU_DEP_2) | instskip(NEXT) | instid1(VALU_DEP_2)
	v_mul_lo_u32 v8, v7, s12
	v_mul_lo_u32 v6, v4, s11
	s_delay_alu instid0(VALU_DEP_1) | instskip(SKIP_2) | instid1(VALU_DEP_3)
	v_sub_nc_u32_e32 v5, v5, v6
	v_mul_lo_u32 v6, v7, s13
	v_mul_lo_u32 v7, v7, s14
	;; [unrolled: 1-line block ×3, first 2 shown]
	s_waitcnt lgkmcnt(0)
	v_mul_lo_u32 v10, v5, s8
	v_mul_lo_u32 v5, v5, s9
	s_delay_alu instid0(VALU_DEP_3) | instskip(NEXT) | instid1(VALU_DEP_3)
	v_add3_u32 v46, v8, v46, v9
	v_add3_u32 v1, v6, v1, v10
	s_delay_alu instid0(VALU_DEP_3)
	v_add3_u32 v0, v7, v0, v5
	s_cbranch_scc1 .LBB50_72
; %bb.73:
	s_set_inst_prefetch_distance 0x2
	s_bitcmp1_b32 s3, 0
	s_cselect_b32 s3, -1, 0
	s_delay_alu instid0(SALU_CYCLE_1)
	s_and_b32 vcc_lo, exec_lo, s3
	s_cbranch_vccnz .LBB50_76
; %bb.74:
	s_clause 0x3
	s_load_b64 s[4:5], s[0:1], 0x18
	s_load_b32 s3, s[0:1], 0x20
	s_load_b64 s[6:7], s[0:1], 0xd8
	s_load_b32 s0, s[0:1], 0xe0
	s_waitcnt lgkmcnt(0)
	v_mul_hi_u32 v5, s5, v4
	s_delay_alu instid0(VALU_DEP_1) | instskip(NEXT) | instid1(VALU_DEP_1)
	v_add_nc_u32_e32 v5, v4, v5
	v_lshrrev_b32_e32 v5, s3, v5
	s_delay_alu instid0(VALU_DEP_1) | instskip(NEXT) | instid1(VALU_DEP_1)
	v_mul_lo_u32 v5, v5, s4
	v_sub_nc_u32_e32 v8, v4, v5
	s_delay_alu instid0(VALU_DEP_1) | instskip(SKIP_2) | instid1(VALU_DEP_2)
	v_mad_u64_u32 v[4:5], null, v8, s6, v[46:47]
	v_mad_u64_u32 v[5:6], null, v8, s7, v[1:2]
	;; [unrolled: 1-line block ×3, first 2 shown]
	v_dual_mov_b32 v46, v4 :: v_dual_mov_b32 v1, v5
	s_delay_alu instid0(VALU_DEP_2)
	v_mov_b32_e32 v0, v6
	s_branch .LBB50_76
.LBB50_75:
	s_mov_b32 s2, -1
                                        ; implicit-def: $vgpr46
                                        ; implicit-def: $vgpr1
                                        ; implicit-def: $vgpr0
.LBB50_76:
	s_delay_alu instid0(SALU_CYCLE_1)
	s_and_not1_b32 vcc_lo, exec_lo, s2
	s_cbranch_vccnz .LBB50_79
; %bb.77:
	s_clause 0x1
	s_load_b128 s[0:3], s[36:37], 0x4
	s_load_b128 s[4:7], s[36:37], 0xc4
	s_cmp_lt_u32 s56, 2
	s_waitcnt lgkmcnt(0)
	v_mul_hi_u32 v0, s1, v47
	s_delay_alu instid0(VALU_DEP_1) | instskip(NEXT) | instid1(VALU_DEP_1)
	v_add_nc_u32_e32 v0, v47, v0
	v_lshrrev_b32_e32 v4, s2, v0
	s_delay_alu instid0(VALU_DEP_1) | instskip(NEXT) | instid1(VALU_DEP_1)
	v_mul_lo_u32 v0, v4, s0
	v_sub_nc_u32_e32 v0, v47, v0
	s_delay_alu instid0(VALU_DEP_1)
	v_mul_lo_u32 v46, v0, s4
	v_mul_lo_u32 v1, v0, s5
	;; [unrolled: 1-line block ×3, first 2 shown]
	s_cbranch_scc1 .LBB50_79
; %bb.78:
	s_clause 0x1
	s_load_b128 s[0:3], s[36:37], 0x10
	s_load_b128 s[4:7], s[36:37], 0xd0
	s_waitcnt lgkmcnt(0)
	v_mul_hi_u32 v5, s1, v4
	s_delay_alu instid0(VALU_DEP_1) | instskip(NEXT) | instid1(VALU_DEP_1)
	v_add_nc_u32_e32 v5, v4, v5
	v_lshrrev_b32_e32 v5, s2, v5
	s_delay_alu instid0(VALU_DEP_1) | instskip(NEXT) | instid1(VALU_DEP_1)
	v_mul_lo_u32 v5, v5, s0
	v_sub_nc_u32_e32 v8, v4, v5
	s_delay_alu instid0(VALU_DEP_1) | instskip(SKIP_2) | instid1(VALU_DEP_2)
	v_mad_u64_u32 v[4:5], null, v8, s4, v[46:47]
	v_mad_u64_u32 v[5:6], null, v8, s5, v[1:2]
	;; [unrolled: 1-line block ×3, first 2 shown]
	v_dual_mov_b32 v46, v4 :: v_dual_mov_b32 v1, v5
	s_delay_alu instid0(VALU_DEP_2)
	v_mov_b32_e32 v0, v6
.LBB50_79:
	v_cmp_ne_u32_e32 vcc_lo, 1, v3
	v_add_nc_u32_e32 v4, 0x80, v47
	s_cbranch_vccnz .LBB50_85
; %bb.80:
	v_dual_mov_b32 v56, 0 :: v_dual_mov_b32 v45, 0
	v_mov_b32_e32 v44, 0
	s_cmp_lg_u32 s56, 0
	s_mov_b32 s2, 0
	s_cbranch_scc0 .LBB50_86
; %bb.81:
	s_min_u32 s3, s57, 15
	v_dual_mov_b32 v44, 0 :: v_dual_mov_b32 v45, 0
	s_add_i32 s0, s3, 1
	v_dual_mov_b32 v56, 0 :: v_dual_mov_b32 v5, v4
	s_and_b32 s4, s0, 30
	s_add_u32 s0, s36, 0xffffffec
	s_addc_u32 s1, s37, -1
	s_set_inst_prefetch_distance 0x1
	.p2align	6
.LBB50_82:                              ; =>This Inner Loop Header: Depth=1
	s_clause 0x2
	s_load_b128 s[8:11], s[0:1], 0x18
	s_load_b64 s[6:7], s[0:1], 0x28
	s_load_b128 s[12:15], s[0:1], 0xd8
	s_waitcnt lgkmcnt(0)
	v_mul_hi_u32 v6, s9, v5
	s_delay_alu instid0(VALU_DEP_1) | instskip(NEXT) | instid1(VALU_DEP_1)
	v_add_nc_u32_e32 v6, v5, v6
	v_lshrrev_b32_e32 v6, s10, v6
	s_delay_alu instid0(VALU_DEP_1)
	v_mul_hi_u32 v7, s6, v6
	v_mul_lo_u32 v8, v6, s8
	s_load_b64 s[8:9], s[0:1], 0xe8
	s_add_u32 s0, s0, 24
	s_addc_u32 s1, s1, 0
	s_add_i32 s4, s4, -2
	s_delay_alu instid0(SALU_CYCLE_1) | instskip(NEXT) | instid1(VALU_DEP_2)
	s_cmp_lg_u32 s4, 0
	v_add_nc_u32_e32 v7, v6, v7
	s_delay_alu instid0(VALU_DEP_2) | instskip(NEXT) | instid1(VALU_DEP_2)
	v_sub_nc_u32_e32 v8, v5, v8
	v_lshrrev_b32_e32 v5, s7, v7
	s_delay_alu instid0(VALU_DEP_2) | instskip(NEXT) | instid1(VALU_DEP_2)
	v_mul_lo_u32 v9, v8, s12
	v_mul_lo_u32 v7, v5, s11
	s_delay_alu instid0(VALU_DEP_1) | instskip(SKIP_2) | instid1(VALU_DEP_3)
	v_sub_nc_u32_e32 v6, v6, v7
	v_mul_lo_u32 v7, v8, s13
	v_mul_lo_u32 v8, v8, s14
	;; [unrolled: 1-line block ×3, first 2 shown]
	s_waitcnt lgkmcnt(0)
	v_mul_lo_u32 v11, v6, s8
	v_mul_lo_u32 v6, v6, s9
	s_delay_alu instid0(VALU_DEP_3) | instskip(NEXT) | instid1(VALU_DEP_3)
	v_add3_u32 v56, v9, v56, v10
	v_add3_u32 v45, v7, v45, v11
	s_delay_alu instid0(VALU_DEP_3)
	v_add3_u32 v44, v8, v44, v6
	s_cbranch_scc1 .LBB50_82
; %bb.83:
	s_set_inst_prefetch_distance 0x2
	s_bitcmp1_b32 s3, 0
	s_cselect_b32 s3, -1, 0
	s_delay_alu instid0(SALU_CYCLE_1)
	s_and_b32 vcc_lo, exec_lo, s3
	s_cbranch_vccnz .LBB50_86
; %bb.84:
	s_clause 0x3
	s_load_b64 s[4:5], s[0:1], 0x18
	s_load_b32 s3, s[0:1], 0x20
	s_load_b64 s[6:7], s[0:1], 0xd8
	s_load_b32 s0, s[0:1], 0xe0
	s_waitcnt lgkmcnt(0)
	v_mul_hi_u32 v6, s5, v5
	s_delay_alu instid0(VALU_DEP_1) | instskip(NEXT) | instid1(VALU_DEP_1)
	v_add_nc_u32_e32 v6, v5, v6
	v_lshrrev_b32_e32 v6, s3, v6
	s_delay_alu instid0(VALU_DEP_1) | instskip(NEXT) | instid1(VALU_DEP_1)
	v_mul_lo_u32 v6, v6, s4
	v_sub_nc_u32_e32 v9, v5, v6
	s_delay_alu instid0(VALU_DEP_1) | instskip(SKIP_2) | instid1(VALU_DEP_2)
	v_mad_u64_u32 v[5:6], null, v9, s6, v[56:57]
	v_mad_u64_u32 v[6:7], null, v9, s7, v[45:46]
	;; [unrolled: 1-line block ×3, first 2 shown]
	v_dual_mov_b32 v56, v5 :: v_dual_mov_b32 v45, v6
	s_delay_alu instid0(VALU_DEP_2)
	v_mov_b32_e32 v44, v7
	s_branch .LBB50_86
.LBB50_85:
	s_mov_b32 s2, -1
                                        ; implicit-def: $vgpr56
                                        ; implicit-def: $vgpr45
                                        ; implicit-def: $vgpr44
.LBB50_86:
	s_delay_alu instid0(SALU_CYCLE_1)
	s_and_not1_b32 vcc_lo, exec_lo, s2
	s_cbranch_vccnz .LBB50_89
; %bb.87:
	s_clause 0x1
	s_load_b128 s[0:3], s[36:37], 0x4
	s_load_b128 s[4:7], s[36:37], 0xc4
	s_cmp_lt_u32 s56, 2
	s_waitcnt lgkmcnt(0)
	v_mul_hi_u32 v5, s1, v4
	s_delay_alu instid0(VALU_DEP_1) | instskip(NEXT) | instid1(VALU_DEP_1)
	v_add_nc_u32_e32 v5, v4, v5
	v_lshrrev_b32_e32 v5, s2, v5
	s_delay_alu instid0(VALU_DEP_1) | instskip(NEXT) | instid1(VALU_DEP_1)
	v_mul_lo_u32 v6, v5, s0
	v_sub_nc_u32_e32 v4, v4, v6
	s_delay_alu instid0(VALU_DEP_1)
	v_mul_lo_u32 v56, v4, s4
	v_mul_lo_u32 v45, v4, s5
	v_mul_lo_u32 v44, v4, s6
	s_cbranch_scc1 .LBB50_89
; %bb.88:
	s_clause 0x1
	s_load_b128 s[0:3], s[36:37], 0x10
	s_load_b128 s[4:7], s[36:37], 0xd0
	s_waitcnt lgkmcnt(0)
	v_mul_hi_u32 v4, s1, v5
	s_delay_alu instid0(VALU_DEP_1) | instskip(NEXT) | instid1(VALU_DEP_1)
	v_add_nc_u32_e32 v4, v5, v4
	v_lshrrev_b32_e32 v4, s2, v4
	s_delay_alu instid0(VALU_DEP_1) | instskip(NEXT) | instid1(VALU_DEP_1)
	v_mul_lo_u32 v4, v4, s0
	v_sub_nc_u32_e32 v8, v5, v4
	s_delay_alu instid0(VALU_DEP_1) | instskip(SKIP_2) | instid1(VALU_DEP_2)
	v_mad_u64_u32 v[4:5], null, v8, s4, v[56:57]
	v_mad_u64_u32 v[5:6], null, v8, s5, v[45:46]
	;; [unrolled: 1-line block ×3, first 2 shown]
	v_dual_mov_b32 v56, v4 :: v_dual_mov_b32 v45, v5
	s_delay_alu instid0(VALU_DEP_2)
	v_mov_b32_e32 v44, v6
.LBB50_89:
	v_cmp_ne_u32_e32 vcc_lo, 1, v3
	v_add_nc_u32_e32 v4, 0x100, v47
	s_cbranch_vccnz .LBB50_95
; %bb.90:
	v_dual_mov_b32 v57, 0 :: v_dual_mov_b32 v58, 0
	v_mov_b32_e32 v59, 0
	s_cmp_lg_u32 s56, 0
	s_mov_b32 s2, 0
	s_cbranch_scc0 .LBB50_96
; %bb.91:
	s_min_u32 s3, s57, 15
	v_dual_mov_b32 v58, 0 :: v_dual_mov_b32 v59, 0
	s_add_i32 s0, s3, 1
	v_mov_b32_e32 v57, 0
	v_mov_b32_e32 v5, v4
	s_and_b32 s4, s0, 30
	s_add_u32 s0, s36, 0xffffffec
	s_addc_u32 s1, s37, -1
	s_set_inst_prefetch_distance 0x1
	.p2align	6
.LBB50_92:                              ; =>This Inner Loop Header: Depth=1
	s_clause 0x2
	s_load_b128 s[8:11], s[0:1], 0x18
	s_load_b64 s[6:7], s[0:1], 0x28
	s_load_b128 s[12:15], s[0:1], 0xd8
	s_waitcnt lgkmcnt(0)
	v_mul_hi_u32 v6, s9, v5
	s_delay_alu instid0(VALU_DEP_1) | instskip(NEXT) | instid1(VALU_DEP_1)
	v_add_nc_u32_e32 v6, v5, v6
	v_lshrrev_b32_e32 v6, s10, v6
	s_delay_alu instid0(VALU_DEP_1)
	v_mul_hi_u32 v7, s6, v6
	v_mul_lo_u32 v8, v6, s8
	s_load_b64 s[8:9], s[0:1], 0xe8
	s_add_u32 s0, s0, 24
	s_addc_u32 s1, s1, 0
	s_add_i32 s4, s4, -2
	s_delay_alu instid0(SALU_CYCLE_1) | instskip(NEXT) | instid1(VALU_DEP_2)
	s_cmp_lg_u32 s4, 0
	v_add_nc_u32_e32 v7, v6, v7
	s_delay_alu instid0(VALU_DEP_2) | instskip(NEXT) | instid1(VALU_DEP_2)
	v_sub_nc_u32_e32 v8, v5, v8
	v_lshrrev_b32_e32 v5, s7, v7
	s_delay_alu instid0(VALU_DEP_2) | instskip(NEXT) | instid1(VALU_DEP_2)
	v_mul_lo_u32 v9, v8, s12
	v_mul_lo_u32 v7, v5, s11
	s_delay_alu instid0(VALU_DEP_1) | instskip(SKIP_2) | instid1(VALU_DEP_3)
	v_sub_nc_u32_e32 v6, v6, v7
	v_mul_lo_u32 v7, v8, s13
	v_mul_lo_u32 v8, v8, s14
	;; [unrolled: 1-line block ×3, first 2 shown]
	s_waitcnt lgkmcnt(0)
	v_mul_lo_u32 v11, v6, s8
	v_mul_lo_u32 v6, v6, s9
	s_delay_alu instid0(VALU_DEP_3) | instskip(NEXT) | instid1(VALU_DEP_3)
	v_add3_u32 v57, v9, v57, v10
	v_add3_u32 v59, v7, v59, v11
	s_delay_alu instid0(VALU_DEP_3)
	v_add3_u32 v58, v8, v58, v6
	s_cbranch_scc1 .LBB50_92
; %bb.93:
	s_set_inst_prefetch_distance 0x2
	s_bitcmp1_b32 s3, 0
	s_cselect_b32 s3, -1, 0
	s_delay_alu instid0(SALU_CYCLE_1)
	s_and_b32 vcc_lo, exec_lo, s3
	s_cbranch_vccnz .LBB50_96
; %bb.94:
	s_clause 0x3
	s_load_b64 s[4:5], s[0:1], 0x18
	s_load_b32 s3, s[0:1], 0x20
	s_load_b64 s[6:7], s[0:1], 0xd8
	s_load_b32 s0, s[0:1], 0xe0
	s_waitcnt lgkmcnt(0)
	v_mul_hi_u32 v6, s5, v5
	s_delay_alu instid0(VALU_DEP_1) | instskip(NEXT) | instid1(VALU_DEP_1)
	v_add_nc_u32_e32 v6, v5, v6
	v_lshrrev_b32_e32 v6, s3, v6
	s_delay_alu instid0(VALU_DEP_1) | instskip(NEXT) | instid1(VALU_DEP_1)
	v_mul_lo_u32 v6, v6, s4
	v_sub_nc_u32_e32 v9, v5, v6
	s_delay_alu instid0(VALU_DEP_1) | instskip(SKIP_2) | instid1(VALU_DEP_3)
	v_mad_u64_u32 v[5:6], null, v9, s6, v[57:58]
	v_mad_u64_u32 v[6:7], null, v9, s7, v[59:60]
	;; [unrolled: 1-line block ×3, first 2 shown]
	v_mov_b32_e32 v57, v5
	s_delay_alu instid0(VALU_DEP_2)
	v_dual_mov_b32 v59, v6 :: v_dual_mov_b32 v58, v7
	s_branch .LBB50_96
.LBB50_95:
	s_mov_b32 s2, -1
                                        ; implicit-def: $vgpr57
                                        ; implicit-def: $vgpr59
                                        ; implicit-def: $vgpr58
.LBB50_96:
	s_delay_alu instid0(SALU_CYCLE_1)
	s_and_not1_b32 vcc_lo, exec_lo, s2
	s_cbranch_vccnz .LBB50_99
; %bb.97:
	s_clause 0x1
	s_load_b128 s[0:3], s[36:37], 0x4
	s_load_b128 s[4:7], s[36:37], 0xc4
	s_cmp_lt_u32 s56, 2
	s_waitcnt lgkmcnt(0)
	v_mul_hi_u32 v5, s1, v4
	s_delay_alu instid0(VALU_DEP_1) | instskip(NEXT) | instid1(VALU_DEP_1)
	v_add_nc_u32_e32 v5, v4, v5
	v_lshrrev_b32_e32 v5, s2, v5
	s_delay_alu instid0(VALU_DEP_1) | instskip(NEXT) | instid1(VALU_DEP_1)
	v_mul_lo_u32 v6, v5, s0
	v_sub_nc_u32_e32 v4, v4, v6
	s_delay_alu instid0(VALU_DEP_1)
	v_mul_lo_u32 v57, v4, s4
	v_mul_lo_u32 v59, v4, s5
	v_mul_lo_u32 v58, v4, s6
	s_cbranch_scc1 .LBB50_99
; %bb.98:
	s_clause 0x1
	s_load_b128 s[0:3], s[36:37], 0x10
	s_load_b128 s[4:7], s[36:37], 0xd0
	s_waitcnt lgkmcnt(0)
	v_mul_hi_u32 v4, s1, v5
	s_delay_alu instid0(VALU_DEP_1) | instskip(NEXT) | instid1(VALU_DEP_1)
	v_add_nc_u32_e32 v4, v5, v4
	v_lshrrev_b32_e32 v4, s2, v4
	s_delay_alu instid0(VALU_DEP_1) | instskip(NEXT) | instid1(VALU_DEP_1)
	v_mul_lo_u32 v4, v4, s0
	v_sub_nc_u32_e32 v8, v5, v4
	s_delay_alu instid0(VALU_DEP_1) | instskip(SKIP_2) | instid1(VALU_DEP_3)
	v_mad_u64_u32 v[4:5], null, v8, s4, v[57:58]
	v_mad_u64_u32 v[5:6], null, v8, s5, v[59:60]
	;; [unrolled: 1-line block ×3, first 2 shown]
	v_mov_b32_e32 v57, v4
	s_delay_alu instid0(VALU_DEP_2)
	v_dual_mov_b32 v59, v5 :: v_dual_mov_b32 v58, v6
.LBB50_99:
	v_cmp_ne_u32_e32 vcc_lo, 1, v3
	s_cbranch_vccnz .LBB50_105
; %bb.100:
	v_dual_mov_b32 v60, 0 :: v_dual_mov_b32 v61, 0
	v_mov_b32_e32 v62, 0
	s_cmp_lg_u32 s56, 0
	s_mov_b32 s2, 0
	s_cbranch_scc0 .LBB50_106
; %bb.101:
	s_min_u32 s3, s57, 15
	v_dual_mov_b32 v61, 0 :: v_dual_mov_b32 v62, 0
	s_add_i32 s0, s3, 1
	v_dual_mov_b32 v60, 0 :: v_dual_mov_b32 v3, v2
	s_and_b32 s4, s0, 30
	s_add_u32 s0, s36, 0xffffffec
	s_addc_u32 s1, s37, -1
	s_set_inst_prefetch_distance 0x1
	.p2align	6
.LBB50_102:                             ; =>This Inner Loop Header: Depth=1
	s_clause 0x2
	s_load_b128 s[8:11], s[0:1], 0x18
	s_load_b64 s[6:7], s[0:1], 0x28
	s_load_b128 s[12:15], s[0:1], 0xd8
	s_waitcnt lgkmcnt(0)
	v_mul_hi_u32 v4, s9, v3
	s_delay_alu instid0(VALU_DEP_1) | instskip(NEXT) | instid1(VALU_DEP_1)
	v_add_nc_u32_e32 v4, v3, v4
	v_lshrrev_b32_e32 v4, s10, v4
	s_delay_alu instid0(VALU_DEP_1)
	v_mul_hi_u32 v5, s6, v4
	v_mul_lo_u32 v6, v4, s8
	s_load_b64 s[8:9], s[0:1], 0xe8
	s_add_u32 s0, s0, 24
	s_addc_u32 s1, s1, 0
	s_add_i32 s4, s4, -2
	s_delay_alu instid0(SALU_CYCLE_1) | instskip(NEXT) | instid1(VALU_DEP_2)
	s_cmp_lg_u32 s4, 0
	v_add_nc_u32_e32 v5, v4, v5
	s_delay_alu instid0(VALU_DEP_2) | instskip(NEXT) | instid1(VALU_DEP_2)
	v_sub_nc_u32_e32 v6, v3, v6
	v_lshrrev_b32_e32 v3, s7, v5
	s_delay_alu instid0(VALU_DEP_2) | instskip(NEXT) | instid1(VALU_DEP_2)
	v_mul_lo_u32 v7, v6, s12
	v_mul_lo_u32 v5, v3, s11
	s_delay_alu instid0(VALU_DEP_1) | instskip(SKIP_2) | instid1(VALU_DEP_3)
	v_sub_nc_u32_e32 v4, v4, v5
	v_mul_lo_u32 v5, v6, s13
	v_mul_lo_u32 v6, v6, s14
	;; [unrolled: 1-line block ×3, first 2 shown]
	s_waitcnt lgkmcnt(0)
	v_mul_lo_u32 v9, v4, s8
	v_mul_lo_u32 v4, v4, s9
	s_delay_alu instid0(VALU_DEP_3) | instskip(NEXT) | instid1(VALU_DEP_3)
	v_add3_u32 v60, v7, v60, v8
	v_add3_u32 v62, v5, v62, v9
	s_delay_alu instid0(VALU_DEP_3)
	v_add3_u32 v61, v6, v61, v4
	s_cbranch_scc1 .LBB50_102
; %bb.103:
	s_set_inst_prefetch_distance 0x2
	s_bitcmp1_b32 s3, 0
	s_cselect_b32 s3, -1, 0
	s_delay_alu instid0(SALU_CYCLE_1)
	s_and_b32 vcc_lo, exec_lo, s3
	s_cbranch_vccnz .LBB50_106
; %bb.104:
	s_clause 0x3
	s_load_b64 s[4:5], s[0:1], 0x18
	s_load_b32 s3, s[0:1], 0x20
	s_load_b64 s[6:7], s[0:1], 0xd8
	s_load_b32 s0, s[0:1], 0xe0
	s_waitcnt lgkmcnt(0)
	v_mul_hi_u32 v4, s5, v3
	s_delay_alu instid0(VALU_DEP_1) | instskip(NEXT) | instid1(VALU_DEP_1)
	v_add_nc_u32_e32 v4, v3, v4
	v_lshrrev_b32_e32 v4, s3, v4
	s_delay_alu instid0(VALU_DEP_1) | instskip(NEXT) | instid1(VALU_DEP_1)
	v_mul_lo_u32 v4, v4, s4
	v_sub_nc_u32_e32 v7, v3, v4
	s_delay_alu instid0(VALU_DEP_1) | instskip(SKIP_2) | instid1(VALU_DEP_3)
	v_mad_u64_u32 v[3:4], null, v7, s6, v[60:61]
	v_mad_u64_u32 v[4:5], null, v7, s7, v[62:63]
	;; [unrolled: 1-line block ×3, first 2 shown]
	v_mov_b32_e32 v60, v3
	s_delay_alu instid0(VALU_DEP_2)
	v_dual_mov_b32 v62, v4 :: v_dual_mov_b32 v61, v5
	s_branch .LBB50_106
.LBB50_105:
	s_mov_b32 s2, -1
                                        ; implicit-def: $vgpr60
                                        ; implicit-def: $vgpr62
                                        ; implicit-def: $vgpr61
.LBB50_106:
	s_delay_alu instid0(SALU_CYCLE_1)
	s_and_not1_b32 vcc_lo, exec_lo, s2
	s_cbranch_vccnz .LBB50_109
; %bb.107:
	s_clause 0x1
	s_load_b128 s[0:3], s[36:37], 0x4
	s_load_b128 s[4:7], s[36:37], 0xc4
	s_cmp_lt_u32 s56, 2
	s_waitcnt lgkmcnt(0)
	v_mul_hi_u32 v3, s1, v2
	s_delay_alu instid0(VALU_DEP_1) | instskip(NEXT) | instid1(VALU_DEP_1)
	v_add_nc_u32_e32 v3, v2, v3
	v_lshrrev_b32_e32 v3, s2, v3
	s_delay_alu instid0(VALU_DEP_1) | instskip(NEXT) | instid1(VALU_DEP_1)
	v_mul_lo_u32 v4, v3, s0
	v_sub_nc_u32_e32 v2, v2, v4
	s_delay_alu instid0(VALU_DEP_1)
	v_mul_lo_u32 v60, v2, s4
	v_mul_lo_u32 v62, v2, s5
	;; [unrolled: 1-line block ×3, first 2 shown]
	s_cbranch_scc1 .LBB50_109
; %bb.108:
	s_clause 0x1
	s_load_b128 s[0:3], s[36:37], 0x10
	s_load_b128 s[4:7], s[36:37], 0xd0
	s_waitcnt lgkmcnt(0)
	v_mul_hi_u32 v2, s1, v3
	s_delay_alu instid0(VALU_DEP_1) | instskip(NEXT) | instid1(VALU_DEP_1)
	v_add_nc_u32_e32 v2, v3, v2
	v_lshrrev_b32_e32 v2, s2, v2
	s_delay_alu instid0(VALU_DEP_1) | instskip(NEXT) | instid1(VALU_DEP_1)
	v_mul_lo_u32 v2, v2, s0
	v_sub_nc_u32_e32 v6, v3, v2
	s_delay_alu instid0(VALU_DEP_1) | instskip(SKIP_2) | instid1(VALU_DEP_3)
	v_mad_u64_u32 v[2:3], null, v6, s4, v[60:61]
	v_mad_u64_u32 v[3:4], null, v6, s5, v[62:63]
	;; [unrolled: 1-line block ×3, first 2 shown]
	v_mov_b32_e32 v60, v2
	s_delay_alu instid0(VALU_DEP_2)
	v_dual_mov_b32 v62, v3 :: v_dual_mov_b32 v61, v4
.LBB50_109:
	s_clause 0x2
	s_load_b128 s[40:43], s[36:37], 0x188
	s_load_b64 s[38:39], s[36:37], 0x198
	s_load_b32 s0, s[36:37], 0x1a0
	s_waitcnt lgkmcnt(0)
	global_load_u16 v1, v1, s[42:43]
	global_load_b32 v40, v0, s[38:39]
	s_bitcmp1_b32 s0, 0
	s_cselect_b32 s0, -1, 0
	s_delay_alu instid0(SALU_CYCLE_1)
	s_xor_b32 s36, s0, -1
	s_mov_b32 s0, -1
	s_and_b32 vcc_lo, exec_lo, s36
	s_waitcnt vmcnt(1)
	v_cvt_f32_f16_e32 v43, v1
	s_cbranch_vccz .LBB50_111
; %bb.110:
	s_waitcnt vmcnt(0)
	s_delay_alu instid0(VALU_DEP_1) | instskip(SKIP_3) | instid1(SALU_CYCLE_1)
	v_dual_mov_b32 v0, v43 :: v_dual_mov_b32 v1, v40
	s_getpc_b64 s[0:1]
	s_add_u32 s0, s0, _ZN12_GLOBAL__N_111calc_igammaIfEET_S1_S1_@rel32@lo+4
	s_addc_u32 s1, s1, _ZN12_GLOBAL__N_111calc_igammaIfEET_S1_S1_@rel32@hi+12
	s_swappc_b64 s[30:31], s[0:1]
	v_mov_b32_e32 v42, v0
	s_cbranch_execz .LBB50_112
	s_branch .LBB50_113
.LBB50_111:
                                        ; implicit-def: $vgpr42
	s_and_not1_b32 vcc_lo, exec_lo, s0
	s_cbranch_vccnz .LBB50_113
.LBB50_112:
	s_waitcnt vmcnt(0)
	v_dual_mov_b32 v0, v43 :: v_dual_mov_b32 v1, v40
	s_getpc_b64 s[0:1]
	s_add_u32 s0, s0, _ZN12_GLOBAL__N_112calc_igammacIfEET_S1_S1_@rel32@lo+4
	s_addc_u32 s1, s1, _ZN12_GLOBAL__N_112calc_igammacIfEET_S1_S1_@rel32@hi+12
	s_delay_alu instid0(SALU_CYCLE_1)
	s_swappc_b64 s[30:31], s[0:1]
	v_mov_b32_e32 v42, v0
.LBB50_113:
	global_load_u16 v0, v45, s[42:43]
	global_load_b32 v40, v44, s[38:39]
	s_and_b32 vcc_lo, exec_lo, s36
	s_waitcnt vmcnt(1)
	v_cvt_f32_f16_e32 v44, v0
	s_cbranch_vccz .LBB50_115
; %bb.114:
	s_delay_alu instid0(VALU_DEP_1)
	v_mov_b32_e32 v0, v44
	s_waitcnt vmcnt(0)
	v_mov_b32_e32 v1, v40
	s_getpc_b64 s[0:1]
	s_add_u32 s0, s0, _ZN12_GLOBAL__N_111calc_igammaIfEET_S1_S1_@rel32@lo+4
	s_addc_u32 s1, s1, _ZN12_GLOBAL__N_111calc_igammaIfEET_S1_S1_@rel32@hi+12
	s_delay_alu instid0(SALU_CYCLE_1)
	s_swappc_b64 s[30:31], s[0:1]
	v_mov_b32_e32 v43, v0
	s_cbranch_execz .LBB50_116
	s_branch .LBB50_117
.LBB50_115:
                                        ; implicit-def: $vgpr43
.LBB50_116:
	s_delay_alu instid0(VALU_DEP_1)
	v_mov_b32_e32 v0, v44
	s_waitcnt vmcnt(0)
	v_mov_b32_e32 v1, v40
	s_getpc_b64 s[0:1]
	s_add_u32 s0, s0, _ZN12_GLOBAL__N_112calc_igammacIfEET_S1_S1_@rel32@lo+4
	s_addc_u32 s1, s1, _ZN12_GLOBAL__N_112calc_igammacIfEET_S1_S1_@rel32@hi+12
	s_delay_alu instid0(SALU_CYCLE_1)
	s_swappc_b64 s[30:31], s[0:1]
	v_mov_b32_e32 v43, v0
.LBB50_117:
	global_load_u16 v0, v59, s[42:43]
	global_load_b32 v40, v58, s[38:39]
	s_and_b32 vcc_lo, exec_lo, s36
	s_waitcnt vmcnt(1)
	v_cvt_f32_f16_e32 v45, v0
	s_cbranch_vccz .LBB50_119
; %bb.118:
	s_waitcnt vmcnt(0)
	s_delay_alu instid0(VALU_DEP_1) | instskip(SKIP_3) | instid1(SALU_CYCLE_1)
	v_dual_mov_b32 v0, v45 :: v_dual_mov_b32 v1, v40
	s_getpc_b64 s[0:1]
	s_add_u32 s0, s0, _ZN12_GLOBAL__N_111calc_igammaIfEET_S1_S1_@rel32@lo+4
	s_addc_u32 s1, s1, _ZN12_GLOBAL__N_111calc_igammaIfEET_S1_S1_@rel32@hi+12
	s_swappc_b64 s[30:31], s[0:1]
	v_mov_b32_e32 v44, v0
	s_cbranch_execz .LBB50_120
	s_branch .LBB50_121
.LBB50_119:
                                        ; implicit-def: $vgpr44
.LBB50_120:
	s_waitcnt vmcnt(0)
	s_delay_alu instid0(VALU_DEP_1) | instskip(SKIP_3) | instid1(SALU_CYCLE_1)
	v_dual_mov_b32 v0, v45 :: v_dual_mov_b32 v1, v40
	s_getpc_b64 s[0:1]
	s_add_u32 s0, s0, _ZN12_GLOBAL__N_112calc_igammacIfEET_S1_S1_@rel32@lo+4
	s_addc_u32 s1, s1, _ZN12_GLOBAL__N_112calc_igammacIfEET_S1_S1_@rel32@hi+12
	s_swappc_b64 s[30:31], s[0:1]
	v_mov_b32_e32 v44, v0
.LBB50_121:
	global_load_u16 v0, v62, s[42:43]
	global_load_b32 v40, v61, s[38:39]
	s_and_b32 vcc_lo, exec_lo, s36
	s_waitcnt vmcnt(1)
	v_cvt_f32_f16_e32 v45, v0
	s_cbranch_vccz .LBB50_123
; %bb.122:
	s_waitcnt vmcnt(0)
	s_delay_alu instid0(VALU_DEP_1) | instskip(SKIP_3) | instid1(SALU_CYCLE_1)
	v_dual_mov_b32 v0, v45 :: v_dual_mov_b32 v1, v40
	s_getpc_b64 s[0:1]
	s_add_u32 s0, s0, _ZN12_GLOBAL__N_111calc_igammaIfEET_S1_S1_@rel32@lo+4
	s_addc_u32 s1, s1, _ZN12_GLOBAL__N_111calc_igammaIfEET_S1_S1_@rel32@hi+12
	s_swappc_b64 s[30:31], s[0:1]
	s_cbranch_execz .LBB50_124
	s_branch .LBB50_125
.LBB50_123:
                                        ; implicit-def: $vgpr0
.LBB50_124:
	s_waitcnt vmcnt(0)
	s_delay_alu instid0(VALU_DEP_1) | instskip(SKIP_3) | instid1(SALU_CYCLE_1)
	v_dual_mov_b32 v0, v45 :: v_dual_mov_b32 v1, v40
	s_getpc_b64 s[0:1]
	s_add_u32 s0, s0, _ZN12_GLOBAL__N_112calc_igammacIfEET_S1_S1_@rel32@lo+4
	s_addc_u32 s1, s1, _ZN12_GLOBAL__N_112calc_igammacIfEET_S1_S1_@rel32@hi+12
	s_swappc_b64 s[30:31], s[0:1]
.LBB50_125:
	v_cvt_f16_f32_e32 v1, v42
	v_cvt_f16_f32_e32 v3, v44
	;; [unrolled: 1-line block ×3, first 2 shown]
	v_add_co_u32 v43, s0, s40, v60
	s_delay_alu instid0(VALU_DEP_1)
	v_add_co_ci_u32_e64 v44, null, s41, 0, s0
	s_clause 0x1
	global_store_b16 v46, v1, s[40:41]
	global_store_b16 v56, v2, s[40:41]
	s_or_b32 s44, s44, exec_lo
	global_store_b16 v57, v3, s[40:41]
	s_or_b32 exec_lo, exec_lo, s45
	s_and_saveexec_b32 s0, s44
	s_cbranch_execz .LBB50_3
.LBB50_126:
	v_cvt_f16_f32_e32 v0, v0
	global_store_b16 v[43:44], v0, off
	s_endpgm
	.section	.rodata,"a",@progbits
	.p2align	6, 0x0
	.amdhsa_kernel _ZN2at6native32elementwise_kernel_manual_unrollILi128ELi4EZNS0_12_GLOBAL__N_142type_specialized_broadcast_kernel_launcherILi5EE5applyIN12_GLOBAL__N_110CalcIgammaIfEESt5arrayIPcLm3EES9_IN3c1010ScalarTypeELm3EE16OffsetCalculatorILi3EjLb0EEEEvlT_T0_T1_T2_EUlibE_EEviSJ_
		.amdhsa_group_segment_fixed_size 0
		.amdhsa_private_segment_fixed_size 144
		.amdhsa_kernarg_size 432
		.amdhsa_user_sgpr_count 15
		.amdhsa_user_sgpr_dispatch_ptr 0
		.amdhsa_user_sgpr_queue_ptr 0
		.amdhsa_user_sgpr_kernarg_segment_ptr 1
		.amdhsa_user_sgpr_dispatch_id 0
		.amdhsa_user_sgpr_private_segment_size 0
		.amdhsa_wavefront_size32 1
		.amdhsa_uses_dynamic_stack 0
		.amdhsa_enable_private_segment 1
		.amdhsa_system_sgpr_workgroup_id_x 1
		.amdhsa_system_sgpr_workgroup_id_y 0
		.amdhsa_system_sgpr_workgroup_id_z 0
		.amdhsa_system_sgpr_workgroup_info 0
		.amdhsa_system_vgpr_workitem_id 0
		.amdhsa_next_free_vgpr 66
		.amdhsa_next_free_sgpr 66
		.amdhsa_reserve_vcc 1
		.amdhsa_float_round_mode_32 0
		.amdhsa_float_round_mode_16_64 0
		.amdhsa_float_denorm_mode_32 3
		.amdhsa_float_denorm_mode_16_64 3
		.amdhsa_dx10_clamp 1
		.amdhsa_ieee_mode 1
		.amdhsa_fp16_overflow 0
		.amdhsa_workgroup_processor_mode 1
		.amdhsa_memory_ordered 1
		.amdhsa_forward_progress 0
		.amdhsa_shared_vgpr_count 0
		.amdhsa_exception_fp_ieee_invalid_op 0
		.amdhsa_exception_fp_denorm_src 0
		.amdhsa_exception_fp_ieee_div_zero 0
		.amdhsa_exception_fp_ieee_overflow 0
		.amdhsa_exception_fp_ieee_underflow 0
		.amdhsa_exception_fp_ieee_inexact 0
		.amdhsa_exception_int_div_zero 0
	.end_amdhsa_kernel
	.section	.text._ZN2at6native32elementwise_kernel_manual_unrollILi128ELi4EZNS0_12_GLOBAL__N_142type_specialized_broadcast_kernel_launcherILi5EE5applyIN12_GLOBAL__N_110CalcIgammaIfEESt5arrayIPcLm3EES9_IN3c1010ScalarTypeELm3EE16OffsetCalculatorILi3EjLb0EEEEvlT_T0_T1_T2_EUlibE_EEviSJ_,"axG",@progbits,_ZN2at6native32elementwise_kernel_manual_unrollILi128ELi4EZNS0_12_GLOBAL__N_142type_specialized_broadcast_kernel_launcherILi5EE5applyIN12_GLOBAL__N_110CalcIgammaIfEESt5arrayIPcLm3EES9_IN3c1010ScalarTypeELm3EE16OffsetCalculatorILi3EjLb0EEEEvlT_T0_T1_T2_EUlibE_EEviSJ_,comdat
.Lfunc_end50:
	.size	_ZN2at6native32elementwise_kernel_manual_unrollILi128ELi4EZNS0_12_GLOBAL__N_142type_specialized_broadcast_kernel_launcherILi5EE5applyIN12_GLOBAL__N_110CalcIgammaIfEESt5arrayIPcLm3EES9_IN3c1010ScalarTypeELm3EE16OffsetCalculatorILi3EjLb0EEEEvlT_T0_T1_T2_EUlibE_EEviSJ_, .Lfunc_end50-_ZN2at6native32elementwise_kernel_manual_unrollILi128ELi4EZNS0_12_GLOBAL__N_142type_specialized_broadcast_kernel_launcherILi5EE5applyIN12_GLOBAL__N_110CalcIgammaIfEESt5arrayIPcLm3EES9_IN3c1010ScalarTypeELm3EE16OffsetCalculatorILi3EjLb0EEEEvlT_T0_T1_T2_EUlibE_EEviSJ_
                                        ; -- End function
	.section	.AMDGPU.csdata,"",@progbits
; Kernel info:
; codeLenInByte = 6728
; NumSgprs: 68
; NumVgprs: 66
; ScratchSize: 144
; MemoryBound: 0
; FloatMode: 240
; IeeeMode: 1
; LDSByteSize: 0 bytes/workgroup (compile time only)
; SGPRBlocks: 8
; VGPRBlocks: 8
; NumSGPRsForWavesPerEU: 68
; NumVGPRsForWavesPerEU: 66
; Occupancy: 16
; WaveLimiterHint : 1
; COMPUTE_PGM_RSRC2:SCRATCH_EN: 1
; COMPUTE_PGM_RSRC2:USER_SGPR: 15
; COMPUTE_PGM_RSRC2:TRAP_HANDLER: 0
; COMPUTE_PGM_RSRC2:TGID_X_EN: 1
; COMPUTE_PGM_RSRC2:TGID_Y_EN: 0
; COMPUTE_PGM_RSRC2:TGID_Z_EN: 0
; COMPUTE_PGM_RSRC2:TIDIG_COMP_CNT: 0
	.section	.text._ZN2at6native32elementwise_kernel_manual_unrollILi128ELi4EZNS0_15gpu_kernel_implIN12_GLOBAL__N_110CalcIgammaIfEEEEvRNS_18TensorIteratorBaseERKT_EUlibE0_EEviT1_,"axG",@progbits,_ZN2at6native32elementwise_kernel_manual_unrollILi128ELi4EZNS0_15gpu_kernel_implIN12_GLOBAL__N_110CalcIgammaIfEEEEvRNS_18TensorIteratorBaseERKT_EUlibE0_EEviT1_,comdat
	.globl	_ZN2at6native32elementwise_kernel_manual_unrollILi128ELi4EZNS0_15gpu_kernel_implIN12_GLOBAL__N_110CalcIgammaIfEEEEvRNS_18TensorIteratorBaseERKT_EUlibE0_EEviT1_ ; -- Begin function _ZN2at6native32elementwise_kernel_manual_unrollILi128ELi4EZNS0_15gpu_kernel_implIN12_GLOBAL__N_110CalcIgammaIfEEEEvRNS_18TensorIteratorBaseERKT_EUlibE0_EEviT1_
	.p2align	8
	.type	_ZN2at6native32elementwise_kernel_manual_unrollILi128ELi4EZNS0_15gpu_kernel_implIN12_GLOBAL__N_110CalcIgammaIfEEEEvRNS_18TensorIteratorBaseERKT_EUlibE0_EEviT1_,@function
_ZN2at6native32elementwise_kernel_manual_unrollILi128ELi4EZNS0_15gpu_kernel_implIN12_GLOBAL__N_110CalcIgammaIfEEEEvRNS_18TensorIteratorBaseERKT_EUlibE0_EEviT1_: ; @_ZN2at6native32elementwise_kernel_manual_unrollILi128ELi4EZNS0_15gpu_kernel_implIN12_GLOBAL__N_110CalcIgammaIfEEEEvRNS_18TensorIteratorBaseERKT_EUlibE0_EEviT1_
; %bb.0:
	s_clause 0x1
	s_load_b32 s58, s[0:1], 0x8
	s_load_b32 s69, s[0:1], 0x0
	v_lshl_or_b32 v46, s15, 9, v0
	s_or_b32 s48, s0, 8
	s_mov_b32 s2, -1
	s_mov_b32 s60, 0
	s_mov_b32 s49, s1
	v_or_b32_e32 v5, 0x180, v46
	s_mov_b32 s42, 0
	s_mov_b32 s32, 0
	s_mov_b32 s3, exec_lo
	s_waitcnt lgkmcnt(0)
	s_add_i32 s59, s58, -1
	s_delay_alu instid0(SALU_CYCLE_1)
	s_cmp_gt_u32 s59, 1
	s_cselect_b32 s61, -1, 0
	v_cmpx_le_i32_e64 s69, v5
	s_xor_b32 s62, exec_lo, s3
	s_cbranch_execz .LBB51_1601
; %bb.1:
	s_clause 0x6
	s_load_b32 s3, s[48:49], 0x1a0
	s_load_b128 s[44:47], s[48:49], 0x4
	s_load_b64 s[54:55], s[48:49], 0x14
	s_load_b128 s[40:43], s[48:49], 0xc4
	s_load_b64 s[52:53], s[48:49], 0xd4
	s_load_b64 s[50:51], s[48:49], 0x198
	s_load_b128 s[36:39], s[48:49], 0x188
	s_cmp_lg_u32 s58, 0
	s_mov_b32 s75, 0
	s_cselect_b32 s70, -1, 0
	s_min_u32 s68, s59, 15
	s_cmp_gt_u32 s58, 1
	s_mov_b32 s73, 0
	s_cselect_b32 s67, -1, 0
	s_mov_b32 s72, 0
	s_mov_b32 s71, 0
	s_mov_b32 s74, exec_lo
	s_waitcnt lgkmcnt(0)
	s_lshr_b32 s66, s3, 16
	s_lshr_b32 s63, s3, 8
	;; [unrolled: 1-line block ×3, first 2 shown]
	s_bitcmp1_b32 s3, 0
	s_cselect_b32 s3, -1, 0
	s_delay_alu instid0(SALU_CYCLE_1)
	s_xor_b32 s64, s3, -1
	v_cmpx_gt_i32_e64 s69, v46
	s_cbranch_execz .LBB51_394
; %bb.2:
	s_and_not1_b32 vcc_lo, exec_lo, s61
	s_cbranch_vccnz .LBB51_8
; %bb.3:
	v_dual_mov_b32 v43, 0 :: v_dual_mov_b32 v0, 0
	v_mov_b32_e32 v1, 0
	s_and_not1_b32 vcc_lo, exec_lo, s70
	s_mov_b32 s4, 0
	s_cbranch_vccnz .LBB51_9
; %bb.4:
	s_add_i32 s2, s68, 1
	v_dual_mov_b32 v0, 0 :: v_dual_mov_b32 v1, 0
	v_dual_mov_b32 v43, 0 :: v_dual_mov_b32 v2, v46
	s_and_b32 s5, s2, 30
	s_add_u32 s2, s48, 0xffffffec
	s_addc_u32 s3, s49, -1
	s_set_inst_prefetch_distance 0x1
	.p2align	6
.LBB51_5:                               ; =>This Inner Loop Header: Depth=1
	s_clause 0x2
	s_load_b128 s[8:11], s[2:3], 0x18
	s_load_b64 s[6:7], s[2:3], 0x28
	s_load_b128 s[12:15], s[2:3], 0xd8
	s_waitcnt lgkmcnt(0)
	v_mul_hi_u32 v3, s9, v2
	s_delay_alu instid0(VALU_DEP_1) | instskip(NEXT) | instid1(VALU_DEP_1)
	v_add_nc_u32_e32 v3, v2, v3
	v_lshrrev_b32_e32 v3, s10, v3
	s_delay_alu instid0(VALU_DEP_1)
	v_mul_hi_u32 v4, s6, v3
	v_mul_lo_u32 v5, v3, s8
	s_load_b64 s[8:9], s[2:3], 0xe8
	s_add_u32 s2, s2, 24
	s_addc_u32 s3, s3, 0
	s_add_i32 s5, s5, -2
	s_delay_alu instid0(SALU_CYCLE_1) | instskip(NEXT) | instid1(VALU_DEP_2)
	s_cmp_lg_u32 s5, 0
	v_add_nc_u32_e32 v4, v3, v4
	s_delay_alu instid0(VALU_DEP_2) | instskip(NEXT) | instid1(VALU_DEP_2)
	v_sub_nc_u32_e32 v5, v2, v5
	v_lshrrev_b32_e32 v2, s7, v4
	s_delay_alu instid0(VALU_DEP_2) | instskip(NEXT) | instid1(VALU_DEP_2)
	v_mul_lo_u32 v6, v5, s12
	v_mul_lo_u32 v4, v2, s11
	s_delay_alu instid0(VALU_DEP_1) | instskip(SKIP_2) | instid1(VALU_DEP_3)
	v_sub_nc_u32_e32 v3, v3, v4
	v_mul_lo_u32 v4, v5, s13
	v_mul_lo_u32 v5, v5, s14
	;; [unrolled: 1-line block ×3, first 2 shown]
	s_waitcnt lgkmcnt(0)
	v_mul_lo_u32 v8, v3, s8
	v_mul_lo_u32 v3, v3, s9
	s_delay_alu instid0(VALU_DEP_3) | instskip(NEXT) | instid1(VALU_DEP_3)
	v_add3_u32 v43, v6, v43, v7
	v_add3_u32 v1, v4, v1, v8
	s_delay_alu instid0(VALU_DEP_3)
	v_add3_u32 v0, v5, v0, v3
	s_cbranch_scc1 .LBB51_5
; %bb.6:
	s_set_inst_prefetch_distance 0x2
	s_bitcmp1_b32 s68, 0
	s_cselect_b32 s5, -1, 0
	s_delay_alu instid0(SALU_CYCLE_1)
	s_and_b32 vcc_lo, exec_lo, s5
	s_cbranch_vccnz .LBB51_9
; %bb.7:
	s_clause 0x3
	s_load_b64 s[6:7], s[2:3], 0x18
	s_load_b32 s5, s[2:3], 0x20
	s_load_b64 s[8:9], s[2:3], 0xd8
	s_load_b32 s2, s[2:3], 0xe0
	s_waitcnt lgkmcnt(0)
	v_mul_hi_u32 v3, s7, v2
	s_delay_alu instid0(VALU_DEP_1) | instskip(NEXT) | instid1(VALU_DEP_1)
	v_add_nc_u32_e32 v3, v2, v3
	v_lshrrev_b32_e32 v3, s5, v3
	s_delay_alu instid0(VALU_DEP_1) | instskip(NEXT) | instid1(VALU_DEP_1)
	v_mul_lo_u32 v3, v3, s6
	v_sub_nc_u32_e32 v6, v2, v3
	s_delay_alu instid0(VALU_DEP_1) | instskip(NEXT) | instid1(VALU_DEP_1)
	v_mad_u64_u32 v[2:3], null, v6, s8, v[43:44]
	v_mad_u64_u32 v[3:4], null, v6, s9, v[1:2]
	;; [unrolled: 1-line block ×3, first 2 shown]
	v_mov_b32_e32 v43, v2
	s_delay_alu instid0(VALU_DEP_2)
	v_dual_mov_b32 v1, v3 :: v_dual_mov_b32 v0, v4
	s_branch .LBB51_9
.LBB51_8:
	s_mov_b32 s4, -1
                                        ; implicit-def: $vgpr43
                                        ; implicit-def: $vgpr1
                                        ; implicit-def: $vgpr0
.LBB51_9:
	s_delay_alu instid0(SALU_CYCLE_1)
	s_and_not1_b32 vcc_lo, exec_lo, s4
	s_cbranch_vccnz .LBB51_12
; %bb.10:
	v_mul_hi_u32 v0, s45, v46
	s_and_not1_b32 vcc_lo, exec_lo, s67
	s_delay_alu instid0(VALU_DEP_1) | instskip(NEXT) | instid1(VALU_DEP_1)
	v_add_nc_u32_e32 v0, v46, v0
	v_lshrrev_b32_e32 v2, s46, v0
	s_delay_alu instid0(VALU_DEP_1) | instskip(NEXT) | instid1(VALU_DEP_1)
	v_mul_lo_u32 v0, v2, s44
	v_sub_nc_u32_e32 v0, v46, v0
	s_delay_alu instid0(VALU_DEP_1)
	v_mul_lo_u32 v43, v0, s40
	v_mul_lo_u32 v1, v0, s41
	;; [unrolled: 1-line block ×3, first 2 shown]
	s_cbranch_vccnz .LBB51_12
; %bb.11:
	v_mul_hi_u32 v3, s54, v2
	s_delay_alu instid0(VALU_DEP_1) | instskip(NEXT) | instid1(VALU_DEP_1)
	v_add_nc_u32_e32 v3, v2, v3
	v_lshrrev_b32_e32 v3, s55, v3
	s_delay_alu instid0(VALU_DEP_1) | instskip(NEXT) | instid1(VALU_DEP_1)
	v_mul_lo_u32 v3, v3, s47
	v_sub_nc_u32_e32 v6, v2, v3
	s_delay_alu instid0(VALU_DEP_1) | instskip(NEXT) | instid1(VALU_DEP_1)
	v_mad_u64_u32 v[2:3], null, v6, s43, v[43:44]
	v_mad_u64_u32 v[3:4], null, v6, s52, v[1:2]
	;; [unrolled: 1-line block ×3, first 2 shown]
	v_mov_b32_e32 v43, v2
	s_delay_alu instid0(VALU_DEP_2)
	v_dual_mov_b32 v1, v3 :: v_dual_mov_b32 v0, v4
.LBB51_12:
	v_and_b32_e64 v3, 0xff, s66
	s_delay_alu instid0(VALU_DEP_2) | instskip(NEXT) | instid1(VALU_DEP_1)
	v_add_co_u32 v1, s2, s38, v1
	v_add_co_ci_u32_e64 v2, null, s39, 0, s2
	s_delay_alu instid0(VALU_DEP_3)
	v_cmp_gt_i16_e32 vcc_lo, 11, v3
	s_mov_b32 s73, 0
	s_cbranch_vccnz .LBB51_19
; %bb.13:
	v_cmp_lt_i16_e32 vcc_lo, 25, v3
	s_cbranch_vccz .LBB51_28
; %bb.14:
	v_cmp_lt_i16_e32 vcc_lo, 28, v3
	s_cbranch_vccz .LBB51_33
	;; [unrolled: 3-line block ×4, first 2 shown]
; %bb.17:
	v_cmp_eq_u16_e32 vcc_lo, 46, v3
	s_mov_b32 s3, 0
	s_cbranch_vccz .LBB51_159
; %bb.18:
	global_load_b32 v4, v[1:2], off
	s_mov_b32 s2, -1
	s_waitcnt vmcnt(0)
	v_lshlrev_b32_e32 v40, 16, v4
	s_branch .LBB51_161
.LBB51_19:
	s_mov_b32 s2, 0
                                        ; implicit-def: $vgpr40
	s_cbranch_execnz .LBB51_226
.LBB51_20:
	s_and_not1_b32 vcc_lo, exec_lo, s2
	s_cbranch_vccnz .LBB51_273
.LBB51_21:
	v_cmp_lt_i16_e64 s2, s65, 11
	v_add_co_u32 v0, s3, s50, v0
	s_delay_alu instid0(VALU_DEP_1) | instskip(NEXT) | instid1(VALU_DEP_3)
	v_add_co_ci_u32_e64 v1, null, s51, 0, s3
	s_and_b32 vcc_lo, exec_lo, s2
	s_mov_b32 s72, 0
	s_cbranch_vccnz .LBB51_29
; %bb.22:
	v_cmp_gt_i16_e64 s2, s65, 25
	s_delay_alu instid0(VALU_DEP_1)
	s_and_b32 vcc_lo, exec_lo, s2
	s_cbranch_vccz .LBB51_34
; %bb.23:
	v_cmp_gt_i16_e64 s2, s65, 28
	s_delay_alu instid0(VALU_DEP_1)
	s_and_b32 vcc_lo, exec_lo, s2
	s_cbranch_vccz .LBB51_156
	;; [unrolled: 5-line block ×4, first 2 shown]
; %bb.26:
	v_cmp_eq_u16_e64 s2, s65, 46
	s_mov_b32 s3, 0
	s_delay_alu instid0(VALU_DEP_1)
	s_and_b32 vcc_lo, exec_lo, s2
	s_cbranch_vccz .LBB51_274
; %bb.27:
	global_load_b32 v2, v[0:1], off
	s_mov_b32 s2, -1
	s_waitcnt vmcnt(0)
	v_lshlrev_b32_e32 v42, 16, v2
	s_branch .LBB51_276
.LBB51_28:
	s_mov_b32 s2, 0
                                        ; implicit-def: $vgpr40
	s_cbranch_execnz .LBB51_191
	s_branch .LBB51_225
.LBB51_29:
	s_mov_b32 s2, 0
                                        ; implicit-def: $vgpr42
	s_cbranch_execnz .LBB51_343
.LBB51_30:
	s_and_not1_b32 vcc_lo, exec_lo, s2
	s_cbranch_vccnz .LBB51_391
.LBB51_31:
	s_mov_b64 s[56:57], s[0:1]
	s_and_b32 vcc_lo, exec_lo, s64
	s_cbranch_vccz .LBB51_35
; %bb.32:
	s_waitcnt vmcnt(0)
	s_delay_alu instid0(VALU_DEP_1) | instskip(SKIP_3) | instid1(SALU_CYCLE_1)
	v_dual_mov_b32 v0, v40 :: v_dual_mov_b32 v1, v42
	s_getpc_b64 s[0:1]
	s_add_u32 s0, s0, _ZN12_GLOBAL__N_111calc_igammaIfEET_S1_S1_@rel32@lo+4
	s_addc_u32 s1, s1, _ZN12_GLOBAL__N_111calc_igammaIfEET_S1_S1_@rel32@hi+12
	s_swappc_b64 s[30:31], s[0:1]
	s_mov_b32 s0, 0
	s_branch .LBB51_36
.LBB51_33:
	s_mov_b32 s3, -1
	s_mov_b32 s2, 0
                                        ; implicit-def: $vgpr40
	s_branch .LBB51_172
.LBB51_34:
	s_mov_b32 s3, -1
	s_mov_b32 s2, 0
                                        ; implicit-def: $vgpr42
	s_branch .LBB51_307
.LBB51_35:
	s_mov_b32 s0, -1
                                        ; implicit-def: $vgpr0
.LBB51_36:
	s_delay_alu instid0(SALU_CYCLE_1)
	s_and_not1_b32 vcc_lo, exec_lo, s0
	s_cbranch_vccnz .LBB51_38
; %bb.37:
	s_waitcnt vmcnt(0)
	s_delay_alu instid0(VALU_DEP_1) | instskip(SKIP_3) | instid1(SALU_CYCLE_1)
	v_dual_mov_b32 v0, v40 :: v_dual_mov_b32 v1, v42
	s_getpc_b64 s[0:1]
	s_add_u32 s0, s0, _ZN12_GLOBAL__N_112calc_igammacIfEET_S1_S1_@rel32@lo+4
	s_addc_u32 s1, s1, _ZN12_GLOBAL__N_112calc_igammacIfEET_S1_S1_@rel32@hi+12
	s_swappc_b64 s[30:31], s[0:1]
.LBB51_38:
	v_and_b32_e64 v4, 0xff, s63
	v_add_co_u32 v2, s3, s36, v43
	s_delay_alu instid0(VALU_DEP_1) | instskip(NEXT) | instid1(VALU_DEP_3)
	v_add_co_ci_u32_e64 v3, null, s37, 0, s3
	v_cmp_gt_i16_e32 vcc_lo, 11, v4
	s_mov_b64 s[0:1], s[56:57]
	s_mov_b32 s2, 0
	s_mov_b32 s4, -1
	s_mov_b32 s3, 0
	s_cbranch_vccnz .LBB51_115
; %bb.39:
	v_cmp_lt_i16_e32 vcc_lo, 25, v4
	s_cbranch_vccz .LBB51_72
; %bb.40:
	v_cmp_lt_i16_e32 vcc_lo, 28, v4
	s_cbranch_vccz .LBB51_55
	;; [unrolled: 3-line block ×4, first 2 shown]
; %bb.43:
	v_cmp_eq_u16_e32 vcc_lo, 46, v4
	s_mov_b32 s4, 0
	s_mov_b32 s2, -1
	s_cbranch_vccz .LBB51_45
; %bb.44:
	v_bfe_u32 v1, v0, 16, 1
	v_cmp_o_f32_e32 vcc_lo, v0, v0
	s_mov_b32 s3, -1
	s_mov_b32 s2, 0
	s_delay_alu instid0(VALU_DEP_2) | instskip(NEXT) | instid1(VALU_DEP_1)
	v_add3_u32 v1, v0, v1, 0x7fff
	v_lshrrev_b32_e32 v1, 16, v1
	s_delay_alu instid0(VALU_DEP_1)
	v_cndmask_b32_e32 v1, 0x7fc0, v1, vcc_lo
	global_store_b32 v[2:3], v1, off
.LBB51_45:
	s_and_b32 vcc_lo, exec_lo, s4
	s_cbranch_vccz .LBB51_50
; %bb.46:
	v_cmp_eq_u16_e32 vcc_lo, 44, v4
	s_mov_b32 s2, -1
	s_cbranch_vccz .LBB51_50
; %bb.47:
	v_bfe_u32 v5, v0, 23, 8
	v_mov_b32_e32 v1, 0xff
	s_mov_b32 s3, exec_lo
	s_delay_alu instid0(VALU_DEP_2)
	v_cmpx_ne_u32_e32 0xff, v5
; %bb.48:
	v_and_b32_e32 v1, 0x400000, v0
	v_and_or_b32 v5, 0x3fffff, v0, v5
	s_delay_alu instid0(VALU_DEP_2) | instskip(NEXT) | instid1(VALU_DEP_2)
	v_cmp_ne_u32_e32 vcc_lo, 0, v1
	v_cmp_ne_u32_e64 s2, 0, v5
	v_lshrrev_b32_e32 v1, 23, v0
	s_delay_alu instid0(VALU_DEP_2) | instskip(NEXT) | instid1(SALU_CYCLE_1)
	s_and_b32 s2, vcc_lo, s2
	v_cndmask_b32_e64 v5, 0, 1, s2
	s_delay_alu instid0(VALU_DEP_1)
	v_add_nc_u32_e32 v1, v1, v5
; %bb.49:
	s_or_b32 exec_lo, exec_lo, s3
	s_mov_b32 s3, -1
	s_mov_b32 s2, 0
	global_store_b8 v[2:3], v1, off
.LBB51_50:
	s_mov_b32 s4, 0
.LBB51_51:
	s_delay_alu instid0(SALU_CYCLE_1)
	s_and_b32 vcc_lo, exec_lo, s4
	s_cbranch_vccz .LBB51_54
; %bb.52:
	v_cmp_eq_u16_e32 vcc_lo, 29, v4
	s_mov_b32 s2, -1
	s_cbranch_vccz .LBB51_54
; %bb.53:
	v_trunc_f32_e32 v1, v0
	s_mov_b32 s3, -1
	s_mov_b32 s2, 0
	s_delay_alu instid0(VALU_DEP_1) | instskip(NEXT) | instid1(VALU_DEP_1)
	v_mul_f32_e32 v5, 0x2f800000, v1
	v_floor_f32_e32 v5, v5
	s_delay_alu instid0(VALU_DEP_1) | instskip(SKIP_1) | instid1(VALU_DEP_2)
	v_fmamk_f32 v1, v5, 0xcf800000, v1
	v_cvt_u32_f32_e32 v6, v5
	v_cvt_u32_f32_e32 v5, v1
	global_store_b64 v[2:3], v[5:6], off
.LBB51_54:
	s_mov_b32 s4, 0
.LBB51_55:
	s_delay_alu instid0(SALU_CYCLE_1)
	s_and_b32 vcc_lo, exec_lo, s4
	s_cbranch_vccz .LBB51_71
; %bb.56:
	v_cmp_gt_i16_e32 vcc_lo, 27, v4
	s_mov_b32 s3, -1
	s_cbranch_vccnz .LBB51_62
; %bb.57:
	v_cmp_lt_i16_e32 vcc_lo, 27, v4
	s_cbranch_vccz .LBB51_59
; %bb.58:
	v_cvt_u32_f32_e32 v1, v0
	s_mov_b32 s3, 0
	global_store_b32 v[2:3], v1, off
.LBB51_59:
	s_and_not1_b32 vcc_lo, exec_lo, s3
	s_cbranch_vccnz .LBB51_61
; %bb.60:
	v_cvt_u32_f32_e32 v1, v0
	global_store_b16 v[2:3], v1, off
.LBB51_61:
	s_mov_b32 s3, 0
.LBB51_62:
	s_delay_alu instid0(SALU_CYCLE_1)
	s_and_not1_b32 vcc_lo, exec_lo, s3
	s_cbranch_vccnz .LBB51_70
; %bb.63:
	v_and_b32_e32 v1, 0x7fffffff, v0
	v_mov_b32_e32 v5, 0x80
	s_mov_b32 s3, exec_lo
	s_delay_alu instid0(VALU_DEP_2)
	v_cmpx_gt_u32_e32 0x43800000, v1
	s_cbranch_execz .LBB51_69
; %bb.64:
	v_cmp_lt_u32_e32 vcc_lo, 0x3bffffff, v1
	s_mov_b32 s4, 0
                                        ; implicit-def: $vgpr1
	s_and_saveexec_b32 s5, vcc_lo
	s_delay_alu instid0(SALU_CYCLE_1)
	s_xor_b32 s5, exec_lo, s5
	s_cbranch_execz .LBB51_279
; %bb.65:
	v_bfe_u32 v1, v0, 20, 1
	s_mov_b32 s4, exec_lo
	s_delay_alu instid0(VALU_DEP_1) | instskip(NEXT) | instid1(VALU_DEP_1)
	v_add3_u32 v1, v0, v1, 0x487ffff
	v_lshrrev_b32_e32 v1, 20, v1
	s_or_saveexec_b32 s5, s5
                                        ; implicit-def: $sgpr6
	s_delay_alu instid0(SALU_CYCLE_1)
	s_xor_b32 exec_lo, exec_lo, s5
	s_cbranch_execnz .LBB51_280
.LBB51_66:
	s_or_b32 exec_lo, exec_lo, s5
	v_mov_b32_e32 v5, s6
	s_and_saveexec_b32 s5, s4
.LBB51_67:
	v_lshrrev_b32_e32 v5, 24, v0
	s_delay_alu instid0(VALU_DEP_1)
	v_and_or_b32 v5, 0x80, v5, v1
.LBB51_68:
	s_or_b32 exec_lo, exec_lo, s5
.LBB51_69:
	s_delay_alu instid0(SALU_CYCLE_1)
	s_or_b32 exec_lo, exec_lo, s3
	global_store_b8 v[2:3], v5, off
.LBB51_70:
	s_mov_b32 s3, -1
.LBB51_71:
	s_mov_b32 s4, 0
.LBB51_72:
	s_delay_alu instid0(SALU_CYCLE_1)
	s_and_b32 vcc_lo, exec_lo, s4
	s_cbranch_vccz .LBB51_113
; %bb.73:
	v_cmp_lt_i16_e32 vcc_lo, 22, v4
	s_mov_b32 s4, -1
	s_cbranch_vccz .LBB51_105
; %bb.74:
	v_cmp_gt_i16_e32 vcc_lo, 24, v4
	s_mov_b32 s3, -1
	s_cbranch_vccnz .LBB51_94
; %bb.75:
	v_cmp_lt_i16_e32 vcc_lo, 24, v4
	s_cbranch_vccz .LBB51_83
; %bb.76:
	v_and_b32_e32 v1, 0x7fffffff, v0
	v_mov_b32_e32 v5, 0x80
	s_mov_b32 s3, exec_lo
	s_delay_alu instid0(VALU_DEP_2)
	v_cmpx_gt_u32_e32 0x47800000, v1
	s_cbranch_execz .LBB51_82
; %bb.77:
	v_cmp_lt_u32_e32 vcc_lo, 0x37ffffff, v1
	s_mov_b32 s4, 0
                                        ; implicit-def: $vgpr1
	s_and_saveexec_b32 s5, vcc_lo
	s_delay_alu instid0(SALU_CYCLE_1)
	s_xor_b32 s5, exec_lo, s5
	s_cbranch_execz .LBB51_547
; %bb.78:
	v_bfe_u32 v1, v0, 21, 1
	s_mov_b32 s4, exec_lo
	s_delay_alu instid0(VALU_DEP_1) | instskip(NEXT) | instid1(VALU_DEP_1)
	v_add3_u32 v1, v0, v1, 0x88fffff
	v_lshrrev_b32_e32 v1, 21, v1
	s_or_saveexec_b32 s5, s5
                                        ; implicit-def: $sgpr6
	s_delay_alu instid0(SALU_CYCLE_1)
	s_xor_b32 exec_lo, exec_lo, s5
	s_cbranch_execnz .LBB51_548
.LBB51_79:
	s_or_b32 exec_lo, exec_lo, s5
	v_mov_b32_e32 v5, s6
	s_and_saveexec_b32 s5, s4
.LBB51_80:
	v_lshrrev_b32_e32 v5, 24, v0
	s_delay_alu instid0(VALU_DEP_1)
	v_and_or_b32 v5, 0x80, v5, v1
.LBB51_81:
	s_or_b32 exec_lo, exec_lo, s5
.LBB51_82:
	s_delay_alu instid0(SALU_CYCLE_1)
	s_or_b32 exec_lo, exec_lo, s3
	s_mov_b32 s3, 0
	global_store_b8 v[2:3], v5, off
.LBB51_83:
	s_and_b32 vcc_lo, exec_lo, s3
	s_cbranch_vccz .LBB51_93
; %bb.84:
	v_and_b32_e32 v5, 0x7fffffff, v0
	s_mov_b32 s3, exec_lo
                                        ; implicit-def: $vgpr1
	s_delay_alu instid0(VALU_DEP_1)
	v_cmpx_gt_u32_e32 0x43f00000, v5
	s_xor_b32 s3, exec_lo, s3
	s_cbranch_execz .LBB51_90
; %bb.85:
	s_mov_b32 s4, exec_lo
                                        ; implicit-def: $vgpr1
	v_cmpx_lt_u32_e32 0x3c7fffff, v5
	s_xor_b32 s4, exec_lo, s4
; %bb.86:
	v_bfe_u32 v1, v0, 20, 1
	s_delay_alu instid0(VALU_DEP_1) | instskip(NEXT) | instid1(VALU_DEP_1)
	v_add3_u32 v1, v0, v1, 0x407ffff
	v_and_b32_e32 v5, 0xff00000, v1
	v_lshrrev_b32_e32 v1, 20, v1
	s_delay_alu instid0(VALU_DEP_2) | instskip(NEXT) | instid1(VALU_DEP_2)
	v_cmp_ne_u32_e32 vcc_lo, 0x7f00000, v5
	v_cndmask_b32_e32 v1, 0x7e, v1, vcc_lo
; %bb.87:
	s_and_not1_saveexec_b32 s4, s4
; %bb.88:
	v_add_f32_e64 v1, 0x46800000, |v0|
; %bb.89:
	s_or_b32 exec_lo, exec_lo, s4
                                        ; implicit-def: $vgpr5
.LBB51_90:
	s_and_not1_saveexec_b32 s3, s3
; %bb.91:
	v_mov_b32_e32 v1, 0x7f
	v_cmp_lt_u32_e32 vcc_lo, 0x7f800000, v5
	s_delay_alu instid0(VALU_DEP_2)
	v_cndmask_b32_e32 v1, 0x7e, v1, vcc_lo
; %bb.92:
	s_or_b32 exec_lo, exec_lo, s3
	v_lshrrev_b32_e32 v5, 24, v0
	s_delay_alu instid0(VALU_DEP_1)
	v_and_or_b32 v1, 0x80, v5, v1
	global_store_b8 v[2:3], v1, off
.LBB51_93:
	s_mov_b32 s3, 0
.LBB51_94:
	s_delay_alu instid0(SALU_CYCLE_1)
	s_and_not1_b32 vcc_lo, exec_lo, s3
	s_cbranch_vccnz .LBB51_104
; %bb.95:
	v_and_b32_e32 v5, 0x7fffffff, v0
	s_mov_b32 s3, exec_lo
                                        ; implicit-def: $vgpr1
	s_delay_alu instid0(VALU_DEP_1)
	v_cmpx_gt_u32_e32 0x47800000, v5
	s_xor_b32 s3, exec_lo, s3
	s_cbranch_execz .LBB51_101
; %bb.96:
	s_mov_b32 s4, exec_lo
                                        ; implicit-def: $vgpr1
	v_cmpx_lt_u32_e32 0x387fffff, v5
	s_xor_b32 s4, exec_lo, s4
; %bb.97:
	v_bfe_u32 v1, v0, 21, 1
	s_delay_alu instid0(VALU_DEP_1) | instskip(NEXT) | instid1(VALU_DEP_1)
	v_add3_u32 v1, v0, v1, 0x80fffff
	v_lshrrev_b32_e32 v1, 21, v1
; %bb.98:
	s_and_not1_saveexec_b32 s4, s4
; %bb.99:
	v_add_f32_e64 v1, 0x43000000, |v0|
; %bb.100:
	s_or_b32 exec_lo, exec_lo, s4
                                        ; implicit-def: $vgpr5
.LBB51_101:
	s_and_not1_saveexec_b32 s3, s3
; %bb.102:
	v_mov_b32_e32 v1, 0x7f
	v_cmp_lt_u32_e32 vcc_lo, 0x7f800000, v5
	s_delay_alu instid0(VALU_DEP_2)
	v_cndmask_b32_e32 v1, 0x7c, v1, vcc_lo
; %bb.103:
	s_or_b32 exec_lo, exec_lo, s3
	v_lshrrev_b32_e32 v5, 24, v0
	s_delay_alu instid0(VALU_DEP_1)
	v_and_or_b32 v1, 0x80, v5, v1
	global_store_b8 v[2:3], v1, off
.LBB51_104:
	s_mov_b32 s4, 0
	s_mov_b32 s3, -1
.LBB51_105:
	s_and_not1_b32 vcc_lo, exec_lo, s4
	s_cbranch_vccnz .LBB51_113
; %bb.106:
	v_cmp_lt_i16_e32 vcc_lo, 14, v4
	s_mov_b32 s4, -1
	s_cbranch_vccz .LBB51_110
; %bb.107:
	v_cmp_eq_u16_e32 vcc_lo, 15, v4
	s_mov_b32 s2, -1
	s_cbranch_vccz .LBB51_109
; %bb.108:
	v_bfe_u32 v1, v0, 16, 1
	v_cmp_o_f32_e32 vcc_lo, v0, v0
	s_mov_b32 s3, -1
	s_mov_b32 s2, 0
	s_delay_alu instid0(VALU_DEP_2) | instskip(NEXT) | instid1(VALU_DEP_1)
	v_add3_u32 v1, v0, v1, 0x7fff
	v_lshrrev_b32_e32 v1, 16, v1
	s_delay_alu instid0(VALU_DEP_1)
	v_cndmask_b32_e32 v1, 0x7fc0, v1, vcc_lo
	global_store_b16 v[2:3], v1, off
.LBB51_109:
	s_mov_b32 s4, 0
.LBB51_110:
	s_delay_alu instid0(SALU_CYCLE_1)
	s_and_b32 vcc_lo, exec_lo, s4
	s_cbranch_vccz .LBB51_113
; %bb.111:
	v_cmp_eq_u16_e32 vcc_lo, 11, v4
	s_mov_b32 s2, -1
	s_cbranch_vccz .LBB51_113
; %bb.112:
	v_cmp_neq_f32_e32 vcc_lo, 0, v0
	s_mov_b32 s2, 0
	s_mov_b32 s3, -1
	v_cndmask_b32_e64 v1, 0, 1, vcc_lo
	global_store_b8 v[2:3], v1, off
.LBB51_113:
.LBB51_114:
	s_and_not1_b32 vcc_lo, exec_lo, s3
	s_cbranch_vccz .LBB51_154
	s_branch .LBB51_392
.LBB51_115:
	s_and_b32 vcc_lo, exec_lo, s4
	s_cbranch_vccz .LBB51_114
; %bb.116:
	v_cmp_gt_i16_e32 vcc_lo, 5, v4
	s_mov_b32 s3, -1
	s_cbranch_vccnz .LBB51_137
; %bb.117:
	v_cmp_gt_i16_e32 vcc_lo, 8, v4
	s_cbranch_vccnz .LBB51_127
; %bb.118:
	v_cmp_gt_i16_e32 vcc_lo, 9, v4
	s_cbranch_vccnz .LBB51_124
; %bb.119:
	v_cmp_lt_i16_e32 vcc_lo, 9, v4
	s_cbranch_vccz .LBB51_121
; %bb.120:
	v_cvt_f64_f32_e32 v[5:6], v0
	v_mov_b32_e32 v7, 0
	s_mov_b32 s3, 0
	s_delay_alu instid0(VALU_DEP_1)
	v_mov_b32_e32 v8, v7
	global_store_b128 v[2:3], v[5:8], off
.LBB51_121:
	s_and_not1_b32 vcc_lo, exec_lo, s3
	s_cbranch_vccnz .LBB51_123
; %bb.122:
	v_mov_b32_e32 v1, 0
	global_store_b64 v[2:3], v[0:1], off
.LBB51_123:
	s_mov_b32 s3, 0
.LBB51_124:
	s_delay_alu instid0(SALU_CYCLE_1)
	s_and_not1_b32 vcc_lo, exec_lo, s3
	s_cbranch_vccnz .LBB51_126
; %bb.125:
	v_cvt_f16_f32_e32 v1, v0
	s_delay_alu instid0(VALU_DEP_1)
	v_and_b32_e32 v1, 0xffff, v1
	global_store_b32 v[2:3], v1, off
.LBB51_126:
	s_mov_b32 s3, 0
.LBB51_127:
	s_delay_alu instid0(SALU_CYCLE_1)
	s_and_not1_b32 vcc_lo, exec_lo, s3
	s_cbranch_vccnz .LBB51_136
; %bb.128:
	v_cmp_gt_i16_e32 vcc_lo, 6, v4
	s_mov_b32 s3, -1
	s_cbranch_vccnz .LBB51_134
; %bb.129:
	v_cmp_lt_i16_e32 vcc_lo, 6, v4
	s_cbranch_vccz .LBB51_131
; %bb.130:
	v_cvt_f64_f32_e32 v[5:6], v0
	s_mov_b32 s3, 0
	global_store_b64 v[2:3], v[5:6], off
.LBB51_131:
	s_and_not1_b32 vcc_lo, exec_lo, s3
	s_cbranch_vccnz .LBB51_133
; %bb.132:
	global_store_b32 v[2:3], v0, off
.LBB51_133:
	s_mov_b32 s3, 0
.LBB51_134:
	s_delay_alu instid0(SALU_CYCLE_1)
	s_and_not1_b32 vcc_lo, exec_lo, s3
	s_cbranch_vccnz .LBB51_136
; %bb.135:
	v_cvt_f16_f32_e32 v1, v0
	global_store_b16 v[2:3], v1, off
.LBB51_136:
	s_mov_b32 s3, 0
.LBB51_137:
	s_delay_alu instid0(SALU_CYCLE_1)
	s_and_not1_b32 vcc_lo, exec_lo, s3
	s_cbranch_vccnz .LBB51_153
; %bb.138:
	v_cmp_gt_i16_e32 vcc_lo, 2, v4
	s_mov_b32 s3, -1
	s_cbranch_vccnz .LBB51_148
; %bb.139:
	v_cmp_gt_i16_e32 vcc_lo, 3, v4
	s_cbranch_vccnz .LBB51_145
; %bb.140:
	v_cmp_lt_i16_e32 vcc_lo, 3, v4
	s_cbranch_vccz .LBB51_142
; %bb.141:
	v_trunc_f32_e32 v1, v0
	s_mov_b32 s3, 0
	s_delay_alu instid0(VALU_DEP_1) | instskip(NEXT) | instid1(VALU_DEP_1)
	v_mul_f32_e64 v5, 0x2f800000, |v1|
	v_floor_f32_e32 v5, v5
	s_delay_alu instid0(VALU_DEP_1) | instskip(SKIP_2) | instid1(VALU_DEP_3)
	v_fma_f32 v6, 0xcf800000, v5, |v1|
	v_ashrrev_i32_e32 v1, 31, v1
	v_cvt_u32_f32_e32 v5, v5
	v_cvt_u32_f32_e32 v6, v6
	s_delay_alu instid0(VALU_DEP_2) | instskip(NEXT) | instid1(VALU_DEP_2)
	v_xor_b32_e32 v7, v5, v1
	v_xor_b32_e32 v6, v6, v1
	s_delay_alu instid0(VALU_DEP_1) | instskip(NEXT) | instid1(VALU_DEP_3)
	v_sub_co_u32 v5, vcc_lo, v6, v1
	v_sub_co_ci_u32_e32 v6, vcc_lo, v7, v1, vcc_lo
	global_store_b64 v[2:3], v[5:6], off
.LBB51_142:
	s_and_not1_b32 vcc_lo, exec_lo, s3
	s_cbranch_vccnz .LBB51_144
; %bb.143:
	v_cvt_i32_f32_e32 v1, v0
	global_store_b32 v[2:3], v1, off
.LBB51_144:
	s_mov_b32 s3, 0
.LBB51_145:
	s_delay_alu instid0(SALU_CYCLE_1)
	s_and_not1_b32 vcc_lo, exec_lo, s3
	s_cbranch_vccnz .LBB51_147
; %bb.146:
	v_cvt_i32_f32_e32 v1, v0
	global_store_b16 v[2:3], v1, off
.LBB51_147:
	s_mov_b32 s3, 0
.LBB51_148:
	s_delay_alu instid0(SALU_CYCLE_1)
	s_and_not1_b32 vcc_lo, exec_lo, s3
	s_cbranch_vccnz .LBB51_153
; %bb.149:
	v_cmp_lt_i16_e32 vcc_lo, 0, v4
	s_mov_b32 s3, -1
	s_cbranch_vccz .LBB51_151
; %bb.150:
	v_cvt_i32_f32_e32 v1, v0
	s_mov_b32 s3, 0
	global_store_b8 v[2:3], v1, off
.LBB51_151:
	s_and_not1_b32 vcc_lo, exec_lo, s3
	s_cbranch_vccnz .LBB51_153
; %bb.152:
	v_trunc_f32_e32 v0, v0
	s_delay_alu instid0(VALU_DEP_1) | instskip(NEXT) | instid1(VALU_DEP_1)
	v_mul_f32_e64 v1, 0x2f800000, |v0|
	v_floor_f32_e32 v1, v1
	s_delay_alu instid0(VALU_DEP_1) | instskip(SKIP_1) | instid1(VALU_DEP_2)
	v_fma_f32 v1, 0xcf800000, v1, |v0|
	v_ashrrev_i32_e32 v0, 31, v0
	v_cvt_u32_f32_e32 v1, v1
	s_delay_alu instid0(VALU_DEP_1) | instskip(NEXT) | instid1(VALU_DEP_1)
	v_xor_b32_e32 v1, v1, v0
	v_sub_nc_u32_e32 v0, v1, v0
	global_store_b8 v[2:3], v0, off
.LBB51_153:
.LBB51_154:
	v_add_nc_u32_e32 v46, 0x80, v46
	s_mov_b32 s3, -1
	s_branch .LBB51_393
.LBB51_155:
	s_mov_b32 s3, -1
	s_mov_b32 s2, 0
                                        ; implicit-def: $vgpr40
	s_branch .LBB51_167
.LBB51_156:
	s_mov_b32 s3, -1
	s_mov_b32 s2, 0
                                        ; implicit-def: $vgpr42
	s_branch .LBB51_288
.LBB51_157:
	s_mov_b32 s3, -1
	s_branch .LBB51_160
.LBB51_158:
	s_mov_b32 s3, -1
	s_mov_b32 s2, 0
                                        ; implicit-def: $vgpr42
	s_branch .LBB51_283
.LBB51_159:
	s_mov_b32 s73, -1
.LBB51_160:
	s_mov_b32 s2, 0
                                        ; implicit-def: $vgpr40
.LBB51_161:
	s_and_b32 vcc_lo, exec_lo, s3
	s_cbranch_vccz .LBB51_166
; %bb.162:
	v_cmp_eq_u16_e32 vcc_lo, 44, v3
	s_cbranch_vccz .LBB51_165
; %bb.163:
	global_load_u8 v4, v[1:2], off
	s_mov_b32 s73, 0
	s_mov_b32 s2, -1
	s_waitcnt vmcnt(0)
	v_lshlrev_b32_e32 v5, 23, v4
	v_cmp_ne_u32_e32 vcc_lo, 0xff, v4
	s_delay_alu instid0(VALU_DEP_2) | instskip(SKIP_1) | instid1(VALU_DEP_2)
	v_cndmask_b32_e32 v5, 0x7f800001, v5, vcc_lo
	v_cmp_ne_u32_e32 vcc_lo, 0, v4
	v_cndmask_b32_e32 v40, 0x400000, v5, vcc_lo
	s_branch .LBB51_166
.LBB51_164:
	s_mov_b32 s3, -1
	s_branch .LBB51_275
.LBB51_165:
	s_mov_b32 s73, -1
                                        ; implicit-def: $vgpr40
.LBB51_166:
	s_mov_b32 s3, 0
.LBB51_167:
	s_delay_alu instid0(SALU_CYCLE_1)
	s_and_b32 vcc_lo, exec_lo, s3
	s_cbranch_vccz .LBB51_171
; %bb.168:
	v_cmp_eq_u16_e32 vcc_lo, 29, v3
	s_cbranch_vccz .LBB51_170
; %bb.169:
	global_load_b64 v[4:5], v[1:2], off
	s_mov_b32 s2, -1
	s_mov_b32 s73, 0
	s_mov_b32 s3, 0
	s_waitcnt vmcnt(0)
	v_clz_i32_u32_e32 v6, v5
	s_delay_alu instid0(VALU_DEP_1) | instskip(NEXT) | instid1(VALU_DEP_1)
	v_min_u32_e32 v6, 32, v6
	v_lshlrev_b64 v[4:5], v6, v[4:5]
	s_delay_alu instid0(VALU_DEP_1) | instskip(NEXT) | instid1(VALU_DEP_1)
	v_min_u32_e32 v4, 1, v4
	v_or_b32_e32 v4, v5, v4
	v_sub_nc_u32_e32 v5, 32, v6
	s_delay_alu instid0(VALU_DEP_2) | instskip(NEXT) | instid1(VALU_DEP_1)
	v_cvt_f32_u32_e32 v4, v4
	v_ldexp_f32 v40, v4, v5
	s_branch .LBB51_172
.LBB51_170:
	s_mov_b32 s73, -1
                                        ; implicit-def: $vgpr40
.LBB51_171:
	s_mov_b32 s3, 0
.LBB51_172:
	s_delay_alu instid0(SALU_CYCLE_1)
	s_and_b32 vcc_lo, exec_lo, s3
	s_cbranch_vccz .LBB51_190
; %bb.173:
	v_cmp_gt_i16_e32 vcc_lo, 27, v3
	s_cbranch_vccnz .LBB51_176
; %bb.174:
	v_cmp_lt_i16_e32 vcc_lo, 27, v3
	s_cbranch_vccz .LBB51_177
; %bb.175:
	global_load_b32 v4, v[1:2], off
	s_mov_b32 s2, 0
	s_waitcnt vmcnt(0)
	v_cvt_f32_u32_e32 v40, v4
	s_branch .LBB51_178
.LBB51_176:
	s_mov_b32 s2, -1
                                        ; implicit-def: $vgpr40
	s_branch .LBB51_181
.LBB51_177:
	s_mov_b32 s2, -1
                                        ; implicit-def: $vgpr40
.LBB51_178:
	s_delay_alu instid0(SALU_CYCLE_1)
	s_and_not1_b32 vcc_lo, exec_lo, s2
	s_cbranch_vccnz .LBB51_180
; %bb.179:
	global_load_u16 v4, v[1:2], off
	s_waitcnt vmcnt(0)
	v_cvt_f32_u32_e32 v40, v4
.LBB51_180:
	s_mov_b32 s2, 0
.LBB51_181:
	s_delay_alu instid0(SALU_CYCLE_1)
	s_and_not1_b32 vcc_lo, exec_lo, s2
	s_cbranch_vccnz .LBB51_189
; %bb.182:
	global_load_u8 v4, v[1:2], off
	s_mov_b32 s2, 0
	s_mov_b32 s4, exec_lo
                                        ; implicit-def: $sgpr3
	s_waitcnt vmcnt(0)
	v_cmpx_lt_i16_e32 0x7f, v4
	s_xor_b32 s4, exec_lo, s4
	s_cbranch_execz .LBB51_202
; %bb.183:
	s_mov_b32 s2, -1
	s_mov_b32 s5, exec_lo
                                        ; implicit-def: $sgpr3
	v_cmpx_eq_u16_e32 0x80, v4
; %bb.184:
	s_mov_b32 s3, 0x7f800001
	s_xor_b32 s2, exec_lo, -1
; %bb.185:
	s_or_b32 exec_lo, exec_lo, s5
	s_delay_alu instid0(SALU_CYCLE_1)
	s_and_b32 s2, s2, exec_lo
	s_or_saveexec_b32 s4, s4
	v_mov_b32_e32 v40, s3
	s_xor_b32 exec_lo, exec_lo, s4
	s_cbranch_execnz .LBB51_203
.LBB51_186:
	s_or_b32 exec_lo, exec_lo, s4
	s_and_saveexec_b32 s3, s2
	s_cbranch_execz .LBB51_188
.LBB51_187:
	v_and_b32_e32 v5, 0xffff, v4
	v_lshlrev_b32_e32 v4, 24, v4
	s_delay_alu instid0(VALU_DEP_2) | instskip(NEXT) | instid1(VALU_DEP_2)
	v_and_b32_e32 v6, 7, v5
	v_and_b32_e32 v4, 0x80000000, v4
	s_delay_alu instid0(VALU_DEP_2) | instskip(NEXT) | instid1(VALU_DEP_1)
	v_clz_i32_u32_e32 v7, v6
	v_min_u32_e32 v7, 32, v7
	s_delay_alu instid0(VALU_DEP_1) | instskip(SKIP_1) | instid1(VALU_DEP_2)
	v_subrev_nc_u32_e32 v8, 28, v7
	v_sub_nc_u32_e32 v7, 29, v7
	v_lshlrev_b32_e32 v8, v8, v5
	v_bfe_u32 v5, v5, 3, 4
	s_delay_alu instid0(VALU_DEP_2) | instskip(NEXT) | instid1(VALU_DEP_2)
	v_and_b32_e32 v8, 7, v8
	v_cmp_eq_u32_e32 vcc_lo, 0, v5
	s_delay_alu instid0(VALU_DEP_2) | instskip(NEXT) | instid1(VALU_DEP_1)
	v_dual_cndmask_b32 v5, v5, v7 :: v_dual_cndmask_b32 v6, v6, v8
	v_lshl_add_u32 v5, v5, 23, 0x3b800000
	s_delay_alu instid0(VALU_DEP_2) | instskip(NEXT) | instid1(VALU_DEP_1)
	v_lshlrev_b32_e32 v6, 20, v6
	v_or3_b32 v40, v4, v5, v6
.LBB51_188:
	s_or_b32 exec_lo, exec_lo, s3
.LBB51_189:
	s_mov_b32 s2, -1
.LBB51_190:
	s_branch .LBB51_225
.LBB51_191:
	v_cmp_lt_i16_e32 vcc_lo, 22, v3
	s_cbranch_vccz .LBB51_201
; %bb.192:
	v_cmp_gt_i16_e32 vcc_lo, 24, v3
	s_cbranch_vccnz .LBB51_204
; %bb.193:
	v_cmp_lt_i16_e32 vcc_lo, 24, v3
	s_cbranch_vccz .LBB51_205
; %bb.194:
	global_load_u8 v4, v[1:2], off
	s_mov_b32 s2, 0
	s_mov_b32 s4, exec_lo
                                        ; implicit-def: $sgpr3
	s_waitcnt vmcnt(0)
	v_cmpx_lt_i16_e32 0x7f, v4
	s_xor_b32 s4, exec_lo, s4
	s_cbranch_execz .LBB51_217
; %bb.195:
	s_mov_b32 s2, -1
	s_mov_b32 s5, exec_lo
                                        ; implicit-def: $sgpr3
	v_cmpx_eq_u16_e32 0x80, v4
; %bb.196:
	s_mov_b32 s3, 0x7f800001
	s_xor_b32 s2, exec_lo, -1
; %bb.197:
	s_or_b32 exec_lo, exec_lo, s5
	s_delay_alu instid0(SALU_CYCLE_1)
	s_and_b32 s2, s2, exec_lo
	s_or_saveexec_b32 s4, s4
	v_mov_b32_e32 v40, s3
	s_xor_b32 exec_lo, exec_lo, s4
	s_cbranch_execnz .LBB51_218
.LBB51_198:
	s_or_b32 exec_lo, exec_lo, s4
	s_and_saveexec_b32 s3, s2
	s_cbranch_execz .LBB51_200
.LBB51_199:
	v_and_b32_e32 v5, 0xffff, v4
	v_lshlrev_b32_e32 v4, 24, v4
	s_delay_alu instid0(VALU_DEP_2) | instskip(NEXT) | instid1(VALU_DEP_2)
	v_and_b32_e32 v6, 3, v5
	v_and_b32_e32 v4, 0x80000000, v4
	s_delay_alu instid0(VALU_DEP_2) | instskip(NEXT) | instid1(VALU_DEP_1)
	v_clz_i32_u32_e32 v7, v6
	v_min_u32_e32 v7, 32, v7
	s_delay_alu instid0(VALU_DEP_1) | instskip(SKIP_1) | instid1(VALU_DEP_2)
	v_subrev_nc_u32_e32 v8, 29, v7
	v_sub_nc_u32_e32 v7, 30, v7
	v_lshlrev_b32_e32 v8, v8, v5
	v_bfe_u32 v5, v5, 2, 5
	s_delay_alu instid0(VALU_DEP_2) | instskip(NEXT) | instid1(VALU_DEP_2)
	v_and_b32_e32 v8, 3, v8
	v_cmp_eq_u32_e32 vcc_lo, 0, v5
	s_delay_alu instid0(VALU_DEP_2) | instskip(NEXT) | instid1(VALU_DEP_1)
	v_dual_cndmask_b32 v5, v5, v7 :: v_dual_cndmask_b32 v6, v6, v8
	v_lshl_add_u32 v5, v5, 23, 0x37800000
	s_delay_alu instid0(VALU_DEP_2) | instskip(NEXT) | instid1(VALU_DEP_1)
	v_lshlrev_b32_e32 v6, 21, v6
	v_or3_b32 v40, v4, v5, v6
.LBB51_200:
	s_or_b32 exec_lo, exec_lo, s3
	s_mov_b32 s2, 0
	s_branch .LBB51_206
.LBB51_201:
	s_mov_b32 s3, -1
                                        ; implicit-def: $vgpr40
	s_branch .LBB51_212
.LBB51_202:
	s_or_saveexec_b32 s4, s4
	v_mov_b32_e32 v40, s3
	s_xor_b32 exec_lo, exec_lo, s4
	s_cbranch_execz .LBB51_186
.LBB51_203:
	v_cmp_ne_u16_e32 vcc_lo, 0, v4
	v_mov_b32_e32 v40, 0
	s_and_not1_b32 s2, s2, exec_lo
	s_and_b32 s3, vcc_lo, exec_lo
	s_delay_alu instid0(SALU_CYCLE_1)
	s_or_b32 s2, s2, s3
	s_or_b32 exec_lo, exec_lo, s4
	s_and_saveexec_b32 s3, s2
	s_cbranch_execnz .LBB51_187
	s_branch .LBB51_188
.LBB51_204:
	s_mov_b32 s2, -1
                                        ; implicit-def: $vgpr40
	s_branch .LBB51_209
.LBB51_205:
	s_mov_b32 s2, -1
                                        ; implicit-def: $vgpr40
.LBB51_206:
	s_delay_alu instid0(SALU_CYCLE_1)
	s_and_b32 vcc_lo, exec_lo, s2
	s_cbranch_vccz .LBB51_208
; %bb.207:
	global_load_u8 v4, v[1:2], off
	s_waitcnt vmcnt(0)
	v_lshlrev_b32_e32 v4, 24, v4
	s_delay_alu instid0(VALU_DEP_1) | instskip(NEXT) | instid1(VALU_DEP_1)
	v_and_b32_e32 v5, 0x7f000000, v4
	v_clz_i32_u32_e32 v6, v5
	v_add_nc_u32_e32 v8, 0x1000000, v5
	v_cmp_ne_u32_e32 vcc_lo, 0, v5
	s_delay_alu instid0(VALU_DEP_3) | instskip(NEXT) | instid1(VALU_DEP_1)
	v_min_u32_e32 v6, 32, v6
	v_sub_nc_u32_e64 v6, v6, 4 clamp
	s_delay_alu instid0(VALU_DEP_1) | instskip(SKIP_1) | instid1(VALU_DEP_2)
	v_lshlrev_b32_e32 v7, v6, v5
	v_lshlrev_b32_e32 v6, 23, v6
	v_lshrrev_b32_e32 v7, 4, v7
	s_delay_alu instid0(VALU_DEP_1) | instskip(SKIP_1) | instid1(VALU_DEP_2)
	v_sub_nc_u32_e32 v6, v7, v6
	v_ashrrev_i32_e32 v7, 8, v8
	v_add_nc_u32_e32 v6, 0x3c000000, v6
	s_delay_alu instid0(VALU_DEP_1) | instskip(NEXT) | instid1(VALU_DEP_1)
	v_and_or_b32 v6, 0x7f800000, v7, v6
	v_cndmask_b32_e32 v5, 0, v6, vcc_lo
	s_delay_alu instid0(VALU_DEP_1)
	v_and_or_b32 v40, 0x80000000, v4, v5
.LBB51_208:
	s_mov_b32 s2, 0
.LBB51_209:
	s_delay_alu instid0(SALU_CYCLE_1)
	s_and_not1_b32 vcc_lo, exec_lo, s2
	s_cbranch_vccnz .LBB51_211
; %bb.210:
	global_load_u8 v4, v[1:2], off
	s_waitcnt vmcnt(0)
	v_lshlrev_b32_e32 v5, 25, v4
	v_lshlrev_b16 v4, 8, v4
	s_delay_alu instid0(VALU_DEP_2) | instskip(NEXT) | instid1(VALU_DEP_2)
	v_lshrrev_b32_e32 v6, 4, v5
	v_and_or_b32 v7, 0x7f00, v4, 0.5
	v_bfe_i32 v4, v4, 0, 16
	s_delay_alu instid0(VALU_DEP_3) | instskip(NEXT) | instid1(VALU_DEP_1)
	v_or_b32_e32 v6, 0x70000000, v6
	v_dual_add_f32 v7, -0.5, v7 :: v_dual_mul_f32 v6, 0x7800000, v6
	v_cmp_gt_u32_e32 vcc_lo, 0x8000000, v5
	s_delay_alu instid0(VALU_DEP_2) | instskip(NEXT) | instid1(VALU_DEP_1)
	v_cndmask_b32_e32 v5, v6, v7, vcc_lo
	v_and_or_b32 v40, 0x80000000, v4, v5
.LBB51_211:
	s_mov_b32 s3, 0
	s_mov_b32 s2, -1
.LBB51_212:
	s_and_not1_b32 vcc_lo, exec_lo, s3
	s_cbranch_vccnz .LBB51_225
; %bb.213:
	v_cmp_lt_i16_e32 vcc_lo, 14, v3
	s_cbranch_vccz .LBB51_216
; %bb.214:
	v_cmp_eq_u16_e32 vcc_lo, 15, v3
	s_cbranch_vccz .LBB51_219
; %bb.215:
	global_load_u16 v4, v[1:2], off
	s_mov_b32 s2, -1
	s_mov_b32 s73, 0
	s_waitcnt vmcnt(0)
	v_lshlrev_b32_e32 v40, 16, v4
	s_branch .LBB51_220
.LBB51_216:
	s_mov_b32 s3, -1
                                        ; implicit-def: $vgpr40
	s_branch .LBB51_221
.LBB51_217:
	s_or_saveexec_b32 s4, s4
	v_mov_b32_e32 v40, s3
	s_xor_b32 exec_lo, exec_lo, s4
	s_cbranch_execz .LBB51_198
.LBB51_218:
	v_cmp_ne_u16_e32 vcc_lo, 0, v4
	v_mov_b32_e32 v40, 0
	s_and_not1_b32 s2, s2, exec_lo
	s_and_b32 s3, vcc_lo, exec_lo
	s_delay_alu instid0(SALU_CYCLE_1)
	s_or_b32 s2, s2, s3
	s_or_b32 exec_lo, exec_lo, s4
	s_and_saveexec_b32 s3, s2
	s_cbranch_execnz .LBB51_199
	s_branch .LBB51_200
.LBB51_219:
	s_mov_b32 s73, -1
                                        ; implicit-def: $vgpr40
.LBB51_220:
	s_mov_b32 s3, 0
.LBB51_221:
	s_delay_alu instid0(SALU_CYCLE_1)
	s_and_b32 vcc_lo, exec_lo, s3
	s_cbranch_vccz .LBB51_225
; %bb.222:
	v_cmp_eq_u16_e32 vcc_lo, 11, v3
	s_cbranch_vccz .LBB51_224
; %bb.223:
	global_load_u8 v4, v[1:2], off
	s_mov_b32 s73, 0
	s_mov_b32 s2, -1
	s_waitcnt vmcnt(0)
	v_cmp_ne_u16_e32 vcc_lo, 0, v4
	v_cndmask_b32_e64 v40, 0, 1.0, vcc_lo
	s_branch .LBB51_225
.LBB51_224:
	s_mov_b32 s73, -1
                                        ; implicit-def: $vgpr40
.LBB51_225:
	s_branch .LBB51_20
.LBB51_226:
	v_cmp_gt_i16_e32 vcc_lo, 5, v3
	s_cbranch_vccnz .LBB51_231
; %bb.227:
	v_cmp_gt_i16_e32 vcc_lo, 8, v3
	s_cbranch_vccnz .LBB51_232
; %bb.228:
	;; [unrolled: 3-line block ×3, first 2 shown]
	v_cmp_lt_i16_e32 vcc_lo, 9, v3
	s_cbranch_vccz .LBB51_234
; %bb.230:
	global_load_b64 v[4:5], v[1:2], off
	s_mov_b32 s2, 0
	s_waitcnt vmcnt(0)
	v_cvt_f32_f64_e32 v40, v[4:5]
	s_branch .LBB51_235
.LBB51_231:
                                        ; implicit-def: $vgpr40
	s_branch .LBB51_253
.LBB51_232:
	s_mov_b32 s2, -1
                                        ; implicit-def: $vgpr40
	s_branch .LBB51_241
.LBB51_233:
	s_mov_b32 s2, -1
                                        ; implicit-def: $vgpr40
	s_branch .LBB51_238
.LBB51_234:
	s_mov_b32 s2, -1
                                        ; implicit-def: $vgpr40
.LBB51_235:
	s_delay_alu instid0(SALU_CYCLE_1)
	s_and_not1_b32 vcc_lo, exec_lo, s2
	s_cbranch_vccnz .LBB51_237
; %bb.236:
	global_load_b32 v40, v[1:2], off
.LBB51_237:
	s_mov_b32 s2, 0
.LBB51_238:
	s_delay_alu instid0(SALU_CYCLE_1)
	s_and_not1_b32 vcc_lo, exec_lo, s2
	s_cbranch_vccnz .LBB51_240
; %bb.239:
	global_load_b32 v4, v[1:2], off
	s_waitcnt vmcnt(0)
	v_cvt_f32_f16_e32 v40, v4
.LBB51_240:
	s_mov_b32 s2, 0
.LBB51_241:
	s_delay_alu instid0(SALU_CYCLE_1)
	s_and_not1_b32 vcc_lo, exec_lo, s2
	s_cbranch_vccnz .LBB51_252
; %bb.242:
	v_cmp_gt_i16_e32 vcc_lo, 6, v3
	s_cbranch_vccnz .LBB51_245
; %bb.243:
	v_cmp_lt_i16_e32 vcc_lo, 6, v3
	s_cbranch_vccz .LBB51_246
; %bb.244:
	global_load_b64 v[4:5], v[1:2], off
	s_mov_b32 s2, 0
	s_waitcnt vmcnt(0)
	v_cvt_f32_f64_e32 v40, v[4:5]
	s_branch .LBB51_247
.LBB51_245:
	s_mov_b32 s2, -1
                                        ; implicit-def: $vgpr40
	s_branch .LBB51_250
.LBB51_246:
	s_mov_b32 s2, -1
                                        ; implicit-def: $vgpr40
.LBB51_247:
	s_delay_alu instid0(SALU_CYCLE_1)
	s_and_not1_b32 vcc_lo, exec_lo, s2
	s_cbranch_vccnz .LBB51_249
; %bb.248:
	global_load_b32 v40, v[1:2], off
.LBB51_249:
	s_mov_b32 s2, 0
.LBB51_250:
	s_delay_alu instid0(SALU_CYCLE_1)
	s_and_not1_b32 vcc_lo, exec_lo, s2
	s_cbranch_vccnz .LBB51_252
; %bb.251:
	global_load_u16 v4, v[1:2], off
	s_waitcnt vmcnt(0)
	v_cvt_f32_f16_e32 v40, v4
.LBB51_252:
	s_cbranch_execnz .LBB51_272
.LBB51_253:
	v_cmp_gt_i16_e32 vcc_lo, 2, v3
	s_cbranch_vccnz .LBB51_257
; %bb.254:
	v_cmp_gt_i16_e32 vcc_lo, 3, v3
	s_cbranch_vccnz .LBB51_258
; %bb.255:
	v_cmp_lt_i16_e32 vcc_lo, 3, v3
	s_cbranch_vccz .LBB51_259
; %bb.256:
	global_load_b64 v[4:5], v[1:2], off
	s_mov_b32 s2, 0
	s_waitcnt vmcnt(0)
	v_xor_b32_e32 v6, v4, v5
	v_cls_i32_e32 v7, v5
	s_delay_alu instid0(VALU_DEP_2) | instskip(NEXT) | instid1(VALU_DEP_2)
	v_ashrrev_i32_e32 v6, 31, v6
	v_add_nc_u32_e32 v7, -1, v7
	s_delay_alu instid0(VALU_DEP_2) | instskip(NEXT) | instid1(VALU_DEP_1)
	v_add_nc_u32_e32 v6, 32, v6
	v_min_u32_e32 v6, v7, v6
	s_delay_alu instid0(VALU_DEP_1) | instskip(NEXT) | instid1(VALU_DEP_1)
	v_lshlrev_b64 v[4:5], v6, v[4:5]
	v_min_u32_e32 v4, 1, v4
	s_delay_alu instid0(VALU_DEP_1) | instskip(SKIP_1) | instid1(VALU_DEP_2)
	v_or_b32_e32 v4, v5, v4
	v_sub_nc_u32_e32 v5, 32, v6
	v_cvt_f32_i32_e32 v4, v4
	s_delay_alu instid0(VALU_DEP_1)
	v_ldexp_f32 v40, v4, v5
	s_branch .LBB51_260
.LBB51_257:
	s_mov_b32 s2, -1
                                        ; implicit-def: $vgpr40
	s_branch .LBB51_266
.LBB51_258:
	s_mov_b32 s2, -1
                                        ; implicit-def: $vgpr40
	s_branch .LBB51_263
.LBB51_259:
	s_mov_b32 s2, -1
                                        ; implicit-def: $vgpr40
.LBB51_260:
	s_delay_alu instid0(SALU_CYCLE_1)
	s_and_not1_b32 vcc_lo, exec_lo, s2
	s_cbranch_vccnz .LBB51_262
; %bb.261:
	global_load_b32 v4, v[1:2], off
	s_waitcnt vmcnt(0)
	v_cvt_f32_i32_e32 v40, v4
.LBB51_262:
	s_mov_b32 s2, 0
.LBB51_263:
	s_delay_alu instid0(SALU_CYCLE_1)
	s_and_not1_b32 vcc_lo, exec_lo, s2
	s_cbranch_vccnz .LBB51_265
; %bb.264:
	global_load_i16 v4, v[1:2], off
	s_waitcnt vmcnt(0)
	v_cvt_f32_i32_e32 v40, v4
.LBB51_265:
	s_mov_b32 s2, 0
.LBB51_266:
	s_delay_alu instid0(SALU_CYCLE_1)
	s_and_not1_b32 vcc_lo, exec_lo, s2
	s_cbranch_vccnz .LBB51_272
; %bb.267:
	v_cmp_lt_i16_e32 vcc_lo, 0, v3
	s_mov_b32 s2, 0
	s_cbranch_vccz .LBB51_269
; %bb.268:
	global_load_i8 v3, v[1:2], off
	s_waitcnt vmcnt(0)
	v_cvt_f32_i32_e32 v40, v3
	s_branch .LBB51_270
.LBB51_269:
	s_mov_b32 s2, -1
                                        ; implicit-def: $vgpr40
.LBB51_270:
	s_delay_alu instid0(SALU_CYCLE_1)
	s_and_not1_b32 vcc_lo, exec_lo, s2
	s_cbranch_vccnz .LBB51_272
; %bb.271:
	global_load_u8 v1, v[1:2], off
	s_waitcnt vmcnt(0)
	v_cvt_f32_ubyte0_e32 v40, v1
.LBB51_272:
	s_branch .LBB51_21
.LBB51_273:
	s_mov_b32 s2, 0
	s_mov_b32 s72, 0
	s_branch .LBB51_392
.LBB51_274:
	s_mov_b32 s72, -1
.LBB51_275:
	s_mov_b32 s2, 0
                                        ; implicit-def: $vgpr42
.LBB51_276:
	s_and_b32 vcc_lo, exec_lo, s3
	s_cbranch_vccz .LBB51_282
; %bb.277:
	v_cmp_eq_u16_e64 s3, s65, 44
	s_delay_alu instid0(VALU_DEP_1)
	s_and_b32 vcc_lo, exec_lo, s3
	s_cbranch_vccz .LBB51_281
; %bb.278:
	global_load_u8 v2, v[0:1], off
	s_mov_b32 s72, 0
	s_mov_b32 s2, -1
	s_waitcnt vmcnt(0)
	v_lshlrev_b32_e32 v3, 23, v2
	v_cmp_ne_u32_e32 vcc_lo, 0xff, v2
	s_delay_alu instid0(VALU_DEP_2) | instskip(SKIP_1) | instid1(VALU_DEP_2)
	v_cndmask_b32_e32 v3, 0x7f800001, v3, vcc_lo
	v_cmp_ne_u32_e32 vcc_lo, 0, v2
	v_cndmask_b32_e32 v42, 0x400000, v3, vcc_lo
	s_branch .LBB51_282
.LBB51_279:
	s_or_saveexec_b32 s5, s5
                                        ; implicit-def: $sgpr6
	s_delay_alu instid0(SALU_CYCLE_1)
	s_xor_b32 exec_lo, exec_lo, s5
	s_cbranch_execz .LBB51_66
.LBB51_280:
	v_add_f32_e64 v1, 0x46000000, |v0|
	s_and_not1_b32 s4, s4, exec_lo
	s_mov_b32 s6, 0
	s_delay_alu instid0(VALU_DEP_1) | instskip(NEXT) | instid1(VALU_DEP_1)
	v_and_b32_e32 v1, 0xff, v1
	v_cmp_ne_u32_e32 vcc_lo, 0, v1
	s_and_b32 s7, vcc_lo, exec_lo
	s_delay_alu instid0(SALU_CYCLE_1)
	s_or_b32 s4, s4, s7
	s_or_b32 exec_lo, exec_lo, s5
	v_mov_b32_e32 v5, s6
	s_and_saveexec_b32 s5, s4
	s_cbranch_execnz .LBB51_67
	s_branch .LBB51_68
.LBB51_281:
	s_mov_b32 s72, -1
                                        ; implicit-def: $vgpr42
.LBB51_282:
	s_mov_b32 s3, 0
.LBB51_283:
	s_delay_alu instid0(SALU_CYCLE_1)
	s_and_b32 vcc_lo, exec_lo, s3
	s_cbranch_vccz .LBB51_287
; %bb.284:
	v_cmp_eq_u16_e64 s3, s65, 29
	s_delay_alu instid0(VALU_DEP_1)
	s_and_b32 vcc_lo, exec_lo, s3
	s_cbranch_vccz .LBB51_286
; %bb.285:
	global_load_b64 v[2:3], v[0:1], off
	s_mov_b32 s2, -1
	s_mov_b32 s72, 0
	s_mov_b32 s3, 0
	s_waitcnt vmcnt(0)
	v_clz_i32_u32_e32 v4, v3
	s_delay_alu instid0(VALU_DEP_1) | instskip(NEXT) | instid1(VALU_DEP_1)
	v_min_u32_e32 v4, 32, v4
	v_lshlrev_b64 v[2:3], v4, v[2:3]
	s_delay_alu instid0(VALU_DEP_1) | instskip(NEXT) | instid1(VALU_DEP_1)
	v_min_u32_e32 v2, 1, v2
	v_or_b32_e32 v2, v3, v2
	v_sub_nc_u32_e32 v3, 32, v4
	s_delay_alu instid0(VALU_DEP_2) | instskip(NEXT) | instid1(VALU_DEP_1)
	v_cvt_f32_u32_e32 v2, v2
	v_ldexp_f32 v42, v2, v3
	s_branch .LBB51_288
.LBB51_286:
	s_mov_b32 s72, -1
                                        ; implicit-def: $vgpr42
.LBB51_287:
	s_mov_b32 s3, 0
.LBB51_288:
	s_delay_alu instid0(SALU_CYCLE_1)
	s_and_b32 vcc_lo, exec_lo, s3
	s_cbranch_vccz .LBB51_306
; %bb.289:
	v_cmp_lt_i16_e64 s2, s65, 27
	s_delay_alu instid0(VALU_DEP_1)
	s_and_b32 vcc_lo, exec_lo, s2
	s_cbranch_vccnz .LBB51_292
; %bb.290:
	v_cmp_gt_i16_e64 s2, s65, 27
	s_delay_alu instid0(VALU_DEP_1)
	s_and_b32 vcc_lo, exec_lo, s2
	s_cbranch_vccz .LBB51_293
; %bb.291:
	global_load_b32 v2, v[0:1], off
	s_mov_b32 s2, 0
	s_waitcnt vmcnt(0)
	v_cvt_f32_u32_e32 v42, v2
	s_branch .LBB51_294
.LBB51_292:
	s_mov_b32 s2, -1
                                        ; implicit-def: $vgpr42
	s_branch .LBB51_297
.LBB51_293:
	s_mov_b32 s2, -1
                                        ; implicit-def: $vgpr42
.LBB51_294:
	s_delay_alu instid0(SALU_CYCLE_1)
	s_and_not1_b32 vcc_lo, exec_lo, s2
	s_cbranch_vccnz .LBB51_296
; %bb.295:
	global_load_u16 v2, v[0:1], off
	s_waitcnt vmcnt(0)
	v_cvt_f32_u32_e32 v42, v2
.LBB51_296:
	s_mov_b32 s2, 0
.LBB51_297:
	s_delay_alu instid0(SALU_CYCLE_1)
	s_and_not1_b32 vcc_lo, exec_lo, s2
	s_cbranch_vccnz .LBB51_305
; %bb.298:
	global_load_u8 v2, v[0:1], off
	s_mov_b32 s2, 0
	s_mov_b32 s4, exec_lo
                                        ; implicit-def: $sgpr3
	s_waitcnt vmcnt(0)
	v_cmpx_lt_i16_e32 0x7f, v2
	s_xor_b32 s4, exec_lo, s4
	s_cbranch_execz .LBB51_319
; %bb.299:
	s_mov_b32 s2, -1
	s_mov_b32 s5, exec_lo
                                        ; implicit-def: $sgpr3
	v_cmpx_eq_u16_e32 0x80, v2
; %bb.300:
	s_mov_b32 s3, 0x7f800001
	s_xor_b32 s2, exec_lo, -1
; %bb.301:
	s_or_b32 exec_lo, exec_lo, s5
	s_delay_alu instid0(SALU_CYCLE_1)
	s_and_b32 s2, s2, exec_lo
	s_or_saveexec_b32 s4, s4
	v_mov_b32_e32 v42, s3
	s_xor_b32 exec_lo, exec_lo, s4
	s_cbranch_execnz .LBB51_320
.LBB51_302:
	s_or_b32 exec_lo, exec_lo, s4
	s_and_saveexec_b32 s3, s2
	s_cbranch_execz .LBB51_304
.LBB51_303:
	v_and_b32_e32 v3, 0xffff, v2
	v_lshlrev_b32_e32 v2, 24, v2
	s_delay_alu instid0(VALU_DEP_2) | instskip(NEXT) | instid1(VALU_DEP_2)
	v_and_b32_e32 v4, 7, v3
	v_and_b32_e32 v2, 0x80000000, v2
	s_delay_alu instid0(VALU_DEP_2) | instskip(NEXT) | instid1(VALU_DEP_1)
	v_clz_i32_u32_e32 v5, v4
	v_min_u32_e32 v5, 32, v5
	s_delay_alu instid0(VALU_DEP_1) | instskip(SKIP_1) | instid1(VALU_DEP_2)
	v_subrev_nc_u32_e32 v6, 28, v5
	v_sub_nc_u32_e32 v5, 29, v5
	v_lshlrev_b32_e32 v6, v6, v3
	v_bfe_u32 v3, v3, 3, 4
	s_delay_alu instid0(VALU_DEP_2) | instskip(NEXT) | instid1(VALU_DEP_2)
	v_and_b32_e32 v6, 7, v6
	v_cmp_eq_u32_e32 vcc_lo, 0, v3
	s_delay_alu instid0(VALU_DEP_2) | instskip(NEXT) | instid1(VALU_DEP_1)
	v_dual_cndmask_b32 v3, v3, v5 :: v_dual_cndmask_b32 v4, v4, v6
	v_lshl_add_u32 v3, v3, 23, 0x3b800000
	s_delay_alu instid0(VALU_DEP_2) | instskip(NEXT) | instid1(VALU_DEP_1)
	v_lshlrev_b32_e32 v4, 20, v4
	v_or3_b32 v42, v2, v3, v4
.LBB51_304:
	s_or_b32 exec_lo, exec_lo, s3
.LBB51_305:
	s_mov_b32 s2, -1
.LBB51_306:
	s_mov_b32 s3, 0
.LBB51_307:
	s_delay_alu instid0(SALU_CYCLE_1)
	s_and_b32 vcc_lo, exec_lo, s3
	s_cbranch_vccz .LBB51_342
; %bb.308:
	v_cmp_gt_i16_e64 s3, s65, 22
	s_delay_alu instid0(VALU_DEP_1)
	s_and_b32 vcc_lo, exec_lo, s3
	s_cbranch_vccz .LBB51_318
; %bb.309:
	v_cmp_lt_i16_e64 s2, s65, 24
	s_delay_alu instid0(VALU_DEP_1)
	s_and_b32 vcc_lo, exec_lo, s2
	s_cbranch_vccnz .LBB51_321
; %bb.310:
	v_cmp_gt_i16_e64 s2, s65, 24
	s_delay_alu instid0(VALU_DEP_1)
	s_and_b32 vcc_lo, exec_lo, s2
	s_cbranch_vccz .LBB51_322
; %bb.311:
	global_load_u8 v2, v[0:1], off
	s_mov_b32 s2, 0
	s_mov_b32 s4, exec_lo
                                        ; implicit-def: $sgpr3
	s_waitcnt vmcnt(0)
	v_cmpx_lt_i16_e32 0x7f, v2
	s_xor_b32 s4, exec_lo, s4
	s_cbranch_execz .LBB51_334
; %bb.312:
	s_mov_b32 s2, -1
	s_mov_b32 s5, exec_lo
                                        ; implicit-def: $sgpr3
	v_cmpx_eq_u16_e32 0x80, v2
; %bb.313:
	s_mov_b32 s3, 0x7f800001
	s_xor_b32 s2, exec_lo, -1
; %bb.314:
	s_or_b32 exec_lo, exec_lo, s5
	s_delay_alu instid0(SALU_CYCLE_1)
	s_and_b32 s2, s2, exec_lo
	s_or_saveexec_b32 s4, s4
	v_mov_b32_e32 v42, s3
	s_xor_b32 exec_lo, exec_lo, s4
	s_cbranch_execnz .LBB51_335
.LBB51_315:
	s_or_b32 exec_lo, exec_lo, s4
	s_and_saveexec_b32 s3, s2
	s_cbranch_execz .LBB51_317
.LBB51_316:
	v_and_b32_e32 v3, 0xffff, v2
	v_lshlrev_b32_e32 v2, 24, v2
	s_delay_alu instid0(VALU_DEP_2) | instskip(NEXT) | instid1(VALU_DEP_2)
	v_and_b32_e32 v4, 3, v3
	v_and_b32_e32 v2, 0x80000000, v2
	s_delay_alu instid0(VALU_DEP_2) | instskip(NEXT) | instid1(VALU_DEP_1)
	v_clz_i32_u32_e32 v5, v4
	v_min_u32_e32 v5, 32, v5
	s_delay_alu instid0(VALU_DEP_1) | instskip(SKIP_1) | instid1(VALU_DEP_2)
	v_subrev_nc_u32_e32 v6, 29, v5
	v_sub_nc_u32_e32 v5, 30, v5
	v_lshlrev_b32_e32 v6, v6, v3
	v_bfe_u32 v3, v3, 2, 5
	s_delay_alu instid0(VALU_DEP_2) | instskip(NEXT) | instid1(VALU_DEP_2)
	v_and_b32_e32 v6, 3, v6
	v_cmp_eq_u32_e32 vcc_lo, 0, v3
	s_delay_alu instid0(VALU_DEP_2) | instskip(NEXT) | instid1(VALU_DEP_1)
	v_dual_cndmask_b32 v3, v3, v5 :: v_dual_cndmask_b32 v4, v4, v6
	v_lshl_add_u32 v3, v3, 23, 0x37800000
	s_delay_alu instid0(VALU_DEP_2) | instskip(NEXT) | instid1(VALU_DEP_1)
	v_lshlrev_b32_e32 v4, 21, v4
	v_or3_b32 v42, v2, v3, v4
.LBB51_317:
	s_or_b32 exec_lo, exec_lo, s3
	s_mov_b32 s2, 0
	s_branch .LBB51_323
.LBB51_318:
	s_mov_b32 s3, -1
                                        ; implicit-def: $vgpr42
	s_branch .LBB51_329
.LBB51_319:
	s_or_saveexec_b32 s4, s4
	v_mov_b32_e32 v42, s3
	s_xor_b32 exec_lo, exec_lo, s4
	s_cbranch_execz .LBB51_302
.LBB51_320:
	v_cmp_ne_u16_e32 vcc_lo, 0, v2
	v_mov_b32_e32 v42, 0
	s_and_not1_b32 s2, s2, exec_lo
	s_and_b32 s3, vcc_lo, exec_lo
	s_delay_alu instid0(SALU_CYCLE_1)
	s_or_b32 s2, s2, s3
	s_or_b32 exec_lo, exec_lo, s4
	s_and_saveexec_b32 s3, s2
	s_cbranch_execnz .LBB51_303
	s_branch .LBB51_304
.LBB51_321:
	s_mov_b32 s2, -1
                                        ; implicit-def: $vgpr42
	s_branch .LBB51_326
.LBB51_322:
	s_mov_b32 s2, -1
                                        ; implicit-def: $vgpr42
.LBB51_323:
	s_delay_alu instid0(SALU_CYCLE_1)
	s_and_b32 vcc_lo, exec_lo, s2
	s_cbranch_vccz .LBB51_325
; %bb.324:
	global_load_u8 v2, v[0:1], off
	s_waitcnt vmcnt(0)
	v_lshlrev_b32_e32 v2, 24, v2
	s_delay_alu instid0(VALU_DEP_1) | instskip(NEXT) | instid1(VALU_DEP_1)
	v_and_b32_e32 v3, 0x7f000000, v2
	v_clz_i32_u32_e32 v4, v3
	v_add_nc_u32_e32 v6, 0x1000000, v3
	v_cmp_ne_u32_e32 vcc_lo, 0, v3
	s_delay_alu instid0(VALU_DEP_3) | instskip(NEXT) | instid1(VALU_DEP_1)
	v_min_u32_e32 v4, 32, v4
	v_sub_nc_u32_e64 v4, v4, 4 clamp
	s_delay_alu instid0(VALU_DEP_1) | instskip(SKIP_1) | instid1(VALU_DEP_2)
	v_lshlrev_b32_e32 v5, v4, v3
	v_lshlrev_b32_e32 v4, 23, v4
	v_lshrrev_b32_e32 v5, 4, v5
	s_delay_alu instid0(VALU_DEP_1) | instskip(SKIP_1) | instid1(VALU_DEP_2)
	v_sub_nc_u32_e32 v4, v5, v4
	v_ashrrev_i32_e32 v5, 8, v6
	v_add_nc_u32_e32 v4, 0x3c000000, v4
	s_delay_alu instid0(VALU_DEP_1) | instskip(NEXT) | instid1(VALU_DEP_1)
	v_and_or_b32 v4, 0x7f800000, v5, v4
	v_cndmask_b32_e32 v3, 0, v4, vcc_lo
	s_delay_alu instid0(VALU_DEP_1)
	v_and_or_b32 v42, 0x80000000, v2, v3
.LBB51_325:
	s_mov_b32 s2, 0
.LBB51_326:
	s_delay_alu instid0(SALU_CYCLE_1)
	s_and_not1_b32 vcc_lo, exec_lo, s2
	s_cbranch_vccnz .LBB51_328
; %bb.327:
	global_load_u8 v2, v[0:1], off
	s_waitcnt vmcnt(0)
	v_lshlrev_b32_e32 v3, 25, v2
	v_lshlrev_b16 v2, 8, v2
	s_delay_alu instid0(VALU_DEP_2) | instskip(NEXT) | instid1(VALU_DEP_2)
	v_lshrrev_b32_e32 v4, 4, v3
	v_and_or_b32 v5, 0x7f00, v2, 0.5
	v_bfe_i32 v2, v2, 0, 16
	s_delay_alu instid0(VALU_DEP_3) | instskip(NEXT) | instid1(VALU_DEP_1)
	v_or_b32_e32 v4, 0x70000000, v4
	v_dual_add_f32 v5, -0.5, v5 :: v_dual_mul_f32 v4, 0x7800000, v4
	v_cmp_gt_u32_e32 vcc_lo, 0x8000000, v3
	s_delay_alu instid0(VALU_DEP_2) | instskip(NEXT) | instid1(VALU_DEP_1)
	v_cndmask_b32_e32 v3, v4, v5, vcc_lo
	v_and_or_b32 v42, 0x80000000, v2, v3
.LBB51_328:
	s_mov_b32 s3, 0
	s_mov_b32 s2, -1
.LBB51_329:
	s_and_not1_b32 vcc_lo, exec_lo, s3
	s_cbranch_vccnz .LBB51_342
; %bb.330:
	v_cmp_gt_i16_e64 s3, s65, 14
	s_delay_alu instid0(VALU_DEP_1)
	s_and_b32 vcc_lo, exec_lo, s3
	s_cbranch_vccz .LBB51_333
; %bb.331:
	v_cmp_eq_u16_e64 s3, s65, 15
	s_delay_alu instid0(VALU_DEP_1)
	s_and_b32 vcc_lo, exec_lo, s3
	s_cbranch_vccz .LBB51_336
; %bb.332:
	global_load_u16 v2, v[0:1], off
	s_mov_b32 s2, -1
	s_mov_b32 s72, 0
	s_waitcnt vmcnt(0)
	v_lshlrev_b32_e32 v42, 16, v2
	s_branch .LBB51_337
.LBB51_333:
	s_mov_b32 s3, -1
                                        ; implicit-def: $vgpr42
	s_branch .LBB51_338
.LBB51_334:
	s_or_saveexec_b32 s4, s4
	v_mov_b32_e32 v42, s3
	s_xor_b32 exec_lo, exec_lo, s4
	s_cbranch_execz .LBB51_315
.LBB51_335:
	v_cmp_ne_u16_e32 vcc_lo, 0, v2
	v_mov_b32_e32 v42, 0
	s_and_not1_b32 s2, s2, exec_lo
	s_and_b32 s3, vcc_lo, exec_lo
	s_delay_alu instid0(SALU_CYCLE_1)
	s_or_b32 s2, s2, s3
	s_or_b32 exec_lo, exec_lo, s4
	s_and_saveexec_b32 s3, s2
	s_cbranch_execnz .LBB51_316
	s_branch .LBB51_317
.LBB51_336:
	s_mov_b32 s72, -1
                                        ; implicit-def: $vgpr42
.LBB51_337:
	s_mov_b32 s3, 0
.LBB51_338:
	s_delay_alu instid0(SALU_CYCLE_1)
	s_and_b32 vcc_lo, exec_lo, s3
	s_cbranch_vccz .LBB51_342
; %bb.339:
	v_cmp_eq_u16_e64 s3, s65, 11
	s_delay_alu instid0(VALU_DEP_1)
	s_and_b32 vcc_lo, exec_lo, s3
	s_cbranch_vccz .LBB51_341
; %bb.340:
	global_load_u8 v2, v[0:1], off
	s_mov_b32 s72, 0
	s_mov_b32 s2, -1
	s_waitcnt vmcnt(0)
	v_cmp_ne_u16_e32 vcc_lo, 0, v2
	v_cndmask_b32_e64 v42, 0, 1.0, vcc_lo
	s_branch .LBB51_342
.LBB51_341:
	s_mov_b32 s72, -1
                                        ; implicit-def: $vgpr42
.LBB51_342:
	s_branch .LBB51_30
.LBB51_343:
	v_cmp_lt_i16_e64 s2, s65, 5
	s_delay_alu instid0(VALU_DEP_1)
	s_and_b32 vcc_lo, exec_lo, s2
	s_cbranch_vccnz .LBB51_348
; %bb.344:
	v_cmp_lt_i16_e64 s2, s65, 8
	s_delay_alu instid0(VALU_DEP_1)
	s_and_b32 vcc_lo, exec_lo, s2
	s_cbranch_vccnz .LBB51_349
; %bb.345:
	;; [unrolled: 5-line block ×3, first 2 shown]
	v_cmp_gt_i16_e64 s2, s65, 9
	s_delay_alu instid0(VALU_DEP_1)
	s_and_b32 vcc_lo, exec_lo, s2
	s_cbranch_vccz .LBB51_351
; %bb.347:
	global_load_b64 v[2:3], v[0:1], off
	s_mov_b32 s2, 0
	s_waitcnt vmcnt(0)
	v_cvt_f32_f64_e32 v42, v[2:3]
	s_branch .LBB51_352
.LBB51_348:
	s_mov_b32 s2, -1
                                        ; implicit-def: $vgpr42
	s_branch .LBB51_370
.LBB51_349:
	s_mov_b32 s2, -1
                                        ; implicit-def: $vgpr42
	s_branch .LBB51_358
.LBB51_350:
	s_mov_b32 s2, -1
                                        ; implicit-def: $vgpr42
	s_branch .LBB51_355
.LBB51_351:
	s_mov_b32 s2, -1
                                        ; implicit-def: $vgpr42
.LBB51_352:
	s_delay_alu instid0(SALU_CYCLE_1)
	s_and_not1_b32 vcc_lo, exec_lo, s2
	s_cbranch_vccnz .LBB51_354
; %bb.353:
	global_load_b32 v42, v[0:1], off
.LBB51_354:
	s_mov_b32 s2, 0
.LBB51_355:
	s_delay_alu instid0(SALU_CYCLE_1)
	s_and_not1_b32 vcc_lo, exec_lo, s2
	s_cbranch_vccnz .LBB51_357
; %bb.356:
	global_load_b32 v2, v[0:1], off
	s_waitcnt vmcnt(0)
	v_cvt_f32_f16_e32 v42, v2
.LBB51_357:
	s_mov_b32 s2, 0
.LBB51_358:
	s_delay_alu instid0(SALU_CYCLE_1)
	s_and_not1_b32 vcc_lo, exec_lo, s2
	s_cbranch_vccnz .LBB51_369
; %bb.359:
	v_cmp_lt_i16_e64 s2, s65, 6
	s_delay_alu instid0(VALU_DEP_1)
	s_and_b32 vcc_lo, exec_lo, s2
	s_cbranch_vccnz .LBB51_362
; %bb.360:
	v_cmp_gt_i16_e64 s2, s65, 6
	s_delay_alu instid0(VALU_DEP_1)
	s_and_b32 vcc_lo, exec_lo, s2
	s_cbranch_vccz .LBB51_363
; %bb.361:
	global_load_b64 v[2:3], v[0:1], off
	s_mov_b32 s2, 0
	s_waitcnt vmcnt(0)
	v_cvt_f32_f64_e32 v42, v[2:3]
	s_branch .LBB51_364
.LBB51_362:
	s_mov_b32 s2, -1
                                        ; implicit-def: $vgpr42
	s_branch .LBB51_367
.LBB51_363:
	s_mov_b32 s2, -1
                                        ; implicit-def: $vgpr42
.LBB51_364:
	s_delay_alu instid0(SALU_CYCLE_1)
	s_and_not1_b32 vcc_lo, exec_lo, s2
	s_cbranch_vccnz .LBB51_366
; %bb.365:
	global_load_b32 v42, v[0:1], off
.LBB51_366:
	s_mov_b32 s2, 0
.LBB51_367:
	s_delay_alu instid0(SALU_CYCLE_1)
	s_and_not1_b32 vcc_lo, exec_lo, s2
	s_cbranch_vccnz .LBB51_369
; %bb.368:
	global_load_u16 v2, v[0:1], off
	s_waitcnt vmcnt(0)
	v_cvt_f32_f16_e32 v42, v2
.LBB51_369:
	s_mov_b32 s2, 0
.LBB51_370:
	s_delay_alu instid0(SALU_CYCLE_1)
	s_and_not1_b32 vcc_lo, exec_lo, s2
	s_cbranch_vccnz .LBB51_390
; %bb.371:
	v_cmp_lt_i16_e64 s2, s65, 2
	s_delay_alu instid0(VALU_DEP_1)
	s_and_b32 vcc_lo, exec_lo, s2
	s_cbranch_vccnz .LBB51_375
; %bb.372:
	v_cmp_lt_i16_e64 s2, s65, 3
	s_delay_alu instid0(VALU_DEP_1)
	s_and_b32 vcc_lo, exec_lo, s2
	s_cbranch_vccnz .LBB51_376
; %bb.373:
	v_cmp_gt_i16_e64 s2, s65, 3
	s_delay_alu instid0(VALU_DEP_1)
	s_and_b32 vcc_lo, exec_lo, s2
	s_cbranch_vccz .LBB51_377
; %bb.374:
	global_load_b64 v[2:3], v[0:1], off
	s_mov_b32 s2, 0
	s_waitcnt vmcnt(0)
	v_xor_b32_e32 v4, v2, v3
	v_cls_i32_e32 v5, v3
	s_delay_alu instid0(VALU_DEP_2) | instskip(NEXT) | instid1(VALU_DEP_2)
	v_ashrrev_i32_e32 v4, 31, v4
	v_add_nc_u32_e32 v5, -1, v5
	s_delay_alu instid0(VALU_DEP_2) | instskip(NEXT) | instid1(VALU_DEP_1)
	v_add_nc_u32_e32 v4, 32, v4
	v_min_u32_e32 v4, v5, v4
	s_delay_alu instid0(VALU_DEP_1) | instskip(NEXT) | instid1(VALU_DEP_1)
	v_lshlrev_b64 v[2:3], v4, v[2:3]
	v_min_u32_e32 v2, 1, v2
	s_delay_alu instid0(VALU_DEP_1) | instskip(SKIP_1) | instid1(VALU_DEP_2)
	v_or_b32_e32 v2, v3, v2
	v_sub_nc_u32_e32 v3, 32, v4
	v_cvt_f32_i32_e32 v2, v2
	s_delay_alu instid0(VALU_DEP_1)
	v_ldexp_f32 v42, v2, v3
	s_branch .LBB51_378
.LBB51_375:
	s_mov_b32 s2, -1
                                        ; implicit-def: $vgpr42
	s_branch .LBB51_384
.LBB51_376:
	s_mov_b32 s2, -1
                                        ; implicit-def: $vgpr42
	s_branch .LBB51_381
.LBB51_377:
	s_mov_b32 s2, -1
                                        ; implicit-def: $vgpr42
.LBB51_378:
	s_delay_alu instid0(SALU_CYCLE_1)
	s_and_not1_b32 vcc_lo, exec_lo, s2
	s_cbranch_vccnz .LBB51_380
; %bb.379:
	global_load_b32 v2, v[0:1], off
	s_waitcnt vmcnt(0)
	v_cvt_f32_i32_e32 v42, v2
.LBB51_380:
	s_mov_b32 s2, 0
.LBB51_381:
	s_delay_alu instid0(SALU_CYCLE_1)
	s_and_not1_b32 vcc_lo, exec_lo, s2
	s_cbranch_vccnz .LBB51_383
; %bb.382:
	global_load_i16 v2, v[0:1], off
	s_waitcnt vmcnt(0)
	v_cvt_f32_i32_e32 v42, v2
.LBB51_383:
	s_mov_b32 s2, 0
.LBB51_384:
	s_delay_alu instid0(SALU_CYCLE_1)
	s_and_not1_b32 vcc_lo, exec_lo, s2
	s_cbranch_vccnz .LBB51_390
; %bb.385:
	v_cmp_gt_i16_e64 s2, s65, 0
	s_delay_alu instid0(VALU_DEP_1)
	s_and_b32 vcc_lo, exec_lo, s2
	s_mov_b32 s2, 0
	s_cbranch_vccz .LBB51_387
; %bb.386:
	global_load_i8 v2, v[0:1], off
	s_waitcnt vmcnt(0)
	v_cvt_f32_i32_e32 v42, v2
	s_branch .LBB51_388
.LBB51_387:
	s_mov_b32 s2, -1
                                        ; implicit-def: $vgpr42
.LBB51_388:
	s_delay_alu instid0(SALU_CYCLE_1)
	s_and_not1_b32 vcc_lo, exec_lo, s2
	s_cbranch_vccnz .LBB51_390
; %bb.389:
	global_load_u8 v0, v[0:1], off
	s_waitcnt vmcnt(0)
	v_cvt_f32_ubyte0_e32 v42, v0
.LBB51_390:
	s_branch .LBB51_31
.LBB51_391:
	s_mov_b32 s2, 0
.LBB51_392:
	s_mov_b32 s3, 0
                                        ; implicit-def: $vgpr46
.LBB51_393:
	s_and_b32 s71, s2, exec_lo
	s_and_b32 s72, s72, exec_lo
	s_and_b32 s73, s73, exec_lo
	s_or_not1_b32 s2, s3, exec_lo
.LBB51_394:
	s_or_b32 exec_lo, exec_lo, s74
	s_mov_b32 s4, 0
	s_mov_b32 s3, 0
                                        ; implicit-def: $vgpr3
                                        ; implicit-def: $vgpr1_vgpr2
                                        ; implicit-def: $vgpr43
                                        ; implicit-def: $vgpr0
                                        ; implicit-def: $vgpr40
	s_and_saveexec_b32 s74, s2
	s_cbranch_execz .LBB51_1296
; %bb.395:
	s_mov_b32 s4, -1
	s_mov_b32 s75, s73
	s_mov_b32 s77, s72
	;; [unrolled: 1-line block ×3, first 2 shown]
	s_mov_b32 s78, exec_lo
	v_cmpx_gt_i32_e64 s69, v46
	s_cbranch_execz .LBB51_721
; %bb.396:
	s_and_not1_b32 vcc_lo, exec_lo, s61
	s_cbranch_vccnz .LBB51_402
; %bb.397:
	v_dual_mov_b32 v43, 0 :: v_dual_mov_b32 v0, 0
	v_mov_b32_e32 v1, 0
	s_and_not1_b32 vcc_lo, exec_lo, s70
	s_mov_b32 s4, 0
	s_cbranch_vccnz .LBB51_403
; %bb.398:
	s_add_i32 s2, s68, 1
	v_dual_mov_b32 v0, 0 :: v_dual_mov_b32 v1, 0
	v_dual_mov_b32 v43, 0 :: v_dual_mov_b32 v2, v46
	s_and_b32 s5, s2, 30
	s_add_u32 s2, s48, 0xffffffec
	s_addc_u32 s3, s49, -1
	s_set_inst_prefetch_distance 0x1
	.p2align	6
.LBB51_399:                             ; =>This Inner Loop Header: Depth=1
	s_clause 0x2
	s_load_b128 s[8:11], s[2:3], 0x18
	s_load_b64 s[6:7], s[2:3], 0x28
	s_load_b128 s[12:15], s[2:3], 0xd8
	s_waitcnt lgkmcnt(0)
	v_mul_hi_u32 v3, s9, v2
	s_delay_alu instid0(VALU_DEP_1) | instskip(NEXT) | instid1(VALU_DEP_1)
	v_add_nc_u32_e32 v3, v2, v3
	v_lshrrev_b32_e32 v3, s10, v3
	s_delay_alu instid0(VALU_DEP_1)
	v_mul_hi_u32 v4, s6, v3
	v_mul_lo_u32 v5, v3, s8
	s_load_b64 s[8:9], s[2:3], 0xe8
	s_add_u32 s2, s2, 24
	s_addc_u32 s3, s3, 0
	s_add_i32 s5, s5, -2
	s_delay_alu instid0(SALU_CYCLE_1) | instskip(NEXT) | instid1(VALU_DEP_2)
	s_cmp_eq_u32 s5, 0
	v_add_nc_u32_e32 v4, v3, v4
	s_delay_alu instid0(VALU_DEP_2) | instskip(NEXT) | instid1(VALU_DEP_2)
	v_sub_nc_u32_e32 v5, v2, v5
	v_lshrrev_b32_e32 v2, s7, v4
	s_delay_alu instid0(VALU_DEP_2) | instskip(NEXT) | instid1(VALU_DEP_2)
	v_mul_lo_u32 v6, v5, s12
	v_mul_lo_u32 v4, v2, s11
	s_delay_alu instid0(VALU_DEP_1) | instskip(SKIP_2) | instid1(VALU_DEP_3)
	v_sub_nc_u32_e32 v3, v3, v4
	v_mul_lo_u32 v4, v5, s13
	v_mul_lo_u32 v5, v5, s14
	;; [unrolled: 1-line block ×3, first 2 shown]
	s_waitcnt lgkmcnt(0)
	v_mul_lo_u32 v8, v3, s8
	v_mul_lo_u32 v3, v3, s9
	s_delay_alu instid0(VALU_DEP_3) | instskip(NEXT) | instid1(VALU_DEP_3)
	v_add3_u32 v43, v6, v43, v7
	v_add3_u32 v1, v4, v1, v8
	s_delay_alu instid0(VALU_DEP_3)
	v_add3_u32 v0, v5, v0, v3
	s_cbranch_scc0 .LBB51_399
; %bb.400:
	s_set_inst_prefetch_distance 0x2
	s_bitcmp1_b32 s68, 0
	s_cselect_b32 s5, -1, 0
	s_delay_alu instid0(SALU_CYCLE_1)
	s_and_b32 vcc_lo, exec_lo, s5
	s_cbranch_vccnz .LBB51_403
; %bb.401:
	s_clause 0x3
	s_load_b64 s[6:7], s[2:3], 0x18
	s_load_b32 s5, s[2:3], 0x20
	s_load_b64 s[8:9], s[2:3], 0xd8
	s_load_b32 s2, s[2:3], 0xe0
	s_waitcnt lgkmcnt(0)
	v_mul_hi_u32 v3, s7, v2
	s_delay_alu instid0(VALU_DEP_1) | instskip(NEXT) | instid1(VALU_DEP_1)
	v_add_nc_u32_e32 v3, v2, v3
	v_lshrrev_b32_e32 v3, s5, v3
	s_delay_alu instid0(VALU_DEP_1) | instskip(NEXT) | instid1(VALU_DEP_1)
	v_mul_lo_u32 v3, v3, s6
	v_sub_nc_u32_e32 v6, v2, v3
	s_delay_alu instid0(VALU_DEP_1) | instskip(NEXT) | instid1(VALU_DEP_1)
	v_mad_u64_u32 v[2:3], null, v6, s8, v[43:44]
	v_mad_u64_u32 v[3:4], null, v6, s9, v[1:2]
	;; [unrolled: 1-line block ×3, first 2 shown]
	v_mov_b32_e32 v43, v2
	s_delay_alu instid0(VALU_DEP_2)
	v_dual_mov_b32 v1, v3 :: v_dual_mov_b32 v0, v4
	s_branch .LBB51_403
.LBB51_402:
                                        ; implicit-def: $vgpr43
                                        ; implicit-def: $vgpr1
                                        ; implicit-def: $vgpr0
.LBB51_403:
	s_and_not1_b32 vcc_lo, exec_lo, s4
	s_cbranch_vccnz .LBB51_406
; %bb.404:
	v_mul_hi_u32 v0, s45, v46
	s_and_not1_b32 vcc_lo, exec_lo, s67
	s_delay_alu instid0(VALU_DEP_1) | instskip(NEXT) | instid1(VALU_DEP_1)
	v_add_nc_u32_e32 v0, v46, v0
	v_lshrrev_b32_e32 v2, s46, v0
	s_delay_alu instid0(VALU_DEP_1) | instskip(NEXT) | instid1(VALU_DEP_1)
	v_mul_lo_u32 v0, v2, s44
	v_sub_nc_u32_e32 v0, v46, v0
	s_delay_alu instid0(VALU_DEP_1)
	v_mul_lo_u32 v43, v0, s40
	v_mul_lo_u32 v1, v0, s41
	;; [unrolled: 1-line block ×3, first 2 shown]
	s_cbranch_vccnz .LBB51_406
; %bb.405:
	v_mul_hi_u32 v3, s54, v2
	s_delay_alu instid0(VALU_DEP_1) | instskip(NEXT) | instid1(VALU_DEP_1)
	v_add_nc_u32_e32 v3, v2, v3
	v_lshrrev_b32_e32 v3, s55, v3
	s_delay_alu instid0(VALU_DEP_1) | instskip(NEXT) | instid1(VALU_DEP_1)
	v_mul_lo_u32 v3, v3, s47
	v_sub_nc_u32_e32 v6, v2, v3
	s_delay_alu instid0(VALU_DEP_1) | instskip(NEXT) | instid1(VALU_DEP_1)
	v_mad_u64_u32 v[2:3], null, v6, s43, v[43:44]
	v_mad_u64_u32 v[3:4], null, v6, s52, v[1:2]
	;; [unrolled: 1-line block ×3, first 2 shown]
	v_mov_b32_e32 v43, v2
	s_delay_alu instid0(VALU_DEP_2)
	v_dual_mov_b32 v1, v3 :: v_dual_mov_b32 v0, v4
.LBB51_406:
	v_and_b32_e64 v3, 0xff, s66
	s_delay_alu instid0(VALU_DEP_2) | instskip(NEXT) | instid1(VALU_DEP_1)
	v_add_co_u32 v1, s2, s38, v1
	v_add_co_ci_u32_e64 v2, null, s39, 0, s2
	s_delay_alu instid0(VALU_DEP_3)
	v_cmp_gt_i16_e32 vcc_lo, 11, v3
	s_mov_b32 s2, 0
	s_cbranch_vccnz .LBB51_413
; %bb.407:
	v_cmp_lt_i16_e32 vcc_lo, 25, v3
	s_cbranch_vccz .LBB51_422
; %bb.408:
	v_cmp_lt_i16_e32 vcc_lo, 28, v3
	s_cbranch_vccz .LBB51_424
	;; [unrolled: 3-line block ×4, first 2 shown]
; %bb.411:
	v_cmp_eq_u16_e32 vcc_lo, 46, v3
	s_mov_b32 s3, 0
	s_cbranch_vccz .LBB51_430
; %bb.412:
	global_load_b32 v4, v[1:2], off
	s_mov_b32 s2, -1
	s_mov_b32 s75, 0
	s_waitcnt vmcnt(0)
	v_lshlrev_b32_e32 v40, 16, v4
	s_branch .LBB51_432
.LBB51_413:
	s_mov_b32 s75, s73
                                        ; implicit-def: $vgpr40
	s_cbranch_execnz .LBB51_498
.LBB51_414:
	s_and_not1_b32 vcc_lo, exec_lo, s2
	s_cbranch_vccnz .LBB51_546
.LBB51_415:
	v_cmp_lt_i16_e64 s2, s65, 11
	v_add_co_u32 v0, s3, s50, v0
	s_delay_alu instid0(VALU_DEP_1) | instskip(NEXT) | instid1(VALU_DEP_3)
	v_add_co_ci_u32_e64 v1, null, s51, 0, s3
	s_and_b32 vcc_lo, exec_lo, s2
	s_mov_b32 s2, 0
	s_cbranch_vccnz .LBB51_423
; %bb.416:
	v_cmp_gt_i16_e64 s2, s65, 25
	s_delay_alu instid0(VALU_DEP_1)
	s_and_b32 vcc_lo, exec_lo, s2
	s_cbranch_vccz .LBB51_425
; %bb.417:
	v_cmp_gt_i16_e64 s2, s65, 28
	s_delay_alu instid0(VALU_DEP_1)
	s_and_b32 vcc_lo, exec_lo, s2
	s_cbranch_vccz .LBB51_427
	;; [unrolled: 5-line block ×4, first 2 shown]
; %bb.420:
	v_cmp_eq_u16_e64 s2, s65, 46
	s_mov_b32 s3, 0
	s_delay_alu instid0(VALU_DEP_1)
	s_and_b32 vcc_lo, exec_lo, s2
	s_cbranch_vccz .LBB51_549
; %bb.421:
	global_load_b32 v2, v[0:1], off
	s_mov_b32 s2, -1
	s_mov_b32 s77, 0
	s_waitcnt vmcnt(0)
	v_lshlrev_b32_e32 v42, 16, v2
	s_branch .LBB51_551
.LBB51_422:
	s_mov_b32 s3, -1
	s_mov_b32 s75, s73
                                        ; implicit-def: $vgpr40
	s_branch .LBB51_462
.LBB51_423:
	s_mov_b32 s3, -1
	s_mov_b32 s77, s72
                                        ; implicit-def: $vgpr42
	s_branch .LBB51_616
.LBB51_424:
	s_mov_b32 s3, -1
	s_mov_b32 s75, s73
                                        ; implicit-def: $vgpr40
	s_branch .LBB51_443
.LBB51_425:
	s_mov_b32 s3, -1
	s_mov_b32 s2, 0
	s_mov_b32 s77, s72
                                        ; implicit-def: $vgpr42
	s_branch .LBB51_580
.LBB51_426:
	s_mov_b32 s3, -1
	s_mov_b32 s75, s73
                                        ; implicit-def: $vgpr40
	s_branch .LBB51_438
.LBB51_427:
	s_mov_b32 s3, -1
	s_mov_b32 s2, 0
	s_mov_b32 s77, s72
                                        ; implicit-def: $vgpr42
	s_branch .LBB51_561
.LBB51_428:
	s_mov_b32 s3, -1
	s_mov_b32 s75, s73
	s_branch .LBB51_431
.LBB51_429:
	s_mov_b32 s3, -1
	s_mov_b32 s2, 0
	s_mov_b32 s77, s72
                                        ; implicit-def: $vgpr42
	s_branch .LBB51_556
.LBB51_430:
	s_mov_b32 s75, -1
.LBB51_431:
                                        ; implicit-def: $vgpr40
.LBB51_432:
	s_and_b32 vcc_lo, exec_lo, s3
	s_cbranch_vccz .LBB51_437
; %bb.433:
	v_cmp_eq_u16_e32 vcc_lo, 44, v3
	s_cbranch_vccz .LBB51_436
; %bb.434:
	global_load_u8 v4, v[1:2], off
	s_mov_b32 s75, 0
	s_mov_b32 s2, -1
	s_waitcnt vmcnt(0)
	v_lshlrev_b32_e32 v5, 23, v4
	v_cmp_ne_u32_e32 vcc_lo, 0xff, v4
	s_delay_alu instid0(VALU_DEP_2) | instskip(SKIP_1) | instid1(VALU_DEP_2)
	v_cndmask_b32_e32 v5, 0x7f800001, v5, vcc_lo
	v_cmp_ne_u32_e32 vcc_lo, 0, v4
	v_cndmask_b32_e32 v40, 0x400000, v5, vcc_lo
	s_branch .LBB51_437
.LBB51_435:
	s_mov_b32 s3, -1
	s_mov_b32 s2, 0
	s_mov_b32 s77, s72
	s_branch .LBB51_550
.LBB51_436:
	s_mov_b32 s75, -1
                                        ; implicit-def: $vgpr40
.LBB51_437:
	s_mov_b32 s3, 0
.LBB51_438:
	s_delay_alu instid0(SALU_CYCLE_1)
	s_and_b32 vcc_lo, exec_lo, s3
	s_cbranch_vccz .LBB51_442
; %bb.439:
	v_cmp_eq_u16_e32 vcc_lo, 29, v3
	s_cbranch_vccz .LBB51_441
; %bb.440:
	global_load_b64 v[4:5], v[1:2], off
	s_mov_b32 s2, -1
	s_mov_b32 s75, 0
	s_mov_b32 s3, 0
	s_waitcnt vmcnt(0)
	v_clz_i32_u32_e32 v6, v5
	s_delay_alu instid0(VALU_DEP_1) | instskip(NEXT) | instid1(VALU_DEP_1)
	v_min_u32_e32 v6, 32, v6
	v_lshlrev_b64 v[4:5], v6, v[4:5]
	s_delay_alu instid0(VALU_DEP_1) | instskip(NEXT) | instid1(VALU_DEP_1)
	v_min_u32_e32 v4, 1, v4
	v_or_b32_e32 v4, v5, v4
	v_sub_nc_u32_e32 v5, 32, v6
	s_delay_alu instid0(VALU_DEP_2) | instskip(NEXT) | instid1(VALU_DEP_1)
	v_cvt_f32_u32_e32 v4, v4
	v_ldexp_f32 v40, v4, v5
	s_branch .LBB51_443
.LBB51_441:
	s_mov_b32 s75, -1
                                        ; implicit-def: $vgpr40
.LBB51_442:
	s_mov_b32 s3, 0
.LBB51_443:
	s_delay_alu instid0(SALU_CYCLE_1)
	s_and_b32 vcc_lo, exec_lo, s3
	s_cbranch_vccz .LBB51_461
; %bb.444:
	v_cmp_gt_i16_e32 vcc_lo, 27, v3
	s_cbranch_vccnz .LBB51_447
; %bb.445:
	v_cmp_lt_i16_e32 vcc_lo, 27, v3
	s_cbranch_vccz .LBB51_448
; %bb.446:
	global_load_b32 v4, v[1:2], off
	s_mov_b32 s2, 0
	s_waitcnt vmcnt(0)
	v_cvt_f32_u32_e32 v40, v4
	s_branch .LBB51_449
.LBB51_447:
	s_mov_b32 s2, -1
                                        ; implicit-def: $vgpr40
	s_branch .LBB51_452
.LBB51_448:
	s_mov_b32 s2, -1
                                        ; implicit-def: $vgpr40
.LBB51_449:
	s_delay_alu instid0(SALU_CYCLE_1)
	s_and_not1_b32 vcc_lo, exec_lo, s2
	s_cbranch_vccnz .LBB51_451
; %bb.450:
	global_load_u16 v4, v[1:2], off
	s_waitcnt vmcnt(0)
	v_cvt_f32_u32_e32 v40, v4
.LBB51_451:
	s_mov_b32 s2, 0
.LBB51_452:
	s_delay_alu instid0(SALU_CYCLE_1)
	s_and_not1_b32 vcc_lo, exec_lo, s2
	s_cbranch_vccnz .LBB51_460
; %bb.453:
	global_load_u8 v4, v[1:2], off
	s_mov_b32 s2, 0
	s_mov_b32 s4, exec_lo
                                        ; implicit-def: $sgpr3
	s_waitcnt vmcnt(0)
	v_cmpx_lt_i16_e32 0x7f, v4
	s_xor_b32 s4, exec_lo, s4
	s_cbranch_execz .LBB51_474
; %bb.454:
	s_mov_b32 s2, -1
	s_mov_b32 s5, exec_lo
                                        ; implicit-def: $sgpr3
	v_cmpx_eq_u16_e32 0x80, v4
; %bb.455:
	s_mov_b32 s3, 0x7f800001
	s_xor_b32 s2, exec_lo, -1
; %bb.456:
	s_or_b32 exec_lo, exec_lo, s5
	s_delay_alu instid0(SALU_CYCLE_1)
	s_and_b32 s2, s2, exec_lo
	s_or_saveexec_b32 s4, s4
	v_mov_b32_e32 v40, s3
	s_xor_b32 exec_lo, exec_lo, s4
	s_cbranch_execnz .LBB51_475
.LBB51_457:
	s_or_b32 exec_lo, exec_lo, s4
	s_and_saveexec_b32 s3, s2
	s_cbranch_execz .LBB51_459
.LBB51_458:
	v_and_b32_e32 v5, 0xffff, v4
	v_lshlrev_b32_e32 v4, 24, v4
	s_delay_alu instid0(VALU_DEP_2) | instskip(NEXT) | instid1(VALU_DEP_2)
	v_and_b32_e32 v6, 7, v5
	v_and_b32_e32 v4, 0x80000000, v4
	s_delay_alu instid0(VALU_DEP_2) | instskip(NEXT) | instid1(VALU_DEP_1)
	v_clz_i32_u32_e32 v7, v6
	v_min_u32_e32 v7, 32, v7
	s_delay_alu instid0(VALU_DEP_1) | instskip(SKIP_1) | instid1(VALU_DEP_2)
	v_subrev_nc_u32_e32 v8, 28, v7
	v_sub_nc_u32_e32 v7, 29, v7
	v_lshlrev_b32_e32 v8, v8, v5
	v_bfe_u32 v5, v5, 3, 4
	s_delay_alu instid0(VALU_DEP_2) | instskip(NEXT) | instid1(VALU_DEP_2)
	v_and_b32_e32 v8, 7, v8
	v_cmp_eq_u32_e32 vcc_lo, 0, v5
	s_delay_alu instid0(VALU_DEP_2) | instskip(NEXT) | instid1(VALU_DEP_1)
	v_dual_cndmask_b32 v5, v5, v7 :: v_dual_cndmask_b32 v6, v6, v8
	v_lshl_add_u32 v5, v5, 23, 0x3b800000
	s_delay_alu instid0(VALU_DEP_2) | instskip(NEXT) | instid1(VALU_DEP_1)
	v_lshlrev_b32_e32 v6, 20, v6
	v_or3_b32 v40, v4, v5, v6
.LBB51_459:
	s_or_b32 exec_lo, exec_lo, s3
.LBB51_460:
	s_mov_b32 s2, -1
.LBB51_461:
	s_mov_b32 s3, 0
.LBB51_462:
	s_delay_alu instid0(SALU_CYCLE_1)
	s_and_b32 vcc_lo, exec_lo, s3
	s_cbranch_vccz .LBB51_497
; %bb.463:
	v_cmp_lt_i16_e32 vcc_lo, 22, v3
	s_cbranch_vccz .LBB51_473
; %bb.464:
	v_cmp_gt_i16_e32 vcc_lo, 24, v3
	s_cbranch_vccnz .LBB51_476
; %bb.465:
	v_cmp_lt_i16_e32 vcc_lo, 24, v3
	s_cbranch_vccz .LBB51_477
; %bb.466:
	global_load_u8 v4, v[1:2], off
	s_mov_b32 s2, 0
	s_mov_b32 s4, exec_lo
                                        ; implicit-def: $sgpr3
	s_waitcnt vmcnt(0)
	v_cmpx_lt_i16_e32 0x7f, v4
	s_xor_b32 s4, exec_lo, s4
	s_cbranch_execz .LBB51_489
; %bb.467:
	s_mov_b32 s2, -1
	s_mov_b32 s5, exec_lo
                                        ; implicit-def: $sgpr3
	v_cmpx_eq_u16_e32 0x80, v4
; %bb.468:
	s_mov_b32 s3, 0x7f800001
	s_xor_b32 s2, exec_lo, -1
; %bb.469:
	s_or_b32 exec_lo, exec_lo, s5
	s_delay_alu instid0(SALU_CYCLE_1)
	s_and_b32 s2, s2, exec_lo
	s_or_saveexec_b32 s4, s4
	v_mov_b32_e32 v40, s3
	s_xor_b32 exec_lo, exec_lo, s4
	s_cbranch_execnz .LBB51_490
.LBB51_470:
	s_or_b32 exec_lo, exec_lo, s4
	s_and_saveexec_b32 s3, s2
	s_cbranch_execz .LBB51_472
.LBB51_471:
	v_and_b32_e32 v5, 0xffff, v4
	v_lshlrev_b32_e32 v4, 24, v4
	s_delay_alu instid0(VALU_DEP_2) | instskip(NEXT) | instid1(VALU_DEP_2)
	v_and_b32_e32 v6, 3, v5
	v_and_b32_e32 v4, 0x80000000, v4
	s_delay_alu instid0(VALU_DEP_2) | instskip(NEXT) | instid1(VALU_DEP_1)
	v_clz_i32_u32_e32 v7, v6
	v_min_u32_e32 v7, 32, v7
	s_delay_alu instid0(VALU_DEP_1) | instskip(SKIP_1) | instid1(VALU_DEP_2)
	v_subrev_nc_u32_e32 v8, 29, v7
	v_sub_nc_u32_e32 v7, 30, v7
	v_lshlrev_b32_e32 v8, v8, v5
	v_bfe_u32 v5, v5, 2, 5
	s_delay_alu instid0(VALU_DEP_2) | instskip(NEXT) | instid1(VALU_DEP_2)
	v_and_b32_e32 v8, 3, v8
	v_cmp_eq_u32_e32 vcc_lo, 0, v5
	s_delay_alu instid0(VALU_DEP_2) | instskip(NEXT) | instid1(VALU_DEP_1)
	v_dual_cndmask_b32 v5, v5, v7 :: v_dual_cndmask_b32 v6, v6, v8
	v_lshl_add_u32 v5, v5, 23, 0x37800000
	s_delay_alu instid0(VALU_DEP_2) | instskip(NEXT) | instid1(VALU_DEP_1)
	v_lshlrev_b32_e32 v6, 21, v6
	v_or3_b32 v40, v4, v5, v6
.LBB51_472:
	s_or_b32 exec_lo, exec_lo, s3
	s_mov_b32 s2, 0
	s_branch .LBB51_478
.LBB51_473:
	s_mov_b32 s3, -1
                                        ; implicit-def: $vgpr40
	s_branch .LBB51_484
.LBB51_474:
	s_or_saveexec_b32 s4, s4
	v_mov_b32_e32 v40, s3
	s_xor_b32 exec_lo, exec_lo, s4
	s_cbranch_execz .LBB51_457
.LBB51_475:
	v_cmp_ne_u16_e32 vcc_lo, 0, v4
	v_mov_b32_e32 v40, 0
	s_and_not1_b32 s2, s2, exec_lo
	s_and_b32 s3, vcc_lo, exec_lo
	s_delay_alu instid0(SALU_CYCLE_1)
	s_or_b32 s2, s2, s3
	s_or_b32 exec_lo, exec_lo, s4
	s_and_saveexec_b32 s3, s2
	s_cbranch_execnz .LBB51_458
	s_branch .LBB51_459
.LBB51_476:
	s_mov_b32 s2, -1
                                        ; implicit-def: $vgpr40
	s_branch .LBB51_481
.LBB51_477:
	s_mov_b32 s2, -1
                                        ; implicit-def: $vgpr40
.LBB51_478:
	s_delay_alu instid0(SALU_CYCLE_1)
	s_and_b32 vcc_lo, exec_lo, s2
	s_cbranch_vccz .LBB51_480
; %bb.479:
	global_load_u8 v4, v[1:2], off
	s_waitcnt vmcnt(0)
	v_lshlrev_b32_e32 v4, 24, v4
	s_delay_alu instid0(VALU_DEP_1) | instskip(NEXT) | instid1(VALU_DEP_1)
	v_and_b32_e32 v5, 0x7f000000, v4
	v_clz_i32_u32_e32 v6, v5
	v_add_nc_u32_e32 v8, 0x1000000, v5
	v_cmp_ne_u32_e32 vcc_lo, 0, v5
	s_delay_alu instid0(VALU_DEP_3) | instskip(NEXT) | instid1(VALU_DEP_1)
	v_min_u32_e32 v6, 32, v6
	v_sub_nc_u32_e64 v6, v6, 4 clamp
	s_delay_alu instid0(VALU_DEP_1) | instskip(SKIP_1) | instid1(VALU_DEP_2)
	v_lshlrev_b32_e32 v7, v6, v5
	v_lshlrev_b32_e32 v6, 23, v6
	v_lshrrev_b32_e32 v7, 4, v7
	s_delay_alu instid0(VALU_DEP_1) | instskip(SKIP_1) | instid1(VALU_DEP_2)
	v_sub_nc_u32_e32 v6, v7, v6
	v_ashrrev_i32_e32 v7, 8, v8
	v_add_nc_u32_e32 v6, 0x3c000000, v6
	s_delay_alu instid0(VALU_DEP_1) | instskip(NEXT) | instid1(VALU_DEP_1)
	v_and_or_b32 v6, 0x7f800000, v7, v6
	v_cndmask_b32_e32 v5, 0, v6, vcc_lo
	s_delay_alu instid0(VALU_DEP_1)
	v_and_or_b32 v40, 0x80000000, v4, v5
.LBB51_480:
	s_mov_b32 s2, 0
.LBB51_481:
	s_delay_alu instid0(SALU_CYCLE_1)
	s_and_not1_b32 vcc_lo, exec_lo, s2
	s_cbranch_vccnz .LBB51_483
; %bb.482:
	global_load_u8 v4, v[1:2], off
	s_waitcnt vmcnt(0)
	v_lshlrev_b32_e32 v5, 25, v4
	v_lshlrev_b16 v4, 8, v4
	s_delay_alu instid0(VALU_DEP_2) | instskip(NEXT) | instid1(VALU_DEP_2)
	v_lshrrev_b32_e32 v6, 4, v5
	v_and_or_b32 v7, 0x7f00, v4, 0.5
	v_bfe_i32 v4, v4, 0, 16
	s_delay_alu instid0(VALU_DEP_3) | instskip(NEXT) | instid1(VALU_DEP_1)
	v_or_b32_e32 v6, 0x70000000, v6
	v_dual_add_f32 v7, -0.5, v7 :: v_dual_mul_f32 v6, 0x7800000, v6
	v_cmp_gt_u32_e32 vcc_lo, 0x8000000, v5
	s_delay_alu instid0(VALU_DEP_2) | instskip(NEXT) | instid1(VALU_DEP_1)
	v_cndmask_b32_e32 v5, v6, v7, vcc_lo
	v_and_or_b32 v40, 0x80000000, v4, v5
.LBB51_483:
	s_mov_b32 s3, 0
	s_mov_b32 s2, -1
.LBB51_484:
	s_and_not1_b32 vcc_lo, exec_lo, s3
	s_cbranch_vccnz .LBB51_497
; %bb.485:
	v_cmp_lt_i16_e32 vcc_lo, 14, v3
	s_cbranch_vccz .LBB51_488
; %bb.486:
	v_cmp_eq_u16_e32 vcc_lo, 15, v3
	s_cbranch_vccz .LBB51_491
; %bb.487:
	global_load_u16 v4, v[1:2], off
	s_mov_b32 s2, -1
	s_mov_b32 s75, 0
	s_waitcnt vmcnt(0)
	v_lshlrev_b32_e32 v40, 16, v4
	s_branch .LBB51_492
.LBB51_488:
	s_mov_b32 s3, -1
                                        ; implicit-def: $vgpr40
	s_branch .LBB51_493
.LBB51_489:
	s_or_saveexec_b32 s4, s4
	v_mov_b32_e32 v40, s3
	s_xor_b32 exec_lo, exec_lo, s4
	s_cbranch_execz .LBB51_470
.LBB51_490:
	v_cmp_ne_u16_e32 vcc_lo, 0, v4
	v_mov_b32_e32 v40, 0
	s_and_not1_b32 s2, s2, exec_lo
	s_and_b32 s3, vcc_lo, exec_lo
	s_delay_alu instid0(SALU_CYCLE_1)
	s_or_b32 s2, s2, s3
	s_or_b32 exec_lo, exec_lo, s4
	s_and_saveexec_b32 s3, s2
	s_cbranch_execnz .LBB51_471
	s_branch .LBB51_472
.LBB51_491:
	s_mov_b32 s75, -1
                                        ; implicit-def: $vgpr40
.LBB51_492:
	s_mov_b32 s3, 0
.LBB51_493:
	s_delay_alu instid0(SALU_CYCLE_1)
	s_and_b32 vcc_lo, exec_lo, s3
	s_cbranch_vccz .LBB51_497
; %bb.494:
	v_cmp_eq_u16_e32 vcc_lo, 11, v3
	s_cbranch_vccz .LBB51_496
; %bb.495:
	global_load_u8 v4, v[1:2], off
	s_mov_b32 s75, 0
	s_mov_b32 s2, -1
	s_waitcnt vmcnt(0)
	v_cmp_ne_u16_e32 vcc_lo, 0, v4
	v_cndmask_b32_e64 v40, 0, 1.0, vcc_lo
	s_branch .LBB51_497
.LBB51_496:
	s_mov_b32 s75, -1
                                        ; implicit-def: $vgpr40
.LBB51_497:
	s_branch .LBB51_414
.LBB51_498:
	v_cmp_gt_i16_e32 vcc_lo, 5, v3
	s_cbranch_vccnz .LBB51_503
; %bb.499:
	v_cmp_gt_i16_e32 vcc_lo, 8, v3
	s_cbranch_vccnz .LBB51_504
; %bb.500:
	;; [unrolled: 3-line block ×3, first 2 shown]
	v_cmp_lt_i16_e32 vcc_lo, 9, v3
	s_cbranch_vccz .LBB51_506
; %bb.502:
	global_load_b64 v[4:5], v[1:2], off
	s_mov_b32 s2, 0
	s_waitcnt vmcnt(0)
	v_cvt_f32_f64_e32 v40, v[4:5]
	s_branch .LBB51_507
.LBB51_503:
	s_mov_b32 s2, -1
                                        ; implicit-def: $vgpr40
	s_branch .LBB51_525
.LBB51_504:
	s_mov_b32 s2, -1
                                        ; implicit-def: $vgpr40
	s_branch .LBB51_513
.LBB51_505:
	s_mov_b32 s2, -1
                                        ; implicit-def: $vgpr40
	s_branch .LBB51_510
.LBB51_506:
	s_mov_b32 s2, -1
                                        ; implicit-def: $vgpr40
.LBB51_507:
	s_delay_alu instid0(SALU_CYCLE_1)
	s_and_not1_b32 vcc_lo, exec_lo, s2
	s_cbranch_vccnz .LBB51_509
; %bb.508:
	global_load_b32 v40, v[1:2], off
.LBB51_509:
	s_mov_b32 s2, 0
.LBB51_510:
	s_delay_alu instid0(SALU_CYCLE_1)
	s_and_not1_b32 vcc_lo, exec_lo, s2
	s_cbranch_vccnz .LBB51_512
; %bb.511:
	global_load_b32 v4, v[1:2], off
	s_waitcnt vmcnt(0)
	v_cvt_f32_f16_e32 v40, v4
.LBB51_512:
	s_mov_b32 s2, 0
.LBB51_513:
	s_delay_alu instid0(SALU_CYCLE_1)
	s_and_not1_b32 vcc_lo, exec_lo, s2
	s_cbranch_vccnz .LBB51_524
; %bb.514:
	v_cmp_gt_i16_e32 vcc_lo, 6, v3
	s_cbranch_vccnz .LBB51_517
; %bb.515:
	v_cmp_lt_i16_e32 vcc_lo, 6, v3
	s_cbranch_vccz .LBB51_518
; %bb.516:
	global_load_b64 v[4:5], v[1:2], off
	s_mov_b32 s2, 0
	s_waitcnt vmcnt(0)
	v_cvt_f32_f64_e32 v40, v[4:5]
	s_branch .LBB51_519
.LBB51_517:
	s_mov_b32 s2, -1
                                        ; implicit-def: $vgpr40
	s_branch .LBB51_522
.LBB51_518:
	s_mov_b32 s2, -1
                                        ; implicit-def: $vgpr40
.LBB51_519:
	s_delay_alu instid0(SALU_CYCLE_1)
	s_and_not1_b32 vcc_lo, exec_lo, s2
	s_cbranch_vccnz .LBB51_521
; %bb.520:
	global_load_b32 v40, v[1:2], off
.LBB51_521:
	s_mov_b32 s2, 0
.LBB51_522:
	s_delay_alu instid0(SALU_CYCLE_1)
	s_and_not1_b32 vcc_lo, exec_lo, s2
	s_cbranch_vccnz .LBB51_524
; %bb.523:
	global_load_u16 v4, v[1:2], off
	s_waitcnt vmcnt(0)
	v_cvt_f32_f16_e32 v40, v4
.LBB51_524:
	s_mov_b32 s2, 0
.LBB51_525:
	s_delay_alu instid0(SALU_CYCLE_1)
	s_and_not1_b32 vcc_lo, exec_lo, s2
	s_cbranch_vccnz .LBB51_545
; %bb.526:
	v_cmp_gt_i16_e32 vcc_lo, 2, v3
	s_cbranch_vccnz .LBB51_530
; %bb.527:
	v_cmp_gt_i16_e32 vcc_lo, 3, v3
	s_cbranch_vccnz .LBB51_531
; %bb.528:
	v_cmp_lt_i16_e32 vcc_lo, 3, v3
	s_cbranch_vccz .LBB51_532
; %bb.529:
	global_load_b64 v[4:5], v[1:2], off
	s_mov_b32 s2, 0
	s_waitcnt vmcnt(0)
	v_xor_b32_e32 v6, v4, v5
	v_cls_i32_e32 v7, v5
	s_delay_alu instid0(VALU_DEP_2) | instskip(NEXT) | instid1(VALU_DEP_2)
	v_ashrrev_i32_e32 v6, 31, v6
	v_add_nc_u32_e32 v7, -1, v7
	s_delay_alu instid0(VALU_DEP_2) | instskip(NEXT) | instid1(VALU_DEP_1)
	v_add_nc_u32_e32 v6, 32, v6
	v_min_u32_e32 v6, v7, v6
	s_delay_alu instid0(VALU_DEP_1) | instskip(NEXT) | instid1(VALU_DEP_1)
	v_lshlrev_b64 v[4:5], v6, v[4:5]
	v_min_u32_e32 v4, 1, v4
	s_delay_alu instid0(VALU_DEP_1) | instskip(SKIP_1) | instid1(VALU_DEP_2)
	v_or_b32_e32 v4, v5, v4
	v_sub_nc_u32_e32 v5, 32, v6
	v_cvt_f32_i32_e32 v4, v4
	s_delay_alu instid0(VALU_DEP_1)
	v_ldexp_f32 v40, v4, v5
	s_branch .LBB51_533
.LBB51_530:
	s_mov_b32 s2, -1
                                        ; implicit-def: $vgpr40
	s_branch .LBB51_539
.LBB51_531:
	s_mov_b32 s2, -1
                                        ; implicit-def: $vgpr40
	s_branch .LBB51_536
.LBB51_532:
	s_mov_b32 s2, -1
                                        ; implicit-def: $vgpr40
.LBB51_533:
	s_delay_alu instid0(SALU_CYCLE_1)
	s_and_not1_b32 vcc_lo, exec_lo, s2
	s_cbranch_vccnz .LBB51_535
; %bb.534:
	global_load_b32 v4, v[1:2], off
	s_waitcnt vmcnt(0)
	v_cvt_f32_i32_e32 v40, v4
.LBB51_535:
	s_mov_b32 s2, 0
.LBB51_536:
	s_delay_alu instid0(SALU_CYCLE_1)
	s_and_not1_b32 vcc_lo, exec_lo, s2
	s_cbranch_vccnz .LBB51_538
; %bb.537:
	global_load_i16 v4, v[1:2], off
	s_waitcnt vmcnt(0)
	v_cvt_f32_i32_e32 v40, v4
.LBB51_538:
	s_mov_b32 s2, 0
.LBB51_539:
	s_delay_alu instid0(SALU_CYCLE_1)
	s_and_not1_b32 vcc_lo, exec_lo, s2
	s_cbranch_vccnz .LBB51_545
; %bb.540:
	v_cmp_lt_i16_e32 vcc_lo, 0, v3
	s_mov_b32 s2, 0
	s_cbranch_vccz .LBB51_542
; %bb.541:
	global_load_i8 v3, v[1:2], off
	s_waitcnt vmcnt(0)
	v_cvt_f32_i32_e32 v40, v3
	s_branch .LBB51_543
.LBB51_542:
	s_mov_b32 s2, -1
                                        ; implicit-def: $vgpr40
.LBB51_543:
	s_delay_alu instid0(SALU_CYCLE_1)
	s_and_not1_b32 vcc_lo, exec_lo, s2
	s_cbranch_vccnz .LBB51_545
; %bb.544:
	global_load_u8 v1, v[1:2], off
	s_waitcnt vmcnt(0)
	v_cvt_f32_ubyte0_e32 v40, v1
.LBB51_545:
	s_branch .LBB51_415
.LBB51_546:
	s_mov_b32 s3, 0
	s_mov_b32 s2, s71
	;; [unrolled: 1-line block ×3, first 2 shown]
	s_branch .LBB51_719
.LBB51_547:
	s_or_saveexec_b32 s5, s5
                                        ; implicit-def: $sgpr6
	s_delay_alu instid0(SALU_CYCLE_1)
	s_xor_b32 exec_lo, exec_lo, s5
	s_cbranch_execz .LBB51_79
.LBB51_548:
	v_add_f32_e64 v1, 0x42800000, |v0|
	s_and_not1_b32 s4, s4, exec_lo
	s_mov_b32 s6, 0
	s_delay_alu instid0(VALU_DEP_1) | instskip(NEXT) | instid1(VALU_DEP_1)
	v_and_b32_e32 v1, 0xff, v1
	v_cmp_ne_u32_e32 vcc_lo, 0, v1
	s_and_b32 s7, vcc_lo, exec_lo
	s_delay_alu instid0(SALU_CYCLE_1)
	s_or_b32 s4, s4, s7
	s_or_b32 exec_lo, exec_lo, s5
	v_mov_b32_e32 v5, s6
	s_and_saveexec_b32 s5, s4
	s_cbranch_execnz .LBB51_80
	s_branch .LBB51_81
.LBB51_549:
	s_mov_b32 s77, -1
	s_mov_b32 s2, 0
.LBB51_550:
                                        ; implicit-def: $vgpr42
.LBB51_551:
	s_and_b32 vcc_lo, exec_lo, s3
	s_cbranch_vccz .LBB51_555
; %bb.552:
	v_cmp_eq_u16_e64 s3, s65, 44
	s_delay_alu instid0(VALU_DEP_1)
	s_and_b32 vcc_lo, exec_lo, s3
	s_cbranch_vccz .LBB51_554
; %bb.553:
	global_load_u8 v2, v[0:1], off
	s_mov_b32 s77, 0
	s_mov_b32 s2, -1
	s_waitcnt vmcnt(0)
	v_lshlrev_b32_e32 v3, 23, v2
	v_cmp_ne_u32_e32 vcc_lo, 0xff, v2
	s_delay_alu instid0(VALU_DEP_2) | instskip(SKIP_1) | instid1(VALU_DEP_2)
	v_cndmask_b32_e32 v3, 0x7f800001, v3, vcc_lo
	v_cmp_ne_u32_e32 vcc_lo, 0, v2
	v_cndmask_b32_e32 v42, 0x400000, v3, vcc_lo
	s_branch .LBB51_555
.LBB51_554:
	s_mov_b32 s77, -1
                                        ; implicit-def: $vgpr42
.LBB51_555:
	s_mov_b32 s3, 0
.LBB51_556:
	s_delay_alu instid0(SALU_CYCLE_1)
	s_and_b32 vcc_lo, exec_lo, s3
	s_cbranch_vccz .LBB51_560
; %bb.557:
	v_cmp_eq_u16_e64 s3, s65, 29
	s_delay_alu instid0(VALU_DEP_1)
	s_and_b32 vcc_lo, exec_lo, s3
	s_cbranch_vccz .LBB51_559
; %bb.558:
	global_load_b64 v[2:3], v[0:1], off
	s_mov_b32 s2, -1
	s_mov_b32 s77, 0
	s_mov_b32 s3, 0
	s_waitcnt vmcnt(0)
	v_clz_i32_u32_e32 v4, v3
	s_delay_alu instid0(VALU_DEP_1) | instskip(NEXT) | instid1(VALU_DEP_1)
	v_min_u32_e32 v4, 32, v4
	v_lshlrev_b64 v[2:3], v4, v[2:3]
	s_delay_alu instid0(VALU_DEP_1) | instskip(NEXT) | instid1(VALU_DEP_1)
	v_min_u32_e32 v2, 1, v2
	v_or_b32_e32 v2, v3, v2
	v_sub_nc_u32_e32 v3, 32, v4
	s_delay_alu instid0(VALU_DEP_2) | instskip(NEXT) | instid1(VALU_DEP_1)
	v_cvt_f32_u32_e32 v2, v2
	v_ldexp_f32 v42, v2, v3
	s_branch .LBB51_561
.LBB51_559:
	s_mov_b32 s77, -1
                                        ; implicit-def: $vgpr42
.LBB51_560:
	s_mov_b32 s3, 0
.LBB51_561:
	s_delay_alu instid0(SALU_CYCLE_1)
	s_and_b32 vcc_lo, exec_lo, s3
	s_cbranch_vccz .LBB51_579
; %bb.562:
	v_cmp_lt_i16_e64 s2, s65, 27
	s_delay_alu instid0(VALU_DEP_1)
	s_and_b32 vcc_lo, exec_lo, s2
	s_cbranch_vccnz .LBB51_565
; %bb.563:
	v_cmp_gt_i16_e64 s2, s65, 27
	s_delay_alu instid0(VALU_DEP_1)
	s_and_b32 vcc_lo, exec_lo, s2
	s_cbranch_vccz .LBB51_566
; %bb.564:
	global_load_b32 v2, v[0:1], off
	s_mov_b32 s2, 0
	s_waitcnt vmcnt(0)
	v_cvt_f32_u32_e32 v42, v2
	s_branch .LBB51_567
.LBB51_565:
	s_mov_b32 s2, -1
                                        ; implicit-def: $vgpr42
	s_branch .LBB51_570
.LBB51_566:
	s_mov_b32 s2, -1
                                        ; implicit-def: $vgpr42
.LBB51_567:
	s_delay_alu instid0(SALU_CYCLE_1)
	s_and_not1_b32 vcc_lo, exec_lo, s2
	s_cbranch_vccnz .LBB51_569
; %bb.568:
	global_load_u16 v2, v[0:1], off
	s_waitcnt vmcnt(0)
	v_cvt_f32_u32_e32 v42, v2
.LBB51_569:
	s_mov_b32 s2, 0
.LBB51_570:
	s_delay_alu instid0(SALU_CYCLE_1)
	s_and_not1_b32 vcc_lo, exec_lo, s2
	s_cbranch_vccnz .LBB51_578
; %bb.571:
	global_load_u8 v2, v[0:1], off
	s_mov_b32 s2, 0
	s_mov_b32 s4, exec_lo
                                        ; implicit-def: $sgpr3
	s_waitcnt vmcnt(0)
	v_cmpx_lt_i16_e32 0x7f, v2
	s_xor_b32 s4, exec_lo, s4
	s_cbranch_execz .LBB51_592
; %bb.572:
	s_mov_b32 s2, -1
	s_mov_b32 s5, exec_lo
                                        ; implicit-def: $sgpr3
	v_cmpx_eq_u16_e32 0x80, v2
; %bb.573:
	s_mov_b32 s3, 0x7f800001
	s_xor_b32 s2, exec_lo, -1
; %bb.574:
	s_or_b32 exec_lo, exec_lo, s5
	s_delay_alu instid0(SALU_CYCLE_1)
	s_and_b32 s2, s2, exec_lo
	s_or_saveexec_b32 s4, s4
	v_mov_b32_e32 v42, s3
	s_xor_b32 exec_lo, exec_lo, s4
	s_cbranch_execnz .LBB51_593
.LBB51_575:
	s_or_b32 exec_lo, exec_lo, s4
	s_and_saveexec_b32 s3, s2
	s_cbranch_execz .LBB51_577
.LBB51_576:
	v_and_b32_e32 v3, 0xffff, v2
	v_lshlrev_b32_e32 v2, 24, v2
	s_delay_alu instid0(VALU_DEP_2) | instskip(NEXT) | instid1(VALU_DEP_2)
	v_and_b32_e32 v4, 7, v3
	v_and_b32_e32 v2, 0x80000000, v2
	s_delay_alu instid0(VALU_DEP_2) | instskip(NEXT) | instid1(VALU_DEP_1)
	v_clz_i32_u32_e32 v5, v4
	v_min_u32_e32 v5, 32, v5
	s_delay_alu instid0(VALU_DEP_1) | instskip(SKIP_1) | instid1(VALU_DEP_2)
	v_subrev_nc_u32_e32 v6, 28, v5
	v_sub_nc_u32_e32 v5, 29, v5
	v_lshlrev_b32_e32 v6, v6, v3
	v_bfe_u32 v3, v3, 3, 4
	s_delay_alu instid0(VALU_DEP_2) | instskip(NEXT) | instid1(VALU_DEP_2)
	v_and_b32_e32 v6, 7, v6
	v_cmp_eq_u32_e32 vcc_lo, 0, v3
	s_delay_alu instid0(VALU_DEP_2) | instskip(NEXT) | instid1(VALU_DEP_1)
	v_dual_cndmask_b32 v3, v3, v5 :: v_dual_cndmask_b32 v4, v4, v6
	v_lshl_add_u32 v3, v3, 23, 0x3b800000
	s_delay_alu instid0(VALU_DEP_2) | instskip(NEXT) | instid1(VALU_DEP_1)
	v_lshlrev_b32_e32 v4, 20, v4
	v_or3_b32 v42, v2, v3, v4
.LBB51_577:
	s_or_b32 exec_lo, exec_lo, s3
.LBB51_578:
	s_mov_b32 s2, -1
.LBB51_579:
	s_mov_b32 s3, 0
.LBB51_580:
	s_delay_alu instid0(SALU_CYCLE_1)
	s_and_b32 vcc_lo, exec_lo, s3
	s_cbranch_vccz .LBB51_615
; %bb.581:
	v_cmp_gt_i16_e64 s3, s65, 22
	s_delay_alu instid0(VALU_DEP_1)
	s_and_b32 vcc_lo, exec_lo, s3
	s_cbranch_vccz .LBB51_591
; %bb.582:
	v_cmp_lt_i16_e64 s2, s65, 24
	s_delay_alu instid0(VALU_DEP_1)
	s_and_b32 vcc_lo, exec_lo, s2
	s_cbranch_vccnz .LBB51_594
; %bb.583:
	v_cmp_gt_i16_e64 s2, s65, 24
	s_delay_alu instid0(VALU_DEP_1)
	s_and_b32 vcc_lo, exec_lo, s2
	s_cbranch_vccz .LBB51_595
; %bb.584:
	global_load_u8 v2, v[0:1], off
	s_mov_b32 s2, 0
	s_mov_b32 s4, exec_lo
                                        ; implicit-def: $sgpr3
	s_waitcnt vmcnt(0)
	v_cmpx_lt_i16_e32 0x7f, v2
	s_xor_b32 s4, exec_lo, s4
	s_cbranch_execz .LBB51_607
; %bb.585:
	s_mov_b32 s2, -1
	s_mov_b32 s5, exec_lo
                                        ; implicit-def: $sgpr3
	v_cmpx_eq_u16_e32 0x80, v2
; %bb.586:
	s_mov_b32 s3, 0x7f800001
	s_xor_b32 s2, exec_lo, -1
; %bb.587:
	s_or_b32 exec_lo, exec_lo, s5
	s_delay_alu instid0(SALU_CYCLE_1)
	s_and_b32 s2, s2, exec_lo
	s_or_saveexec_b32 s4, s4
	v_mov_b32_e32 v42, s3
	s_xor_b32 exec_lo, exec_lo, s4
	s_cbranch_execnz .LBB51_608
.LBB51_588:
	s_or_b32 exec_lo, exec_lo, s4
	s_and_saveexec_b32 s3, s2
	s_cbranch_execz .LBB51_590
.LBB51_589:
	v_and_b32_e32 v3, 0xffff, v2
	v_lshlrev_b32_e32 v2, 24, v2
	s_delay_alu instid0(VALU_DEP_2) | instskip(NEXT) | instid1(VALU_DEP_2)
	v_and_b32_e32 v4, 3, v3
	v_and_b32_e32 v2, 0x80000000, v2
	s_delay_alu instid0(VALU_DEP_2) | instskip(NEXT) | instid1(VALU_DEP_1)
	v_clz_i32_u32_e32 v5, v4
	v_min_u32_e32 v5, 32, v5
	s_delay_alu instid0(VALU_DEP_1) | instskip(SKIP_1) | instid1(VALU_DEP_2)
	v_subrev_nc_u32_e32 v6, 29, v5
	v_sub_nc_u32_e32 v5, 30, v5
	v_lshlrev_b32_e32 v6, v6, v3
	v_bfe_u32 v3, v3, 2, 5
	s_delay_alu instid0(VALU_DEP_2) | instskip(NEXT) | instid1(VALU_DEP_2)
	v_and_b32_e32 v6, 3, v6
	v_cmp_eq_u32_e32 vcc_lo, 0, v3
	s_delay_alu instid0(VALU_DEP_2) | instskip(NEXT) | instid1(VALU_DEP_1)
	v_dual_cndmask_b32 v3, v3, v5 :: v_dual_cndmask_b32 v4, v4, v6
	v_lshl_add_u32 v3, v3, 23, 0x37800000
	s_delay_alu instid0(VALU_DEP_2) | instskip(NEXT) | instid1(VALU_DEP_1)
	v_lshlrev_b32_e32 v4, 21, v4
	v_or3_b32 v42, v2, v3, v4
.LBB51_590:
	s_or_b32 exec_lo, exec_lo, s3
	s_mov_b32 s2, 0
	s_branch .LBB51_596
.LBB51_591:
	s_mov_b32 s3, -1
                                        ; implicit-def: $vgpr42
	s_branch .LBB51_602
.LBB51_592:
	s_or_saveexec_b32 s4, s4
	v_mov_b32_e32 v42, s3
	s_xor_b32 exec_lo, exec_lo, s4
	s_cbranch_execz .LBB51_575
.LBB51_593:
	v_cmp_ne_u16_e32 vcc_lo, 0, v2
	v_mov_b32_e32 v42, 0
	s_and_not1_b32 s2, s2, exec_lo
	s_and_b32 s3, vcc_lo, exec_lo
	s_delay_alu instid0(SALU_CYCLE_1)
	s_or_b32 s2, s2, s3
	s_or_b32 exec_lo, exec_lo, s4
	s_and_saveexec_b32 s3, s2
	s_cbranch_execnz .LBB51_576
	s_branch .LBB51_577
.LBB51_594:
	s_mov_b32 s2, -1
                                        ; implicit-def: $vgpr42
	s_branch .LBB51_599
.LBB51_595:
	s_mov_b32 s2, -1
                                        ; implicit-def: $vgpr42
.LBB51_596:
	s_delay_alu instid0(SALU_CYCLE_1)
	s_and_b32 vcc_lo, exec_lo, s2
	s_cbranch_vccz .LBB51_598
; %bb.597:
	global_load_u8 v2, v[0:1], off
	s_waitcnt vmcnt(0)
	v_lshlrev_b32_e32 v2, 24, v2
	s_delay_alu instid0(VALU_DEP_1) | instskip(NEXT) | instid1(VALU_DEP_1)
	v_and_b32_e32 v3, 0x7f000000, v2
	v_clz_i32_u32_e32 v4, v3
	v_add_nc_u32_e32 v6, 0x1000000, v3
	v_cmp_ne_u32_e32 vcc_lo, 0, v3
	s_delay_alu instid0(VALU_DEP_3) | instskip(NEXT) | instid1(VALU_DEP_1)
	v_min_u32_e32 v4, 32, v4
	v_sub_nc_u32_e64 v4, v4, 4 clamp
	s_delay_alu instid0(VALU_DEP_1) | instskip(SKIP_1) | instid1(VALU_DEP_2)
	v_lshlrev_b32_e32 v5, v4, v3
	v_lshlrev_b32_e32 v4, 23, v4
	v_lshrrev_b32_e32 v5, 4, v5
	s_delay_alu instid0(VALU_DEP_1) | instskip(SKIP_1) | instid1(VALU_DEP_2)
	v_sub_nc_u32_e32 v4, v5, v4
	v_ashrrev_i32_e32 v5, 8, v6
	v_add_nc_u32_e32 v4, 0x3c000000, v4
	s_delay_alu instid0(VALU_DEP_1) | instskip(NEXT) | instid1(VALU_DEP_1)
	v_and_or_b32 v4, 0x7f800000, v5, v4
	v_cndmask_b32_e32 v3, 0, v4, vcc_lo
	s_delay_alu instid0(VALU_DEP_1)
	v_and_or_b32 v42, 0x80000000, v2, v3
.LBB51_598:
	s_mov_b32 s2, 0
.LBB51_599:
	s_delay_alu instid0(SALU_CYCLE_1)
	s_and_not1_b32 vcc_lo, exec_lo, s2
	s_cbranch_vccnz .LBB51_601
; %bb.600:
	global_load_u8 v2, v[0:1], off
	s_waitcnt vmcnt(0)
	v_lshlrev_b32_e32 v3, 25, v2
	v_lshlrev_b16 v2, 8, v2
	s_delay_alu instid0(VALU_DEP_2) | instskip(NEXT) | instid1(VALU_DEP_2)
	v_lshrrev_b32_e32 v4, 4, v3
	v_and_or_b32 v5, 0x7f00, v2, 0.5
	v_bfe_i32 v2, v2, 0, 16
	s_delay_alu instid0(VALU_DEP_3) | instskip(NEXT) | instid1(VALU_DEP_1)
	v_or_b32_e32 v4, 0x70000000, v4
	v_dual_add_f32 v5, -0.5, v5 :: v_dual_mul_f32 v4, 0x7800000, v4
	v_cmp_gt_u32_e32 vcc_lo, 0x8000000, v3
	s_delay_alu instid0(VALU_DEP_2) | instskip(NEXT) | instid1(VALU_DEP_1)
	v_cndmask_b32_e32 v3, v4, v5, vcc_lo
	v_and_or_b32 v42, 0x80000000, v2, v3
.LBB51_601:
	s_mov_b32 s3, 0
	s_mov_b32 s2, -1
.LBB51_602:
	s_and_not1_b32 vcc_lo, exec_lo, s3
	s_cbranch_vccnz .LBB51_615
; %bb.603:
	v_cmp_gt_i16_e64 s3, s65, 14
	s_delay_alu instid0(VALU_DEP_1)
	s_and_b32 vcc_lo, exec_lo, s3
	s_cbranch_vccz .LBB51_606
; %bb.604:
	v_cmp_eq_u16_e64 s3, s65, 15
	s_delay_alu instid0(VALU_DEP_1)
	s_and_b32 vcc_lo, exec_lo, s3
	s_cbranch_vccz .LBB51_609
; %bb.605:
	global_load_u16 v2, v[0:1], off
	s_mov_b32 s2, -1
	s_mov_b32 s77, 0
	s_waitcnt vmcnt(0)
	v_lshlrev_b32_e32 v42, 16, v2
	s_branch .LBB51_610
.LBB51_606:
	s_mov_b32 s3, -1
                                        ; implicit-def: $vgpr42
	s_branch .LBB51_611
.LBB51_607:
	s_or_saveexec_b32 s4, s4
	v_mov_b32_e32 v42, s3
	s_xor_b32 exec_lo, exec_lo, s4
	s_cbranch_execz .LBB51_588
.LBB51_608:
	v_cmp_ne_u16_e32 vcc_lo, 0, v2
	v_mov_b32_e32 v42, 0
	s_and_not1_b32 s2, s2, exec_lo
	s_and_b32 s3, vcc_lo, exec_lo
	s_delay_alu instid0(SALU_CYCLE_1)
	s_or_b32 s2, s2, s3
	s_or_b32 exec_lo, exec_lo, s4
	s_and_saveexec_b32 s3, s2
	s_cbranch_execnz .LBB51_589
	s_branch .LBB51_590
.LBB51_609:
	s_mov_b32 s77, -1
                                        ; implicit-def: $vgpr42
.LBB51_610:
	s_mov_b32 s3, 0
.LBB51_611:
	s_delay_alu instid0(SALU_CYCLE_1)
	s_and_b32 vcc_lo, exec_lo, s3
	s_cbranch_vccz .LBB51_615
; %bb.612:
	v_cmp_eq_u16_e64 s3, s65, 11
	s_delay_alu instid0(VALU_DEP_1)
	s_and_b32 vcc_lo, exec_lo, s3
	s_cbranch_vccz .LBB51_614
; %bb.613:
	global_load_u8 v2, v[0:1], off
	s_mov_b32 s77, 0
	s_mov_b32 s2, -1
	s_waitcnt vmcnt(0)
	v_cmp_ne_u16_e32 vcc_lo, 0, v2
	v_cndmask_b32_e64 v42, 0, 1.0, vcc_lo
	s_branch .LBB51_615
.LBB51_614:
	s_mov_b32 s77, -1
                                        ; implicit-def: $vgpr42
.LBB51_615:
	s_mov_b32 s3, 0
.LBB51_616:
	s_delay_alu instid0(SALU_CYCLE_1)
	s_and_b32 vcc_lo, exec_lo, s3
	s_cbranch_vccz .LBB51_665
; %bb.617:
	v_cmp_lt_i16_e64 s2, s65, 5
	s_delay_alu instid0(VALU_DEP_1)
	s_and_b32 vcc_lo, exec_lo, s2
	s_cbranch_vccnz .LBB51_622
; %bb.618:
	v_cmp_lt_i16_e64 s2, s65, 8
	s_delay_alu instid0(VALU_DEP_1)
	s_and_b32 vcc_lo, exec_lo, s2
	s_cbranch_vccnz .LBB51_623
	;; [unrolled: 5-line block ×3, first 2 shown]
; %bb.620:
	v_cmp_gt_i16_e64 s2, s65, 9
	s_delay_alu instid0(VALU_DEP_1)
	s_and_b32 vcc_lo, exec_lo, s2
	s_cbranch_vccz .LBB51_625
; %bb.621:
	global_load_b64 v[2:3], v[0:1], off
	s_mov_b32 s2, 0
	s_waitcnt vmcnt(0)
	v_cvt_f32_f64_e32 v42, v[2:3]
	s_branch .LBB51_626
.LBB51_622:
	s_mov_b32 s2, -1
                                        ; implicit-def: $vgpr42
	s_branch .LBB51_644
.LBB51_623:
	s_mov_b32 s2, -1
                                        ; implicit-def: $vgpr42
	s_branch .LBB51_632
.LBB51_624:
	s_mov_b32 s2, -1
                                        ; implicit-def: $vgpr42
	s_branch .LBB51_629
.LBB51_625:
	s_mov_b32 s2, -1
                                        ; implicit-def: $vgpr42
.LBB51_626:
	s_delay_alu instid0(SALU_CYCLE_1)
	s_and_not1_b32 vcc_lo, exec_lo, s2
	s_cbranch_vccnz .LBB51_628
; %bb.627:
	global_load_b32 v42, v[0:1], off
.LBB51_628:
	s_mov_b32 s2, 0
.LBB51_629:
	s_delay_alu instid0(SALU_CYCLE_1)
	s_and_not1_b32 vcc_lo, exec_lo, s2
	s_cbranch_vccnz .LBB51_631
; %bb.630:
	global_load_b32 v2, v[0:1], off
	s_waitcnt vmcnt(0)
	v_cvt_f32_f16_e32 v42, v2
.LBB51_631:
	s_mov_b32 s2, 0
.LBB51_632:
	s_delay_alu instid0(SALU_CYCLE_1)
	s_and_not1_b32 vcc_lo, exec_lo, s2
	s_cbranch_vccnz .LBB51_643
; %bb.633:
	v_cmp_lt_i16_e64 s2, s65, 6
	s_delay_alu instid0(VALU_DEP_1)
	s_and_b32 vcc_lo, exec_lo, s2
	s_cbranch_vccnz .LBB51_636
; %bb.634:
	v_cmp_gt_i16_e64 s2, s65, 6
	s_delay_alu instid0(VALU_DEP_1)
	s_and_b32 vcc_lo, exec_lo, s2
	s_cbranch_vccz .LBB51_637
; %bb.635:
	global_load_b64 v[2:3], v[0:1], off
	s_mov_b32 s2, 0
	s_waitcnt vmcnt(0)
	v_cvt_f32_f64_e32 v42, v[2:3]
	s_branch .LBB51_638
.LBB51_636:
	s_mov_b32 s2, -1
                                        ; implicit-def: $vgpr42
	s_branch .LBB51_641
.LBB51_637:
	s_mov_b32 s2, -1
                                        ; implicit-def: $vgpr42
.LBB51_638:
	s_delay_alu instid0(SALU_CYCLE_1)
	s_and_not1_b32 vcc_lo, exec_lo, s2
	s_cbranch_vccnz .LBB51_640
; %bb.639:
	global_load_b32 v42, v[0:1], off
.LBB51_640:
	s_mov_b32 s2, 0
.LBB51_641:
	s_delay_alu instid0(SALU_CYCLE_1)
	s_and_not1_b32 vcc_lo, exec_lo, s2
	s_cbranch_vccnz .LBB51_643
; %bb.642:
	global_load_u16 v2, v[0:1], off
	s_waitcnt vmcnt(0)
	v_cvt_f32_f16_e32 v42, v2
.LBB51_643:
	s_mov_b32 s2, 0
.LBB51_644:
	s_delay_alu instid0(SALU_CYCLE_1)
	s_and_not1_b32 vcc_lo, exec_lo, s2
	s_cbranch_vccnz .LBB51_664
; %bb.645:
	v_cmp_lt_i16_e64 s2, s65, 2
	s_delay_alu instid0(VALU_DEP_1)
	s_and_b32 vcc_lo, exec_lo, s2
	s_cbranch_vccnz .LBB51_649
; %bb.646:
	v_cmp_lt_i16_e64 s2, s65, 3
	s_delay_alu instid0(VALU_DEP_1)
	s_and_b32 vcc_lo, exec_lo, s2
	s_cbranch_vccnz .LBB51_650
; %bb.647:
	v_cmp_gt_i16_e64 s2, s65, 3
	s_delay_alu instid0(VALU_DEP_1)
	s_and_b32 vcc_lo, exec_lo, s2
	s_cbranch_vccz .LBB51_651
; %bb.648:
	global_load_b64 v[2:3], v[0:1], off
	s_mov_b32 s2, 0
	s_waitcnt vmcnt(0)
	v_xor_b32_e32 v4, v2, v3
	v_cls_i32_e32 v5, v3
	s_delay_alu instid0(VALU_DEP_2) | instskip(NEXT) | instid1(VALU_DEP_2)
	v_ashrrev_i32_e32 v4, 31, v4
	v_add_nc_u32_e32 v5, -1, v5
	s_delay_alu instid0(VALU_DEP_2) | instskip(NEXT) | instid1(VALU_DEP_1)
	v_add_nc_u32_e32 v4, 32, v4
	v_min_u32_e32 v4, v5, v4
	s_delay_alu instid0(VALU_DEP_1) | instskip(NEXT) | instid1(VALU_DEP_1)
	v_lshlrev_b64 v[2:3], v4, v[2:3]
	v_min_u32_e32 v2, 1, v2
	s_delay_alu instid0(VALU_DEP_1) | instskip(SKIP_1) | instid1(VALU_DEP_2)
	v_or_b32_e32 v2, v3, v2
	v_sub_nc_u32_e32 v3, 32, v4
	v_cvt_f32_i32_e32 v2, v2
	s_delay_alu instid0(VALU_DEP_1)
	v_ldexp_f32 v42, v2, v3
	s_branch .LBB51_652
.LBB51_649:
	s_mov_b32 s2, -1
                                        ; implicit-def: $vgpr42
	s_branch .LBB51_658
.LBB51_650:
	s_mov_b32 s2, -1
                                        ; implicit-def: $vgpr42
	s_branch .LBB51_655
.LBB51_651:
	s_mov_b32 s2, -1
                                        ; implicit-def: $vgpr42
.LBB51_652:
	s_delay_alu instid0(SALU_CYCLE_1)
	s_and_not1_b32 vcc_lo, exec_lo, s2
	s_cbranch_vccnz .LBB51_654
; %bb.653:
	global_load_b32 v2, v[0:1], off
	s_waitcnt vmcnt(0)
	v_cvt_f32_i32_e32 v42, v2
.LBB51_654:
	s_mov_b32 s2, 0
.LBB51_655:
	s_delay_alu instid0(SALU_CYCLE_1)
	s_and_not1_b32 vcc_lo, exec_lo, s2
	s_cbranch_vccnz .LBB51_657
; %bb.656:
	global_load_i16 v2, v[0:1], off
	s_waitcnt vmcnt(0)
	v_cvt_f32_i32_e32 v42, v2
.LBB51_657:
	s_mov_b32 s2, 0
.LBB51_658:
	s_delay_alu instid0(SALU_CYCLE_1)
	s_and_not1_b32 vcc_lo, exec_lo, s2
	s_cbranch_vccnz .LBB51_664
; %bb.659:
	v_cmp_gt_i16_e64 s2, s65, 0
	s_delay_alu instid0(VALU_DEP_1)
	s_and_b32 vcc_lo, exec_lo, s2
	s_mov_b32 s2, 0
	s_cbranch_vccz .LBB51_661
; %bb.660:
	global_load_i8 v2, v[0:1], off
	s_waitcnt vmcnt(0)
	v_cvt_f32_i32_e32 v42, v2
	s_branch .LBB51_662
.LBB51_661:
	s_mov_b32 s2, -1
                                        ; implicit-def: $vgpr42
.LBB51_662:
	s_delay_alu instid0(SALU_CYCLE_1)
	s_and_not1_b32 vcc_lo, exec_lo, s2
	s_cbranch_vccnz .LBB51_664
; %bb.663:
	global_load_u8 v0, v[0:1], off
	s_waitcnt vmcnt(0)
	v_cvt_f32_ubyte0_e32 v42, v0
.LBB51_664:
	s_mov_b32 s2, -1
.LBB51_665:
	s_delay_alu instid0(SALU_CYCLE_1)
	s_and_not1_b32 vcc_lo, exec_lo, s2
	s_cbranch_vccnz .LBB51_668
; %bb.666:
	s_mov_b64 s[56:57], s[0:1]
	s_and_not1_b32 vcc_lo, exec_lo, s64
	s_cbranch_vccnz .LBB51_669
; %bb.667:
	s_waitcnt vmcnt(0)
	s_delay_alu instid0(VALU_DEP_1) | instskip(SKIP_3) | instid1(SALU_CYCLE_1)
	v_dual_mov_b32 v0, v40 :: v_dual_mov_b32 v1, v42
	s_getpc_b64 s[0:1]
	s_add_u32 s0, s0, _ZN12_GLOBAL__N_111calc_igammaIfEET_S1_S1_@rel32@lo+4
	s_addc_u32 s1, s1, _ZN12_GLOBAL__N_111calc_igammaIfEET_S1_S1_@rel32@hi+12
	s_swappc_b64 s[30:31], s[0:1]
	s_mov_b32 s0, 0
	s_branch .LBB51_670
.LBB51_668:
	s_mov_b32 s3, 0
	s_mov_b32 s2, s71
	s_branch .LBB51_719
.LBB51_669:
	s_mov_b32 s0, -1
                                        ; implicit-def: $vgpr0
.LBB51_670:
	s_delay_alu instid0(SALU_CYCLE_1)
	s_and_not1_b32 vcc_lo, exec_lo, s0
	s_cbranch_vccnz .LBB51_672
; %bb.671:
	s_waitcnt vmcnt(0)
	s_delay_alu instid0(VALU_DEP_1) | instskip(SKIP_3) | instid1(SALU_CYCLE_1)
	v_dual_mov_b32 v0, v40 :: v_dual_mov_b32 v1, v42
	s_getpc_b64 s[0:1]
	s_add_u32 s0, s0, _ZN12_GLOBAL__N_112calc_igammacIfEET_S1_S1_@rel32@lo+4
	s_addc_u32 s1, s1, _ZN12_GLOBAL__N_112calc_igammacIfEET_S1_S1_@rel32@hi+12
	s_swappc_b64 s[30:31], s[0:1]
.LBB51_672:
	v_and_b32_e64 v4, 0xff, s63
	v_add_co_u32 v2, s2, s36, v43
	s_delay_alu instid0(VALU_DEP_1) | instskip(NEXT) | instid1(VALU_DEP_3)
	v_add_co_ci_u32_e64 v3, null, s37, 0, s2
	v_cmp_gt_i16_e32 vcc_lo, 11, v4
	s_mov_b64 s[0:1], s[56:57]
	s_mov_b32 s3, 0
	s_mov_b32 s4, -1
	s_mov_b32 s2, s71
	s_cbranch_vccnz .LBB51_679
; %bb.673:
	v_cmp_lt_i16_e32 vcc_lo, 25, v4
	s_cbranch_vccz .LBB51_742
; %bb.674:
	v_cmp_lt_i16_e32 vcc_lo, 28, v4
	s_cbranch_vccz .LBB51_744
	;; [unrolled: 3-line block ×4, first 2 shown]
; %bb.677:
	v_cmp_eq_u16_e32 vcc_lo, 46, v4
	s_mov_b32 s4, 0
	s_mov_b32 s2, -1
	s_cbranch_vccz .LBB51_749
; %bb.678:
	v_bfe_u32 v1, v0, 16, 1
	v_cmp_o_f32_e32 vcc_lo, v0, v0
	s_mov_b32 s3, -1
	s_mov_b32 s2, 0
	s_delay_alu instid0(VALU_DEP_2) | instskip(NEXT) | instid1(VALU_DEP_1)
	v_add3_u32 v1, v0, v1, 0x7fff
	v_lshrrev_b32_e32 v1, 16, v1
	s_delay_alu instid0(VALU_DEP_1)
	v_cndmask_b32_e32 v1, 0x7fc0, v1, vcc_lo
	global_store_b32 v[2:3], v1, off
	s_branch .LBB51_749
.LBB51_679:
	s_and_b32 vcc_lo, exec_lo, s4
	s_cbranch_vccz .LBB51_818
; %bb.680:
	v_cmp_gt_i16_e32 vcc_lo, 5, v4
	s_mov_b32 s3, -1
	s_cbranch_vccnz .LBB51_701
; %bb.681:
	v_cmp_gt_i16_e32 vcc_lo, 8, v4
	s_cbranch_vccnz .LBB51_691
; %bb.682:
	v_cmp_gt_i16_e32 vcc_lo, 9, v4
	s_cbranch_vccnz .LBB51_688
; %bb.683:
	v_cmp_lt_i16_e32 vcc_lo, 9, v4
	s_cbranch_vccz .LBB51_685
; %bb.684:
	v_cvt_f64_f32_e32 v[5:6], v0
	v_mov_b32_e32 v7, 0
	s_mov_b32 s3, 0
	s_delay_alu instid0(VALU_DEP_1)
	v_mov_b32_e32 v8, v7
	global_store_b128 v[2:3], v[5:8], off
.LBB51_685:
	s_and_not1_b32 vcc_lo, exec_lo, s3
	s_cbranch_vccnz .LBB51_687
; %bb.686:
	v_mov_b32_e32 v1, 0
	global_store_b64 v[2:3], v[0:1], off
.LBB51_687:
	s_mov_b32 s3, 0
.LBB51_688:
	s_delay_alu instid0(SALU_CYCLE_1)
	s_and_not1_b32 vcc_lo, exec_lo, s3
	s_cbranch_vccnz .LBB51_690
; %bb.689:
	v_cvt_f16_f32_e32 v1, v0
	s_delay_alu instid0(VALU_DEP_1)
	v_and_b32_e32 v1, 0xffff, v1
	global_store_b32 v[2:3], v1, off
.LBB51_690:
	s_mov_b32 s3, 0
.LBB51_691:
	s_delay_alu instid0(SALU_CYCLE_1)
	s_and_not1_b32 vcc_lo, exec_lo, s3
	s_cbranch_vccnz .LBB51_700
; %bb.692:
	v_cmp_gt_i16_e32 vcc_lo, 6, v4
	s_mov_b32 s3, -1
	s_cbranch_vccnz .LBB51_698
; %bb.693:
	v_cmp_lt_i16_e32 vcc_lo, 6, v4
	s_cbranch_vccz .LBB51_695
; %bb.694:
	v_cvt_f64_f32_e32 v[5:6], v0
	s_mov_b32 s3, 0
	global_store_b64 v[2:3], v[5:6], off
.LBB51_695:
	s_and_not1_b32 vcc_lo, exec_lo, s3
	s_cbranch_vccnz .LBB51_697
; %bb.696:
	global_store_b32 v[2:3], v0, off
.LBB51_697:
	s_mov_b32 s3, 0
.LBB51_698:
	s_delay_alu instid0(SALU_CYCLE_1)
	s_and_not1_b32 vcc_lo, exec_lo, s3
	s_cbranch_vccnz .LBB51_700
; %bb.699:
	v_cvt_f16_f32_e32 v1, v0
	global_store_b16 v[2:3], v1, off
.LBB51_700:
	s_mov_b32 s3, 0
.LBB51_701:
	s_delay_alu instid0(SALU_CYCLE_1)
	s_and_not1_b32 vcc_lo, exec_lo, s3
	s_cbranch_vccnz .LBB51_717
; %bb.702:
	v_cmp_gt_i16_e32 vcc_lo, 2, v4
	s_mov_b32 s3, -1
	s_cbranch_vccnz .LBB51_712
; %bb.703:
	v_cmp_gt_i16_e32 vcc_lo, 3, v4
	s_cbranch_vccnz .LBB51_709
; %bb.704:
	v_cmp_lt_i16_e32 vcc_lo, 3, v4
	s_cbranch_vccz .LBB51_706
; %bb.705:
	v_trunc_f32_e32 v1, v0
	s_mov_b32 s3, 0
	s_delay_alu instid0(VALU_DEP_1) | instskip(NEXT) | instid1(VALU_DEP_1)
	v_mul_f32_e64 v5, 0x2f800000, |v1|
	v_floor_f32_e32 v5, v5
	s_delay_alu instid0(VALU_DEP_1) | instskip(SKIP_2) | instid1(VALU_DEP_3)
	v_fma_f32 v6, 0xcf800000, v5, |v1|
	v_ashrrev_i32_e32 v1, 31, v1
	v_cvt_u32_f32_e32 v5, v5
	v_cvt_u32_f32_e32 v6, v6
	s_delay_alu instid0(VALU_DEP_2) | instskip(NEXT) | instid1(VALU_DEP_2)
	v_xor_b32_e32 v7, v5, v1
	v_xor_b32_e32 v6, v6, v1
	s_delay_alu instid0(VALU_DEP_1) | instskip(NEXT) | instid1(VALU_DEP_3)
	v_sub_co_u32 v5, vcc_lo, v6, v1
	v_sub_co_ci_u32_e32 v6, vcc_lo, v7, v1, vcc_lo
	global_store_b64 v[2:3], v[5:6], off
.LBB51_706:
	s_and_not1_b32 vcc_lo, exec_lo, s3
	s_cbranch_vccnz .LBB51_708
; %bb.707:
	v_cvt_i32_f32_e32 v1, v0
	global_store_b32 v[2:3], v1, off
.LBB51_708:
	s_mov_b32 s3, 0
.LBB51_709:
	s_delay_alu instid0(SALU_CYCLE_1)
	s_and_not1_b32 vcc_lo, exec_lo, s3
	s_cbranch_vccnz .LBB51_711
; %bb.710:
	v_cvt_i32_f32_e32 v1, v0
	global_store_b16 v[2:3], v1, off
.LBB51_711:
	s_mov_b32 s3, 0
.LBB51_712:
	s_delay_alu instid0(SALU_CYCLE_1)
	s_and_not1_b32 vcc_lo, exec_lo, s3
	s_cbranch_vccnz .LBB51_717
; %bb.713:
	v_cmp_lt_i16_e32 vcc_lo, 0, v4
	s_mov_b32 s3, -1
	s_cbranch_vccz .LBB51_715
; %bb.714:
	v_cvt_i32_f32_e32 v1, v0
	s_mov_b32 s3, 0
	global_store_b8 v[2:3], v1, off
.LBB51_715:
	s_and_not1_b32 vcc_lo, exec_lo, s3
	s_cbranch_vccnz .LBB51_717
; %bb.716:
	v_trunc_f32_e32 v0, v0
	s_delay_alu instid0(VALU_DEP_1) | instskip(NEXT) | instid1(VALU_DEP_1)
	v_mul_f32_e64 v1, 0x2f800000, |v0|
	v_floor_f32_e32 v1, v1
	s_delay_alu instid0(VALU_DEP_1) | instskip(SKIP_1) | instid1(VALU_DEP_2)
	v_fma_f32 v1, 0xcf800000, v1, |v0|
	v_ashrrev_i32_e32 v0, 31, v0
	v_cvt_u32_f32_e32 v1, v1
	s_delay_alu instid0(VALU_DEP_1) | instskip(NEXT) | instid1(VALU_DEP_1)
	v_xor_b32_e32 v1, v1, v0
	v_sub_nc_u32_e32 v0, v1, v0
	global_store_b8 v[2:3], v0, off
.LBB51_717:
	s_branch .LBB51_819
.LBB51_718:
	s_mov_b32 s3, 0
.LBB51_719:
                                        ; implicit-def: $vgpr46
.LBB51_720:
	s_and_not1_b32 s4, s71, exec_lo
	s_and_b32 s2, s2, exec_lo
	s_and_not1_b32 s5, s73, exec_lo
	s_or_b32 s76, s4, s2
	s_and_not1_b32 s2, s72, exec_lo
	s_and_b32 s4, s77, exec_lo
	s_and_b32 s6, s75, exec_lo
	s_or_b32 s77, s2, s4
	s_or_b32 s75, s5, s6
	s_or_not1_b32 s4, s3, exec_lo
.LBB51_721:
	s_or_b32 exec_lo, exec_lo, s78
	s_mov_b32 s2, 0
	s_mov_b32 s5, 0
	;; [unrolled: 1-line block ×3, first 2 shown]
                                        ; implicit-def: $vgpr3
                                        ; implicit-def: $vgpr1_vgpr2
                                        ; implicit-def: $vgpr43
                                        ; implicit-def: $vgpr0
                                        ; implicit-def: $vgpr40
	s_and_saveexec_b32 s78, s4
	s_cbranch_execz .LBB51_1295
; %bb.722:
	s_mov_b32 s9, -1
	s_mov_b32 s4, s75
	s_mov_b32 s6, s77
	;; [unrolled: 1-line block ×3, first 2 shown]
	s_mov_b32 s79, exec_lo
	v_cmpx_gt_i32_e64 s69, v46
	s_cbranch_execz .LBB51_1126
; %bb.723:
	s_and_not1_b32 vcc_lo, exec_lo, s61
	s_cbranch_vccnz .LBB51_729
; %bb.724:
	v_dual_mov_b32 v43, 0 :: v_dual_mov_b32 v0, 0
	v_mov_b32_e32 v1, 0
	s_and_not1_b32 vcc_lo, exec_lo, s70
	s_mov_b32 s4, 0
	s_cbranch_vccnz .LBB51_730
; %bb.725:
	s_add_i32 s2, s68, 1
	v_dual_mov_b32 v0, 0 :: v_dual_mov_b32 v1, 0
	v_dual_mov_b32 v43, 0 :: v_dual_mov_b32 v2, v46
	s_and_b32 s5, s2, 30
	s_add_u32 s2, s48, 0xffffffec
	s_addc_u32 s3, s49, -1
	s_set_inst_prefetch_distance 0x1
	.p2align	6
.LBB51_726:                             ; =>This Inner Loop Header: Depth=1
	s_clause 0x2
	s_load_b128 s[8:11], s[2:3], 0x18
	s_load_b64 s[6:7], s[2:3], 0x28
	s_load_b128 s[12:15], s[2:3], 0xd8
	s_waitcnt lgkmcnt(0)
	v_mul_hi_u32 v3, s9, v2
	s_delay_alu instid0(VALU_DEP_1) | instskip(NEXT) | instid1(VALU_DEP_1)
	v_add_nc_u32_e32 v3, v2, v3
	v_lshrrev_b32_e32 v3, s10, v3
	s_delay_alu instid0(VALU_DEP_1)
	v_mul_hi_u32 v4, s6, v3
	v_mul_lo_u32 v5, v3, s8
	s_load_b64 s[8:9], s[2:3], 0xe8
	s_add_u32 s2, s2, 24
	s_addc_u32 s3, s3, 0
	s_add_i32 s5, s5, -2
	s_delay_alu instid0(SALU_CYCLE_1) | instskip(NEXT) | instid1(VALU_DEP_2)
	s_cmp_eq_u32 s5, 0
	v_add_nc_u32_e32 v4, v3, v4
	s_delay_alu instid0(VALU_DEP_2) | instskip(NEXT) | instid1(VALU_DEP_2)
	v_sub_nc_u32_e32 v5, v2, v5
	v_lshrrev_b32_e32 v2, s7, v4
	s_delay_alu instid0(VALU_DEP_2) | instskip(NEXT) | instid1(VALU_DEP_2)
	v_mul_lo_u32 v6, v5, s12
	v_mul_lo_u32 v4, v2, s11
	s_delay_alu instid0(VALU_DEP_1) | instskip(SKIP_2) | instid1(VALU_DEP_3)
	v_sub_nc_u32_e32 v3, v3, v4
	v_mul_lo_u32 v4, v5, s13
	v_mul_lo_u32 v5, v5, s14
	;; [unrolled: 1-line block ×3, first 2 shown]
	s_waitcnt lgkmcnt(0)
	v_mul_lo_u32 v8, v3, s8
	v_mul_lo_u32 v3, v3, s9
	s_delay_alu instid0(VALU_DEP_3) | instskip(NEXT) | instid1(VALU_DEP_3)
	v_add3_u32 v43, v6, v43, v7
	v_add3_u32 v1, v4, v1, v8
	s_delay_alu instid0(VALU_DEP_3)
	v_add3_u32 v0, v5, v0, v3
	s_cbranch_scc0 .LBB51_726
; %bb.727:
	s_set_inst_prefetch_distance 0x2
	s_bitcmp1_b32 s68, 0
	s_cselect_b32 s5, -1, 0
	s_delay_alu instid0(SALU_CYCLE_1)
	s_and_b32 vcc_lo, exec_lo, s5
	s_cbranch_vccnz .LBB51_730
; %bb.728:
	s_clause 0x3
	s_load_b64 s[6:7], s[2:3], 0x18
	s_load_b32 s5, s[2:3], 0x20
	s_load_b64 s[8:9], s[2:3], 0xd8
	s_load_b32 s2, s[2:3], 0xe0
	s_waitcnt lgkmcnt(0)
	v_mul_hi_u32 v3, s7, v2
	s_delay_alu instid0(VALU_DEP_1) | instskip(NEXT) | instid1(VALU_DEP_1)
	v_add_nc_u32_e32 v3, v2, v3
	v_lshrrev_b32_e32 v3, s5, v3
	s_delay_alu instid0(VALU_DEP_1) | instskip(NEXT) | instid1(VALU_DEP_1)
	v_mul_lo_u32 v3, v3, s6
	v_sub_nc_u32_e32 v6, v2, v3
	s_delay_alu instid0(VALU_DEP_1) | instskip(NEXT) | instid1(VALU_DEP_1)
	v_mad_u64_u32 v[2:3], null, v6, s8, v[43:44]
	v_mad_u64_u32 v[3:4], null, v6, s9, v[1:2]
	;; [unrolled: 1-line block ×3, first 2 shown]
	v_mov_b32_e32 v43, v2
	s_delay_alu instid0(VALU_DEP_2)
	v_dual_mov_b32 v1, v3 :: v_dual_mov_b32 v0, v4
	s_branch .LBB51_730
.LBB51_729:
	s_mov_b32 s4, -1
                                        ; implicit-def: $vgpr43
                                        ; implicit-def: $vgpr1
                                        ; implicit-def: $vgpr0
.LBB51_730:
	s_delay_alu instid0(SALU_CYCLE_1)
	s_and_not1_b32 vcc_lo, exec_lo, s4
	s_cbranch_vccnz .LBB51_733
; %bb.731:
	v_mul_hi_u32 v0, s45, v46
	s_and_not1_b32 vcc_lo, exec_lo, s67
	s_delay_alu instid0(VALU_DEP_1) | instskip(NEXT) | instid1(VALU_DEP_1)
	v_add_nc_u32_e32 v0, v46, v0
	v_lshrrev_b32_e32 v2, s46, v0
	s_delay_alu instid0(VALU_DEP_1) | instskip(NEXT) | instid1(VALU_DEP_1)
	v_mul_lo_u32 v0, v2, s44
	v_sub_nc_u32_e32 v0, v46, v0
	s_delay_alu instid0(VALU_DEP_1)
	v_mul_lo_u32 v43, v0, s40
	v_mul_lo_u32 v1, v0, s41
	;; [unrolled: 1-line block ×3, first 2 shown]
	s_cbranch_vccnz .LBB51_733
; %bb.732:
	v_mul_hi_u32 v3, s54, v2
	s_delay_alu instid0(VALU_DEP_1) | instskip(NEXT) | instid1(VALU_DEP_1)
	v_add_nc_u32_e32 v3, v2, v3
	v_lshrrev_b32_e32 v3, s55, v3
	s_delay_alu instid0(VALU_DEP_1) | instskip(NEXT) | instid1(VALU_DEP_1)
	v_mul_lo_u32 v3, v3, s47
	v_sub_nc_u32_e32 v6, v2, v3
	s_delay_alu instid0(VALU_DEP_1) | instskip(NEXT) | instid1(VALU_DEP_1)
	v_mad_u64_u32 v[2:3], null, v6, s43, v[43:44]
	v_mad_u64_u32 v[3:4], null, v6, s52, v[1:2]
	v_mad_u64_u32 v[4:5], null, v6, s53, v[0:1]
	v_mov_b32_e32 v43, v2
	s_delay_alu instid0(VALU_DEP_2)
	v_dual_mov_b32 v1, v3 :: v_dual_mov_b32 v0, v4
.LBB51_733:
	v_and_b32_e64 v3, 0xff, s66
	s_delay_alu instid0(VALU_DEP_2) | instskip(NEXT) | instid1(VALU_DEP_1)
	v_add_co_u32 v1, s2, s38, v1
	v_add_co_ci_u32_e64 v2, null, s39, 0, s2
	s_delay_alu instid0(VALU_DEP_3)
	v_cmp_gt_i16_e32 vcc_lo, 11, v3
	s_mov_b32 s2, 0
	s_cbranch_vccnz .LBB51_740
; %bb.734:
	v_cmp_lt_i16_e32 vcc_lo, 25, v3
	s_cbranch_vccz .LBB51_741
; %bb.735:
	v_cmp_lt_i16_e32 vcc_lo, 28, v3
	s_cbranch_vccz .LBB51_743
	;; [unrolled: 3-line block ×4, first 2 shown]
; %bb.738:
	v_cmp_eq_u16_e32 vcc_lo, 46, v3
	s_mov_b32 s3, 0
	s_cbranch_vccz .LBB51_820
; %bb.739:
	global_load_b32 v4, v[1:2], off
	s_mov_b32 s2, -1
	s_mov_b32 s80, 0
	s_waitcnt vmcnt(0)
	v_lshlrev_b32_e32 v40, 16, v4
	s_branch .LBB51_822
.LBB51_740:
	s_mov_b32 s3, -1
	s_mov_b32 s80, s75
                                        ; implicit-def: $vgpr40
	s_branch .LBB51_889
.LBB51_741:
	s_mov_b32 s3, -1
	s_mov_b32 s80, s75
                                        ; implicit-def: $vgpr40
	s_branch .LBB51_853
.LBB51_742:
	s_mov_b32 s2, s71
	s_branch .LBB51_776
.LBB51_743:
	s_mov_b32 s3, -1
	s_mov_b32 s80, s75
                                        ; implicit-def: $vgpr40
	s_branch .LBB51_834
.LBB51_744:
	s_mov_b32 s2, s71
	s_branch .LBB51_759
.LBB51_745:
	s_mov_b32 s3, -1
	s_mov_b32 s80, s75
                                        ; implicit-def: $vgpr40
	s_branch .LBB51_829
.LBB51_746:
	s_mov_b32 s2, s71
	s_branch .LBB51_755
.LBB51_747:
	s_mov_b32 s3, -1
	s_mov_b32 s80, s75
	s_branch .LBB51_821
.LBB51_748:
	s_mov_b32 s2, s71
.LBB51_749:
	s_and_b32 vcc_lo, exec_lo, s4
	s_cbranch_vccz .LBB51_754
; %bb.750:
	v_cmp_eq_u16_e32 vcc_lo, 44, v4
	s_mov_b32 s2, -1
	s_cbranch_vccz .LBB51_754
; %bb.751:
	v_bfe_u32 v5, v0, 23, 8
	v_mov_b32_e32 v1, 0xff
	s_mov_b32 s3, exec_lo
	s_delay_alu instid0(VALU_DEP_2)
	v_cmpx_ne_u32_e32 0xff, v5
; %bb.752:
	v_and_b32_e32 v1, 0x400000, v0
	v_and_or_b32 v5, 0x3fffff, v0, v5
	s_delay_alu instid0(VALU_DEP_2) | instskip(NEXT) | instid1(VALU_DEP_2)
	v_cmp_ne_u32_e32 vcc_lo, 0, v1
	v_cmp_ne_u32_e64 s2, 0, v5
	v_lshrrev_b32_e32 v1, 23, v0
	s_delay_alu instid0(VALU_DEP_2) | instskip(NEXT) | instid1(SALU_CYCLE_1)
	s_and_b32 s2, vcc_lo, s2
	v_cndmask_b32_e64 v5, 0, 1, s2
	s_delay_alu instid0(VALU_DEP_1)
	v_add_nc_u32_e32 v1, v1, v5
; %bb.753:
	s_or_b32 exec_lo, exec_lo, s3
	s_mov_b32 s3, -1
	s_mov_b32 s2, 0
	global_store_b8 v[2:3], v1, off
.LBB51_754:
	s_mov_b32 s4, 0
.LBB51_755:
	s_delay_alu instid0(SALU_CYCLE_1)
	s_and_b32 vcc_lo, exec_lo, s4
	s_cbranch_vccz .LBB51_758
; %bb.756:
	v_cmp_eq_u16_e32 vcc_lo, 29, v4
	s_mov_b32 s2, -1
	s_cbranch_vccz .LBB51_758
; %bb.757:
	v_trunc_f32_e32 v1, v0
	s_mov_b32 s3, -1
	s_mov_b32 s2, 0
	s_mov_b32 s4, 0
	s_delay_alu instid0(VALU_DEP_1) | instskip(NEXT) | instid1(VALU_DEP_1)
	v_mul_f32_e32 v5, 0x2f800000, v1
	v_floor_f32_e32 v5, v5
	s_delay_alu instid0(VALU_DEP_1) | instskip(SKIP_1) | instid1(VALU_DEP_2)
	v_fmamk_f32 v1, v5, 0xcf800000, v1
	v_cvt_u32_f32_e32 v6, v5
	v_cvt_u32_f32_e32 v5, v1
	global_store_b64 v[2:3], v[5:6], off
	s_branch .LBB51_759
.LBB51_758:
	s_mov_b32 s4, 0
.LBB51_759:
	s_delay_alu instid0(SALU_CYCLE_1)
	s_and_b32 vcc_lo, exec_lo, s4
	s_cbranch_vccz .LBB51_775
; %bb.760:
	v_cmp_gt_i16_e32 vcc_lo, 27, v4
	s_mov_b32 s3, -1
	s_cbranch_vccnz .LBB51_766
; %bb.761:
	v_cmp_lt_i16_e32 vcc_lo, 27, v4
	s_cbranch_vccz .LBB51_763
; %bb.762:
	v_cvt_u32_f32_e32 v1, v0
	s_mov_b32 s3, 0
	global_store_b32 v[2:3], v1, off
.LBB51_763:
	s_and_not1_b32 vcc_lo, exec_lo, s3
	s_cbranch_vccnz .LBB51_765
; %bb.764:
	v_cvt_u32_f32_e32 v1, v0
	global_store_b16 v[2:3], v1, off
.LBB51_765:
	s_mov_b32 s3, 0
.LBB51_766:
	s_delay_alu instid0(SALU_CYCLE_1)
	s_and_not1_b32 vcc_lo, exec_lo, s3
	s_cbranch_vccnz .LBB51_774
; %bb.767:
	v_and_b32_e32 v1, 0x7fffffff, v0
	v_mov_b32_e32 v5, 0x80
	s_mov_b32 s3, exec_lo
	s_delay_alu instid0(VALU_DEP_2)
	v_cmpx_gt_u32_e32 0x43800000, v1
	s_cbranch_execz .LBB51_773
; %bb.768:
	v_cmp_lt_u32_e32 vcc_lo, 0x3bffffff, v1
	s_mov_b32 s4, 0
                                        ; implicit-def: $vgpr1
	s_and_saveexec_b32 s5, vcc_lo
	s_delay_alu instid0(SALU_CYCLE_1)
	s_xor_b32 s5, exec_lo, s5
	s_cbranch_execz .LBB51_825
; %bb.769:
	v_bfe_u32 v1, v0, 20, 1
	s_mov_b32 s4, exec_lo
	s_delay_alu instid0(VALU_DEP_1) | instskip(NEXT) | instid1(VALU_DEP_1)
	v_add3_u32 v1, v0, v1, 0x487ffff
	v_lshrrev_b32_e32 v1, 20, v1
	s_or_saveexec_b32 s5, s5
                                        ; implicit-def: $sgpr6
	s_delay_alu instid0(SALU_CYCLE_1)
	s_xor_b32 exec_lo, exec_lo, s5
	s_cbranch_execnz .LBB51_826
.LBB51_770:
	s_or_b32 exec_lo, exec_lo, s5
	v_mov_b32_e32 v5, s6
	s_and_saveexec_b32 s5, s4
.LBB51_771:
	v_lshrrev_b32_e32 v5, 24, v0
	s_delay_alu instid0(VALU_DEP_1)
	v_and_or_b32 v5, 0x80, v5, v1
.LBB51_772:
	s_or_b32 exec_lo, exec_lo, s5
.LBB51_773:
	s_delay_alu instid0(SALU_CYCLE_1)
	s_or_b32 exec_lo, exec_lo, s3
	global_store_b8 v[2:3], v5, off
.LBB51_774:
	s_mov_b32 s3, -1
.LBB51_775:
	s_mov_b32 s4, 0
.LBB51_776:
	s_delay_alu instid0(SALU_CYCLE_1)
	s_and_b32 vcc_lo, exec_lo, s4
	s_cbranch_vccz .LBB51_817
; %bb.777:
	v_cmp_lt_i16_e32 vcc_lo, 22, v4
	s_mov_b32 s4, -1
	s_cbranch_vccz .LBB51_809
; %bb.778:
	v_cmp_gt_i16_e32 vcc_lo, 24, v4
	s_mov_b32 s3, -1
	s_cbranch_vccnz .LBB51_798
; %bb.779:
	v_cmp_lt_i16_e32 vcc_lo, 24, v4
	s_cbranch_vccz .LBB51_787
; %bb.780:
	v_and_b32_e32 v1, 0x7fffffff, v0
	v_mov_b32_e32 v5, 0x80
	s_mov_b32 s3, exec_lo
	s_delay_alu instid0(VALU_DEP_2)
	v_cmpx_gt_u32_e32 0x47800000, v1
	s_cbranch_execz .LBB51_786
; %bb.781:
	v_cmp_lt_u32_e32 vcc_lo, 0x37ffffff, v1
	s_mov_b32 s4, 0
                                        ; implicit-def: $vgpr1
	s_and_saveexec_b32 s5, vcc_lo
	s_delay_alu instid0(SALU_CYCLE_1)
	s_xor_b32 s5, exec_lo, s5
	s_cbranch_execz .LBB51_952
; %bb.782:
	v_bfe_u32 v1, v0, 21, 1
	s_mov_b32 s4, exec_lo
	s_delay_alu instid0(VALU_DEP_1) | instskip(NEXT) | instid1(VALU_DEP_1)
	v_add3_u32 v1, v0, v1, 0x88fffff
	v_lshrrev_b32_e32 v1, 21, v1
	s_or_saveexec_b32 s5, s5
                                        ; implicit-def: $sgpr6
	s_delay_alu instid0(SALU_CYCLE_1)
	s_xor_b32 exec_lo, exec_lo, s5
	s_cbranch_execnz .LBB51_953
.LBB51_783:
	s_or_b32 exec_lo, exec_lo, s5
	v_mov_b32_e32 v5, s6
	s_and_saveexec_b32 s5, s4
.LBB51_784:
	v_lshrrev_b32_e32 v5, 24, v0
	s_delay_alu instid0(VALU_DEP_1)
	v_and_or_b32 v5, 0x80, v5, v1
.LBB51_785:
	s_or_b32 exec_lo, exec_lo, s5
.LBB51_786:
	s_delay_alu instid0(SALU_CYCLE_1)
	s_or_b32 exec_lo, exec_lo, s3
	s_mov_b32 s3, 0
	global_store_b8 v[2:3], v5, off
.LBB51_787:
	s_and_b32 vcc_lo, exec_lo, s3
	s_cbranch_vccz .LBB51_797
; %bb.788:
	v_and_b32_e32 v5, 0x7fffffff, v0
	s_mov_b32 s3, exec_lo
                                        ; implicit-def: $vgpr1
	s_delay_alu instid0(VALU_DEP_1)
	v_cmpx_gt_u32_e32 0x43f00000, v5
	s_xor_b32 s3, exec_lo, s3
	s_cbranch_execz .LBB51_794
; %bb.789:
	s_mov_b32 s4, exec_lo
                                        ; implicit-def: $vgpr1
	v_cmpx_lt_u32_e32 0x3c7fffff, v5
	s_xor_b32 s4, exec_lo, s4
; %bb.790:
	v_bfe_u32 v1, v0, 20, 1
	s_delay_alu instid0(VALU_DEP_1) | instskip(NEXT) | instid1(VALU_DEP_1)
	v_add3_u32 v1, v0, v1, 0x407ffff
	v_and_b32_e32 v5, 0xff00000, v1
	v_lshrrev_b32_e32 v1, 20, v1
	s_delay_alu instid0(VALU_DEP_2) | instskip(NEXT) | instid1(VALU_DEP_2)
	v_cmp_ne_u32_e32 vcc_lo, 0x7f00000, v5
	v_cndmask_b32_e32 v1, 0x7e, v1, vcc_lo
; %bb.791:
	s_and_not1_saveexec_b32 s4, s4
; %bb.792:
	v_add_f32_e64 v1, 0x46800000, |v0|
; %bb.793:
	s_or_b32 exec_lo, exec_lo, s4
                                        ; implicit-def: $vgpr5
.LBB51_794:
	s_and_not1_saveexec_b32 s3, s3
; %bb.795:
	v_mov_b32_e32 v1, 0x7f
	v_cmp_lt_u32_e32 vcc_lo, 0x7f800000, v5
	s_delay_alu instid0(VALU_DEP_2)
	v_cndmask_b32_e32 v1, 0x7e, v1, vcc_lo
; %bb.796:
	s_or_b32 exec_lo, exec_lo, s3
	v_lshrrev_b32_e32 v5, 24, v0
	s_delay_alu instid0(VALU_DEP_1)
	v_and_or_b32 v1, 0x80, v5, v1
	global_store_b8 v[2:3], v1, off
.LBB51_797:
	s_mov_b32 s3, 0
.LBB51_798:
	s_delay_alu instid0(SALU_CYCLE_1)
	s_and_not1_b32 vcc_lo, exec_lo, s3
	s_cbranch_vccnz .LBB51_808
; %bb.799:
	v_and_b32_e32 v5, 0x7fffffff, v0
	s_mov_b32 s3, exec_lo
                                        ; implicit-def: $vgpr1
	s_delay_alu instid0(VALU_DEP_1)
	v_cmpx_gt_u32_e32 0x47800000, v5
	s_xor_b32 s3, exec_lo, s3
	s_cbranch_execz .LBB51_805
; %bb.800:
	s_mov_b32 s4, exec_lo
                                        ; implicit-def: $vgpr1
	v_cmpx_lt_u32_e32 0x387fffff, v5
	s_xor_b32 s4, exec_lo, s4
; %bb.801:
	v_bfe_u32 v1, v0, 21, 1
	s_delay_alu instid0(VALU_DEP_1) | instskip(NEXT) | instid1(VALU_DEP_1)
	v_add3_u32 v1, v0, v1, 0x80fffff
	v_lshrrev_b32_e32 v1, 21, v1
; %bb.802:
	s_and_not1_saveexec_b32 s4, s4
; %bb.803:
	v_add_f32_e64 v1, 0x43000000, |v0|
; %bb.804:
	s_or_b32 exec_lo, exec_lo, s4
                                        ; implicit-def: $vgpr5
.LBB51_805:
	s_and_not1_saveexec_b32 s3, s3
; %bb.806:
	v_mov_b32_e32 v1, 0x7f
	v_cmp_lt_u32_e32 vcc_lo, 0x7f800000, v5
	s_delay_alu instid0(VALU_DEP_2)
	v_cndmask_b32_e32 v1, 0x7c, v1, vcc_lo
; %bb.807:
	s_or_b32 exec_lo, exec_lo, s3
	v_lshrrev_b32_e32 v5, 24, v0
	s_delay_alu instid0(VALU_DEP_1)
	v_and_or_b32 v1, 0x80, v5, v1
	global_store_b8 v[2:3], v1, off
.LBB51_808:
	s_mov_b32 s4, 0
	s_mov_b32 s3, -1
.LBB51_809:
	s_and_not1_b32 vcc_lo, exec_lo, s4
	s_cbranch_vccnz .LBB51_817
; %bb.810:
	v_cmp_lt_i16_e32 vcc_lo, 14, v4
	s_mov_b32 s4, -1
	s_cbranch_vccz .LBB51_814
; %bb.811:
	v_cmp_eq_u16_e32 vcc_lo, 15, v4
	s_mov_b32 s2, -1
	s_cbranch_vccz .LBB51_813
; %bb.812:
	v_bfe_u32 v1, v0, 16, 1
	v_cmp_o_f32_e32 vcc_lo, v0, v0
	s_mov_b32 s3, -1
	s_mov_b32 s2, 0
	s_delay_alu instid0(VALU_DEP_2) | instskip(NEXT) | instid1(VALU_DEP_1)
	v_add3_u32 v1, v0, v1, 0x7fff
	v_lshrrev_b32_e32 v1, 16, v1
	s_delay_alu instid0(VALU_DEP_1)
	v_cndmask_b32_e32 v1, 0x7fc0, v1, vcc_lo
	global_store_b16 v[2:3], v1, off
.LBB51_813:
	s_mov_b32 s4, 0
.LBB51_814:
	s_delay_alu instid0(SALU_CYCLE_1)
	s_and_b32 vcc_lo, exec_lo, s4
	s_cbranch_vccz .LBB51_817
; %bb.815:
	v_cmp_eq_u16_e32 vcc_lo, 11, v4
	s_mov_b32 s2, -1
	s_cbranch_vccz .LBB51_817
; %bb.816:
	v_cmp_neq_f32_e32 vcc_lo, 0, v0
	s_mov_b32 s2, 0
	s_mov_b32 s3, -1
	v_cndmask_b32_e64 v1, 0, 1, vcc_lo
	global_store_b8 v[2:3], v1, off
.LBB51_817:
.LBB51_818:
	s_and_not1_b32 vcc_lo, exec_lo, s3
	s_cbranch_vccnz .LBB51_718
.LBB51_819:
	v_add_nc_u32_e32 v46, 0x80, v46
	s_mov_b32 s3, -1
	s_branch .LBB51_720
.LBB51_820:
	s_mov_b32 s80, -1
.LBB51_821:
                                        ; implicit-def: $vgpr40
.LBB51_822:
	s_and_b32 vcc_lo, exec_lo, s3
	s_cbranch_vccz .LBB51_828
; %bb.823:
	v_cmp_eq_u16_e32 vcc_lo, 44, v3
	s_cbranch_vccz .LBB51_827
; %bb.824:
	global_load_u8 v4, v[1:2], off
	s_mov_b32 s80, 0
	s_mov_b32 s2, -1
	s_waitcnt vmcnt(0)
	v_lshlrev_b32_e32 v5, 23, v4
	v_cmp_ne_u32_e32 vcc_lo, 0xff, v4
	s_delay_alu instid0(VALU_DEP_2) | instskip(SKIP_1) | instid1(VALU_DEP_2)
	v_cndmask_b32_e32 v5, 0x7f800001, v5, vcc_lo
	v_cmp_ne_u32_e32 vcc_lo, 0, v4
	v_cndmask_b32_e32 v40, 0x400000, v5, vcc_lo
	s_branch .LBB51_828
.LBB51_825:
	s_or_saveexec_b32 s5, s5
                                        ; implicit-def: $sgpr6
	s_delay_alu instid0(SALU_CYCLE_1)
	s_xor_b32 exec_lo, exec_lo, s5
	s_cbranch_execz .LBB51_770
.LBB51_826:
	v_add_f32_e64 v1, 0x46000000, |v0|
	s_and_not1_b32 s4, s4, exec_lo
	s_mov_b32 s6, 0
	s_delay_alu instid0(VALU_DEP_1) | instskip(NEXT) | instid1(VALU_DEP_1)
	v_and_b32_e32 v1, 0xff, v1
	v_cmp_ne_u32_e32 vcc_lo, 0, v1
	s_and_b32 s7, vcc_lo, exec_lo
	s_delay_alu instid0(SALU_CYCLE_1)
	s_or_b32 s4, s4, s7
	s_or_b32 exec_lo, exec_lo, s5
	v_mov_b32_e32 v5, s6
	s_and_saveexec_b32 s5, s4
	s_cbranch_execnz .LBB51_771
	s_branch .LBB51_772
.LBB51_827:
	s_mov_b32 s80, -1
                                        ; implicit-def: $vgpr40
.LBB51_828:
	s_mov_b32 s3, 0
.LBB51_829:
	s_delay_alu instid0(SALU_CYCLE_1)
	s_and_b32 vcc_lo, exec_lo, s3
	s_cbranch_vccz .LBB51_833
; %bb.830:
	v_cmp_eq_u16_e32 vcc_lo, 29, v3
	s_cbranch_vccz .LBB51_832
; %bb.831:
	global_load_b64 v[4:5], v[1:2], off
	s_mov_b32 s2, -1
	s_mov_b32 s80, 0
	s_mov_b32 s3, 0
	s_waitcnt vmcnt(0)
	v_clz_i32_u32_e32 v6, v5
	s_delay_alu instid0(VALU_DEP_1) | instskip(NEXT) | instid1(VALU_DEP_1)
	v_min_u32_e32 v6, 32, v6
	v_lshlrev_b64 v[4:5], v6, v[4:5]
	s_delay_alu instid0(VALU_DEP_1) | instskip(NEXT) | instid1(VALU_DEP_1)
	v_min_u32_e32 v4, 1, v4
	v_or_b32_e32 v4, v5, v4
	v_sub_nc_u32_e32 v5, 32, v6
	s_delay_alu instid0(VALU_DEP_2) | instskip(NEXT) | instid1(VALU_DEP_1)
	v_cvt_f32_u32_e32 v4, v4
	v_ldexp_f32 v40, v4, v5
	s_branch .LBB51_834
.LBB51_832:
	s_mov_b32 s80, -1
                                        ; implicit-def: $vgpr40
.LBB51_833:
	s_mov_b32 s3, 0
.LBB51_834:
	s_delay_alu instid0(SALU_CYCLE_1)
	s_and_b32 vcc_lo, exec_lo, s3
	s_cbranch_vccz .LBB51_852
; %bb.835:
	v_cmp_gt_i16_e32 vcc_lo, 27, v3
	s_cbranch_vccnz .LBB51_838
; %bb.836:
	v_cmp_lt_i16_e32 vcc_lo, 27, v3
	s_cbranch_vccz .LBB51_839
; %bb.837:
	global_load_b32 v4, v[1:2], off
	s_mov_b32 s2, 0
	s_waitcnt vmcnt(0)
	v_cvt_f32_u32_e32 v40, v4
	s_branch .LBB51_840
.LBB51_838:
	s_mov_b32 s2, -1
                                        ; implicit-def: $vgpr40
	s_branch .LBB51_843
.LBB51_839:
	s_mov_b32 s2, -1
                                        ; implicit-def: $vgpr40
.LBB51_840:
	s_delay_alu instid0(SALU_CYCLE_1)
	s_and_not1_b32 vcc_lo, exec_lo, s2
	s_cbranch_vccnz .LBB51_842
; %bb.841:
	global_load_u16 v4, v[1:2], off
	s_waitcnt vmcnt(0)
	v_cvt_f32_u32_e32 v40, v4
.LBB51_842:
	s_mov_b32 s2, 0
.LBB51_843:
	s_delay_alu instid0(SALU_CYCLE_1)
	s_and_not1_b32 vcc_lo, exec_lo, s2
	s_cbranch_vccnz .LBB51_851
; %bb.844:
	global_load_u8 v4, v[1:2], off
	s_mov_b32 s2, 0
	s_mov_b32 s4, exec_lo
                                        ; implicit-def: $sgpr3
	s_waitcnt vmcnt(0)
	v_cmpx_lt_i16_e32 0x7f, v4
	s_xor_b32 s4, exec_lo, s4
	s_cbranch_execz .LBB51_865
; %bb.845:
	s_mov_b32 s2, -1
	s_mov_b32 s5, exec_lo
                                        ; implicit-def: $sgpr3
	v_cmpx_eq_u16_e32 0x80, v4
; %bb.846:
	s_mov_b32 s3, 0x7f800001
	s_xor_b32 s2, exec_lo, -1
; %bb.847:
	s_or_b32 exec_lo, exec_lo, s5
	s_delay_alu instid0(SALU_CYCLE_1)
	s_and_b32 s2, s2, exec_lo
	s_or_saveexec_b32 s4, s4
	v_mov_b32_e32 v40, s3
	s_xor_b32 exec_lo, exec_lo, s4
	s_cbranch_execnz .LBB51_866
.LBB51_848:
	s_or_b32 exec_lo, exec_lo, s4
	s_and_saveexec_b32 s3, s2
	s_cbranch_execz .LBB51_850
.LBB51_849:
	v_and_b32_e32 v5, 0xffff, v4
	v_lshlrev_b32_e32 v4, 24, v4
	s_delay_alu instid0(VALU_DEP_2) | instskip(NEXT) | instid1(VALU_DEP_2)
	v_and_b32_e32 v6, 7, v5
	v_and_b32_e32 v4, 0x80000000, v4
	s_delay_alu instid0(VALU_DEP_2) | instskip(NEXT) | instid1(VALU_DEP_1)
	v_clz_i32_u32_e32 v7, v6
	v_min_u32_e32 v7, 32, v7
	s_delay_alu instid0(VALU_DEP_1) | instskip(SKIP_1) | instid1(VALU_DEP_2)
	v_subrev_nc_u32_e32 v8, 28, v7
	v_sub_nc_u32_e32 v7, 29, v7
	v_lshlrev_b32_e32 v8, v8, v5
	v_bfe_u32 v5, v5, 3, 4
	s_delay_alu instid0(VALU_DEP_2) | instskip(NEXT) | instid1(VALU_DEP_2)
	v_and_b32_e32 v8, 7, v8
	v_cmp_eq_u32_e32 vcc_lo, 0, v5
	s_delay_alu instid0(VALU_DEP_2) | instskip(NEXT) | instid1(VALU_DEP_1)
	v_dual_cndmask_b32 v5, v5, v7 :: v_dual_cndmask_b32 v6, v6, v8
	v_lshl_add_u32 v5, v5, 23, 0x3b800000
	s_delay_alu instid0(VALU_DEP_2) | instskip(NEXT) | instid1(VALU_DEP_1)
	v_lshlrev_b32_e32 v6, 20, v6
	v_or3_b32 v40, v4, v5, v6
.LBB51_850:
	s_or_b32 exec_lo, exec_lo, s3
.LBB51_851:
	s_mov_b32 s2, -1
.LBB51_852:
	s_mov_b32 s3, 0
.LBB51_853:
	s_delay_alu instid0(SALU_CYCLE_1)
	s_and_b32 vcc_lo, exec_lo, s3
	s_cbranch_vccz .LBB51_888
; %bb.854:
	v_cmp_lt_i16_e32 vcc_lo, 22, v3
	s_cbranch_vccz .LBB51_864
; %bb.855:
	v_cmp_gt_i16_e32 vcc_lo, 24, v3
	s_cbranch_vccnz .LBB51_867
; %bb.856:
	v_cmp_lt_i16_e32 vcc_lo, 24, v3
	s_cbranch_vccz .LBB51_868
; %bb.857:
	global_load_u8 v4, v[1:2], off
	s_mov_b32 s2, 0
	s_mov_b32 s4, exec_lo
                                        ; implicit-def: $sgpr3
	s_waitcnt vmcnt(0)
	v_cmpx_lt_i16_e32 0x7f, v4
	s_xor_b32 s4, exec_lo, s4
	s_cbranch_execz .LBB51_880
; %bb.858:
	s_mov_b32 s2, -1
	s_mov_b32 s5, exec_lo
                                        ; implicit-def: $sgpr3
	v_cmpx_eq_u16_e32 0x80, v4
; %bb.859:
	s_mov_b32 s3, 0x7f800001
	s_xor_b32 s2, exec_lo, -1
; %bb.860:
	s_or_b32 exec_lo, exec_lo, s5
	s_delay_alu instid0(SALU_CYCLE_1)
	s_and_b32 s2, s2, exec_lo
	s_or_saveexec_b32 s4, s4
	v_mov_b32_e32 v40, s3
	s_xor_b32 exec_lo, exec_lo, s4
	s_cbranch_execnz .LBB51_881
.LBB51_861:
	s_or_b32 exec_lo, exec_lo, s4
	s_and_saveexec_b32 s3, s2
	s_cbranch_execz .LBB51_863
.LBB51_862:
	v_and_b32_e32 v5, 0xffff, v4
	v_lshlrev_b32_e32 v4, 24, v4
	s_delay_alu instid0(VALU_DEP_2) | instskip(NEXT) | instid1(VALU_DEP_2)
	v_and_b32_e32 v6, 3, v5
	v_and_b32_e32 v4, 0x80000000, v4
	s_delay_alu instid0(VALU_DEP_2) | instskip(NEXT) | instid1(VALU_DEP_1)
	v_clz_i32_u32_e32 v7, v6
	v_min_u32_e32 v7, 32, v7
	s_delay_alu instid0(VALU_DEP_1) | instskip(SKIP_1) | instid1(VALU_DEP_2)
	v_subrev_nc_u32_e32 v8, 29, v7
	v_sub_nc_u32_e32 v7, 30, v7
	v_lshlrev_b32_e32 v8, v8, v5
	v_bfe_u32 v5, v5, 2, 5
	s_delay_alu instid0(VALU_DEP_2) | instskip(NEXT) | instid1(VALU_DEP_2)
	v_and_b32_e32 v8, 3, v8
	v_cmp_eq_u32_e32 vcc_lo, 0, v5
	s_delay_alu instid0(VALU_DEP_2) | instskip(NEXT) | instid1(VALU_DEP_1)
	v_dual_cndmask_b32 v5, v5, v7 :: v_dual_cndmask_b32 v6, v6, v8
	v_lshl_add_u32 v5, v5, 23, 0x37800000
	s_delay_alu instid0(VALU_DEP_2) | instskip(NEXT) | instid1(VALU_DEP_1)
	v_lshlrev_b32_e32 v6, 21, v6
	v_or3_b32 v40, v4, v5, v6
.LBB51_863:
	s_or_b32 exec_lo, exec_lo, s3
	s_mov_b32 s2, 0
	s_branch .LBB51_869
.LBB51_864:
	s_mov_b32 s3, -1
                                        ; implicit-def: $vgpr40
	s_branch .LBB51_875
.LBB51_865:
	s_or_saveexec_b32 s4, s4
	v_mov_b32_e32 v40, s3
	s_xor_b32 exec_lo, exec_lo, s4
	s_cbranch_execz .LBB51_848
.LBB51_866:
	v_cmp_ne_u16_e32 vcc_lo, 0, v4
	v_mov_b32_e32 v40, 0
	s_and_not1_b32 s2, s2, exec_lo
	s_and_b32 s3, vcc_lo, exec_lo
	s_delay_alu instid0(SALU_CYCLE_1)
	s_or_b32 s2, s2, s3
	s_or_b32 exec_lo, exec_lo, s4
	s_and_saveexec_b32 s3, s2
	s_cbranch_execnz .LBB51_849
	s_branch .LBB51_850
.LBB51_867:
	s_mov_b32 s2, -1
                                        ; implicit-def: $vgpr40
	s_branch .LBB51_872
.LBB51_868:
	s_mov_b32 s2, -1
                                        ; implicit-def: $vgpr40
.LBB51_869:
	s_delay_alu instid0(SALU_CYCLE_1)
	s_and_b32 vcc_lo, exec_lo, s2
	s_cbranch_vccz .LBB51_871
; %bb.870:
	global_load_u8 v4, v[1:2], off
	s_waitcnt vmcnt(0)
	v_lshlrev_b32_e32 v4, 24, v4
	s_delay_alu instid0(VALU_DEP_1) | instskip(NEXT) | instid1(VALU_DEP_1)
	v_and_b32_e32 v5, 0x7f000000, v4
	v_clz_i32_u32_e32 v6, v5
	v_add_nc_u32_e32 v8, 0x1000000, v5
	v_cmp_ne_u32_e32 vcc_lo, 0, v5
	s_delay_alu instid0(VALU_DEP_3) | instskip(NEXT) | instid1(VALU_DEP_1)
	v_min_u32_e32 v6, 32, v6
	v_sub_nc_u32_e64 v6, v6, 4 clamp
	s_delay_alu instid0(VALU_DEP_1) | instskip(SKIP_1) | instid1(VALU_DEP_2)
	v_lshlrev_b32_e32 v7, v6, v5
	v_lshlrev_b32_e32 v6, 23, v6
	v_lshrrev_b32_e32 v7, 4, v7
	s_delay_alu instid0(VALU_DEP_1) | instskip(SKIP_1) | instid1(VALU_DEP_2)
	v_sub_nc_u32_e32 v6, v7, v6
	v_ashrrev_i32_e32 v7, 8, v8
	v_add_nc_u32_e32 v6, 0x3c000000, v6
	s_delay_alu instid0(VALU_DEP_1) | instskip(NEXT) | instid1(VALU_DEP_1)
	v_and_or_b32 v6, 0x7f800000, v7, v6
	v_cndmask_b32_e32 v5, 0, v6, vcc_lo
	s_delay_alu instid0(VALU_DEP_1)
	v_and_or_b32 v40, 0x80000000, v4, v5
.LBB51_871:
	s_mov_b32 s2, 0
.LBB51_872:
	s_delay_alu instid0(SALU_CYCLE_1)
	s_and_not1_b32 vcc_lo, exec_lo, s2
	s_cbranch_vccnz .LBB51_874
; %bb.873:
	global_load_u8 v4, v[1:2], off
	s_waitcnt vmcnt(0)
	v_lshlrev_b32_e32 v5, 25, v4
	v_lshlrev_b16 v4, 8, v4
	s_delay_alu instid0(VALU_DEP_2) | instskip(NEXT) | instid1(VALU_DEP_2)
	v_lshrrev_b32_e32 v6, 4, v5
	v_and_or_b32 v7, 0x7f00, v4, 0.5
	v_bfe_i32 v4, v4, 0, 16
	s_delay_alu instid0(VALU_DEP_3) | instskip(NEXT) | instid1(VALU_DEP_1)
	v_or_b32_e32 v6, 0x70000000, v6
	v_dual_add_f32 v7, -0.5, v7 :: v_dual_mul_f32 v6, 0x7800000, v6
	v_cmp_gt_u32_e32 vcc_lo, 0x8000000, v5
	s_delay_alu instid0(VALU_DEP_2) | instskip(NEXT) | instid1(VALU_DEP_1)
	v_cndmask_b32_e32 v5, v6, v7, vcc_lo
	v_and_or_b32 v40, 0x80000000, v4, v5
.LBB51_874:
	s_mov_b32 s3, 0
	s_mov_b32 s2, -1
.LBB51_875:
	s_and_not1_b32 vcc_lo, exec_lo, s3
	s_cbranch_vccnz .LBB51_888
; %bb.876:
	v_cmp_lt_i16_e32 vcc_lo, 14, v3
	s_cbranch_vccz .LBB51_879
; %bb.877:
	v_cmp_eq_u16_e32 vcc_lo, 15, v3
	s_cbranch_vccz .LBB51_882
; %bb.878:
	global_load_u16 v4, v[1:2], off
	s_mov_b32 s2, -1
	s_mov_b32 s80, 0
	s_waitcnt vmcnt(0)
	v_lshlrev_b32_e32 v40, 16, v4
	s_branch .LBB51_883
.LBB51_879:
	s_mov_b32 s3, -1
                                        ; implicit-def: $vgpr40
	s_branch .LBB51_884
.LBB51_880:
	s_or_saveexec_b32 s4, s4
	v_mov_b32_e32 v40, s3
	s_xor_b32 exec_lo, exec_lo, s4
	s_cbranch_execz .LBB51_861
.LBB51_881:
	v_cmp_ne_u16_e32 vcc_lo, 0, v4
	v_mov_b32_e32 v40, 0
	s_and_not1_b32 s2, s2, exec_lo
	s_and_b32 s3, vcc_lo, exec_lo
	s_delay_alu instid0(SALU_CYCLE_1)
	s_or_b32 s2, s2, s3
	s_or_b32 exec_lo, exec_lo, s4
	s_and_saveexec_b32 s3, s2
	s_cbranch_execnz .LBB51_862
	s_branch .LBB51_863
.LBB51_882:
	s_mov_b32 s80, -1
                                        ; implicit-def: $vgpr40
.LBB51_883:
	s_mov_b32 s3, 0
.LBB51_884:
	s_delay_alu instid0(SALU_CYCLE_1)
	s_and_b32 vcc_lo, exec_lo, s3
	s_cbranch_vccz .LBB51_888
; %bb.885:
	v_cmp_eq_u16_e32 vcc_lo, 11, v3
	s_cbranch_vccz .LBB51_887
; %bb.886:
	global_load_u8 v4, v[1:2], off
	s_mov_b32 s80, 0
	s_mov_b32 s2, -1
	s_waitcnt vmcnt(0)
	v_cmp_ne_u16_e32 vcc_lo, 0, v4
	v_cndmask_b32_e64 v40, 0, 1.0, vcc_lo
	s_branch .LBB51_888
.LBB51_887:
	s_mov_b32 s80, -1
                                        ; implicit-def: $vgpr40
.LBB51_888:
	s_mov_b32 s3, 0
.LBB51_889:
	s_delay_alu instid0(SALU_CYCLE_1)
	s_and_b32 vcc_lo, exec_lo, s3
	s_cbranch_vccz .LBB51_938
; %bb.890:
	v_cmp_gt_i16_e32 vcc_lo, 5, v3
	s_cbranch_vccnz .LBB51_895
; %bb.891:
	v_cmp_gt_i16_e32 vcc_lo, 8, v3
	s_cbranch_vccnz .LBB51_896
	;; [unrolled: 3-line block ×3, first 2 shown]
; %bb.893:
	v_cmp_lt_i16_e32 vcc_lo, 9, v3
	s_cbranch_vccz .LBB51_898
; %bb.894:
	global_load_b64 v[4:5], v[1:2], off
	s_mov_b32 s2, 0
	s_waitcnt vmcnt(0)
	v_cvt_f32_f64_e32 v40, v[4:5]
	s_branch .LBB51_899
.LBB51_895:
	s_mov_b32 s2, -1
                                        ; implicit-def: $vgpr40
	s_branch .LBB51_917
.LBB51_896:
	s_mov_b32 s2, -1
                                        ; implicit-def: $vgpr40
	s_branch .LBB51_905
.LBB51_897:
	s_mov_b32 s2, -1
                                        ; implicit-def: $vgpr40
	s_branch .LBB51_902
.LBB51_898:
	s_mov_b32 s2, -1
                                        ; implicit-def: $vgpr40
.LBB51_899:
	s_delay_alu instid0(SALU_CYCLE_1)
	s_and_not1_b32 vcc_lo, exec_lo, s2
	s_cbranch_vccnz .LBB51_901
; %bb.900:
	global_load_b32 v40, v[1:2], off
.LBB51_901:
	s_mov_b32 s2, 0
.LBB51_902:
	s_delay_alu instid0(SALU_CYCLE_1)
	s_and_not1_b32 vcc_lo, exec_lo, s2
	s_cbranch_vccnz .LBB51_904
; %bb.903:
	global_load_b32 v4, v[1:2], off
	s_waitcnt vmcnt(0)
	v_cvt_f32_f16_e32 v40, v4
.LBB51_904:
	s_mov_b32 s2, 0
.LBB51_905:
	s_delay_alu instid0(SALU_CYCLE_1)
	s_and_not1_b32 vcc_lo, exec_lo, s2
	s_cbranch_vccnz .LBB51_916
; %bb.906:
	v_cmp_gt_i16_e32 vcc_lo, 6, v3
	s_cbranch_vccnz .LBB51_909
; %bb.907:
	v_cmp_lt_i16_e32 vcc_lo, 6, v3
	s_cbranch_vccz .LBB51_910
; %bb.908:
	global_load_b64 v[4:5], v[1:2], off
	s_mov_b32 s2, 0
	s_waitcnt vmcnt(0)
	v_cvt_f32_f64_e32 v40, v[4:5]
	s_branch .LBB51_911
.LBB51_909:
	s_mov_b32 s2, -1
                                        ; implicit-def: $vgpr40
	s_branch .LBB51_914
.LBB51_910:
	s_mov_b32 s2, -1
                                        ; implicit-def: $vgpr40
.LBB51_911:
	s_delay_alu instid0(SALU_CYCLE_1)
	s_and_not1_b32 vcc_lo, exec_lo, s2
	s_cbranch_vccnz .LBB51_913
; %bb.912:
	global_load_b32 v40, v[1:2], off
.LBB51_913:
	s_mov_b32 s2, 0
.LBB51_914:
	s_delay_alu instid0(SALU_CYCLE_1)
	s_and_not1_b32 vcc_lo, exec_lo, s2
	s_cbranch_vccnz .LBB51_916
; %bb.915:
	global_load_u16 v4, v[1:2], off
	s_waitcnt vmcnt(0)
	v_cvt_f32_f16_e32 v40, v4
.LBB51_916:
	s_mov_b32 s2, 0
.LBB51_917:
	s_delay_alu instid0(SALU_CYCLE_1)
	s_and_not1_b32 vcc_lo, exec_lo, s2
	s_cbranch_vccnz .LBB51_937
; %bb.918:
	v_cmp_gt_i16_e32 vcc_lo, 2, v3
	s_cbranch_vccnz .LBB51_922
; %bb.919:
	v_cmp_gt_i16_e32 vcc_lo, 3, v3
	s_cbranch_vccnz .LBB51_923
; %bb.920:
	v_cmp_lt_i16_e32 vcc_lo, 3, v3
	s_cbranch_vccz .LBB51_924
; %bb.921:
	global_load_b64 v[4:5], v[1:2], off
	s_mov_b32 s2, 0
	s_waitcnt vmcnt(0)
	v_xor_b32_e32 v6, v4, v5
	v_cls_i32_e32 v7, v5
	s_delay_alu instid0(VALU_DEP_2) | instskip(NEXT) | instid1(VALU_DEP_2)
	v_ashrrev_i32_e32 v6, 31, v6
	v_add_nc_u32_e32 v7, -1, v7
	s_delay_alu instid0(VALU_DEP_2) | instskip(NEXT) | instid1(VALU_DEP_1)
	v_add_nc_u32_e32 v6, 32, v6
	v_min_u32_e32 v6, v7, v6
	s_delay_alu instid0(VALU_DEP_1) | instskip(NEXT) | instid1(VALU_DEP_1)
	v_lshlrev_b64 v[4:5], v6, v[4:5]
	v_min_u32_e32 v4, 1, v4
	s_delay_alu instid0(VALU_DEP_1) | instskip(SKIP_1) | instid1(VALU_DEP_2)
	v_or_b32_e32 v4, v5, v4
	v_sub_nc_u32_e32 v5, 32, v6
	v_cvt_f32_i32_e32 v4, v4
	s_delay_alu instid0(VALU_DEP_1)
	v_ldexp_f32 v40, v4, v5
	s_branch .LBB51_925
.LBB51_922:
	s_mov_b32 s2, -1
                                        ; implicit-def: $vgpr40
	s_branch .LBB51_931
.LBB51_923:
	s_mov_b32 s2, -1
                                        ; implicit-def: $vgpr40
	s_branch .LBB51_928
.LBB51_924:
	s_mov_b32 s2, -1
                                        ; implicit-def: $vgpr40
.LBB51_925:
	s_delay_alu instid0(SALU_CYCLE_1)
	s_and_not1_b32 vcc_lo, exec_lo, s2
	s_cbranch_vccnz .LBB51_927
; %bb.926:
	global_load_b32 v4, v[1:2], off
	s_waitcnt vmcnt(0)
	v_cvt_f32_i32_e32 v40, v4
.LBB51_927:
	s_mov_b32 s2, 0
.LBB51_928:
	s_delay_alu instid0(SALU_CYCLE_1)
	s_and_not1_b32 vcc_lo, exec_lo, s2
	s_cbranch_vccnz .LBB51_930
; %bb.929:
	global_load_i16 v4, v[1:2], off
	s_waitcnt vmcnt(0)
	v_cvt_f32_i32_e32 v40, v4
.LBB51_930:
	s_mov_b32 s2, 0
.LBB51_931:
	s_delay_alu instid0(SALU_CYCLE_1)
	s_and_not1_b32 vcc_lo, exec_lo, s2
	s_cbranch_vccnz .LBB51_937
; %bb.932:
	v_cmp_lt_i16_e32 vcc_lo, 0, v3
	s_mov_b32 s2, 0
	s_cbranch_vccz .LBB51_934
; %bb.933:
	global_load_i8 v3, v[1:2], off
	s_waitcnt vmcnt(0)
	v_cvt_f32_i32_e32 v40, v3
	s_branch .LBB51_935
.LBB51_934:
	s_mov_b32 s2, -1
                                        ; implicit-def: $vgpr40
.LBB51_935:
	s_delay_alu instid0(SALU_CYCLE_1)
	s_and_not1_b32 vcc_lo, exec_lo, s2
	s_cbranch_vccnz .LBB51_937
; %bb.936:
	global_load_u8 v1, v[1:2], off
	s_waitcnt vmcnt(0)
	v_cvt_f32_ubyte0_e32 v40, v1
.LBB51_937:
	s_mov_b32 s2, -1
.LBB51_938:
	s_delay_alu instid0(SALU_CYCLE_1)
	s_and_not1_b32 vcc_lo, exec_lo, s2
	s_cbranch_vccnz .LBB51_946
; %bb.939:
	v_cmp_lt_i16_e64 s2, s65, 11
	v_add_co_u32 v0, s3, s50, v0
	s_delay_alu instid0(VALU_DEP_1) | instskip(NEXT) | instid1(VALU_DEP_3)
	v_add_co_ci_u32_e64 v1, null, s51, 0, s3
	s_and_b32 vcc_lo, exec_lo, s2
	s_mov_b32 s2, 0
	s_cbranch_vccnz .LBB51_947
; %bb.940:
	v_cmp_gt_i16_e64 s2, s65, 25
	s_delay_alu instid0(VALU_DEP_1)
	s_and_b32 vcc_lo, exec_lo, s2
	s_cbranch_vccz .LBB51_948
; %bb.941:
	v_cmp_gt_i16_e64 s2, s65, 28
	s_delay_alu instid0(VALU_DEP_1)
	s_and_b32 vcc_lo, exec_lo, s2
	s_cbranch_vccz .LBB51_949
	;; [unrolled: 5-line block ×4, first 2 shown]
; %bb.944:
	v_cmp_eq_u16_e64 s2, s65, 46
	s_mov_b32 s3, 0
	s_delay_alu instid0(VALU_DEP_1)
	s_and_b32 vcc_lo, exec_lo, s2
	s_cbranch_vccz .LBB51_954
; %bb.945:
	global_load_b32 v2, v[0:1], off
	s_mov_b32 s2, -1
	s_mov_b32 s81, 0
	s_waitcnt vmcnt(0)
	v_lshlrev_b32_e32 v42, 16, v2
	s_branch .LBB51_956
.LBB51_946:
	s_mov_b32 s3, 0
	s_mov_b32 s2, s76
	;; [unrolled: 1-line block ×3, first 2 shown]
	s_branch .LBB51_1124
.LBB51_947:
	s_mov_b32 s3, -1
	s_mov_b32 s81, s77
                                        ; implicit-def: $vgpr42
	s_branch .LBB51_1021
.LBB51_948:
	s_mov_b32 s3, -1
	s_mov_b32 s2, 0
	s_mov_b32 s81, s77
                                        ; implicit-def: $vgpr42
	s_branch .LBB51_985
.LBB51_949:
	s_mov_b32 s3, -1
	s_mov_b32 s2, 0
	s_mov_b32 s81, s77
                                        ; implicit-def: $vgpr42
	s_branch .LBB51_966
.LBB51_950:
	s_mov_b32 s3, -1
	s_mov_b32 s2, 0
	s_mov_b32 s81, s77
                                        ; implicit-def: $vgpr42
	s_branch .LBB51_961
.LBB51_951:
	s_mov_b32 s3, -1
	s_mov_b32 s2, 0
	s_mov_b32 s81, s77
	s_branch .LBB51_955
.LBB51_952:
	s_or_saveexec_b32 s5, s5
                                        ; implicit-def: $sgpr6
	s_delay_alu instid0(SALU_CYCLE_1)
	s_xor_b32 exec_lo, exec_lo, s5
	s_cbranch_execz .LBB51_783
.LBB51_953:
	v_add_f32_e64 v1, 0x42800000, |v0|
	s_and_not1_b32 s4, s4, exec_lo
	s_mov_b32 s6, 0
	s_delay_alu instid0(VALU_DEP_1) | instskip(NEXT) | instid1(VALU_DEP_1)
	v_and_b32_e32 v1, 0xff, v1
	v_cmp_ne_u32_e32 vcc_lo, 0, v1
	s_and_b32 s7, vcc_lo, exec_lo
	s_delay_alu instid0(SALU_CYCLE_1)
	s_or_b32 s4, s4, s7
	s_or_b32 exec_lo, exec_lo, s5
	v_mov_b32_e32 v5, s6
	s_and_saveexec_b32 s5, s4
	s_cbranch_execnz .LBB51_784
	s_branch .LBB51_785
.LBB51_954:
	s_mov_b32 s81, -1
	s_mov_b32 s2, 0
.LBB51_955:
                                        ; implicit-def: $vgpr42
.LBB51_956:
	s_and_b32 vcc_lo, exec_lo, s3
	s_cbranch_vccz .LBB51_960
; %bb.957:
	v_cmp_eq_u16_e64 s3, s65, 44
	s_delay_alu instid0(VALU_DEP_1)
	s_and_b32 vcc_lo, exec_lo, s3
	s_cbranch_vccz .LBB51_959
; %bb.958:
	global_load_u8 v2, v[0:1], off
	s_mov_b32 s81, 0
	s_mov_b32 s2, -1
	s_waitcnt vmcnt(0)
	v_lshlrev_b32_e32 v3, 23, v2
	v_cmp_ne_u32_e32 vcc_lo, 0xff, v2
	s_delay_alu instid0(VALU_DEP_2) | instskip(SKIP_1) | instid1(VALU_DEP_2)
	v_cndmask_b32_e32 v3, 0x7f800001, v3, vcc_lo
	v_cmp_ne_u32_e32 vcc_lo, 0, v2
	v_cndmask_b32_e32 v42, 0x400000, v3, vcc_lo
	s_branch .LBB51_960
.LBB51_959:
	s_mov_b32 s81, -1
                                        ; implicit-def: $vgpr42
.LBB51_960:
	s_mov_b32 s3, 0
.LBB51_961:
	s_delay_alu instid0(SALU_CYCLE_1)
	s_and_b32 vcc_lo, exec_lo, s3
	s_cbranch_vccz .LBB51_965
; %bb.962:
	v_cmp_eq_u16_e64 s3, s65, 29
	s_delay_alu instid0(VALU_DEP_1)
	s_and_b32 vcc_lo, exec_lo, s3
	s_cbranch_vccz .LBB51_964
; %bb.963:
	global_load_b64 v[2:3], v[0:1], off
	s_mov_b32 s2, -1
	s_mov_b32 s81, 0
	s_mov_b32 s3, 0
	s_waitcnt vmcnt(0)
	v_clz_i32_u32_e32 v4, v3
	s_delay_alu instid0(VALU_DEP_1) | instskip(NEXT) | instid1(VALU_DEP_1)
	v_min_u32_e32 v4, 32, v4
	v_lshlrev_b64 v[2:3], v4, v[2:3]
	s_delay_alu instid0(VALU_DEP_1) | instskip(NEXT) | instid1(VALU_DEP_1)
	v_min_u32_e32 v2, 1, v2
	v_or_b32_e32 v2, v3, v2
	v_sub_nc_u32_e32 v3, 32, v4
	s_delay_alu instid0(VALU_DEP_2) | instskip(NEXT) | instid1(VALU_DEP_1)
	v_cvt_f32_u32_e32 v2, v2
	v_ldexp_f32 v42, v2, v3
	s_branch .LBB51_966
.LBB51_964:
	s_mov_b32 s81, -1
                                        ; implicit-def: $vgpr42
.LBB51_965:
	s_mov_b32 s3, 0
.LBB51_966:
	s_delay_alu instid0(SALU_CYCLE_1)
	s_and_b32 vcc_lo, exec_lo, s3
	s_cbranch_vccz .LBB51_984
; %bb.967:
	v_cmp_lt_i16_e64 s2, s65, 27
	s_delay_alu instid0(VALU_DEP_1)
	s_and_b32 vcc_lo, exec_lo, s2
	s_cbranch_vccnz .LBB51_970
; %bb.968:
	v_cmp_gt_i16_e64 s2, s65, 27
	s_delay_alu instid0(VALU_DEP_1)
	s_and_b32 vcc_lo, exec_lo, s2
	s_cbranch_vccz .LBB51_971
; %bb.969:
	global_load_b32 v2, v[0:1], off
	s_mov_b32 s2, 0
	s_waitcnt vmcnt(0)
	v_cvt_f32_u32_e32 v42, v2
	s_branch .LBB51_972
.LBB51_970:
	s_mov_b32 s2, -1
                                        ; implicit-def: $vgpr42
	s_branch .LBB51_975
.LBB51_971:
	s_mov_b32 s2, -1
                                        ; implicit-def: $vgpr42
.LBB51_972:
	s_delay_alu instid0(SALU_CYCLE_1)
	s_and_not1_b32 vcc_lo, exec_lo, s2
	s_cbranch_vccnz .LBB51_974
; %bb.973:
	global_load_u16 v2, v[0:1], off
	s_waitcnt vmcnt(0)
	v_cvt_f32_u32_e32 v42, v2
.LBB51_974:
	s_mov_b32 s2, 0
.LBB51_975:
	s_delay_alu instid0(SALU_CYCLE_1)
	s_and_not1_b32 vcc_lo, exec_lo, s2
	s_cbranch_vccnz .LBB51_983
; %bb.976:
	global_load_u8 v2, v[0:1], off
	s_mov_b32 s2, 0
	s_mov_b32 s4, exec_lo
                                        ; implicit-def: $sgpr3
	s_waitcnt vmcnt(0)
	v_cmpx_lt_i16_e32 0x7f, v2
	s_xor_b32 s4, exec_lo, s4
	s_cbranch_execz .LBB51_997
; %bb.977:
	s_mov_b32 s2, -1
	s_mov_b32 s5, exec_lo
                                        ; implicit-def: $sgpr3
	v_cmpx_eq_u16_e32 0x80, v2
; %bb.978:
	s_mov_b32 s3, 0x7f800001
	s_xor_b32 s2, exec_lo, -1
; %bb.979:
	s_or_b32 exec_lo, exec_lo, s5
	s_delay_alu instid0(SALU_CYCLE_1)
	s_and_b32 s2, s2, exec_lo
	s_or_saveexec_b32 s4, s4
	v_mov_b32_e32 v42, s3
	s_xor_b32 exec_lo, exec_lo, s4
	s_cbranch_execnz .LBB51_998
.LBB51_980:
	s_or_b32 exec_lo, exec_lo, s4
	s_and_saveexec_b32 s3, s2
	s_cbranch_execz .LBB51_982
.LBB51_981:
	v_and_b32_e32 v3, 0xffff, v2
	v_lshlrev_b32_e32 v2, 24, v2
	s_delay_alu instid0(VALU_DEP_2) | instskip(NEXT) | instid1(VALU_DEP_2)
	v_and_b32_e32 v4, 7, v3
	v_and_b32_e32 v2, 0x80000000, v2
	s_delay_alu instid0(VALU_DEP_2) | instskip(NEXT) | instid1(VALU_DEP_1)
	v_clz_i32_u32_e32 v5, v4
	v_min_u32_e32 v5, 32, v5
	s_delay_alu instid0(VALU_DEP_1) | instskip(SKIP_1) | instid1(VALU_DEP_2)
	v_subrev_nc_u32_e32 v6, 28, v5
	v_sub_nc_u32_e32 v5, 29, v5
	v_lshlrev_b32_e32 v6, v6, v3
	v_bfe_u32 v3, v3, 3, 4
	s_delay_alu instid0(VALU_DEP_2) | instskip(NEXT) | instid1(VALU_DEP_2)
	v_and_b32_e32 v6, 7, v6
	v_cmp_eq_u32_e32 vcc_lo, 0, v3
	s_delay_alu instid0(VALU_DEP_2) | instskip(NEXT) | instid1(VALU_DEP_1)
	v_dual_cndmask_b32 v3, v3, v5 :: v_dual_cndmask_b32 v4, v4, v6
	v_lshl_add_u32 v3, v3, 23, 0x3b800000
	s_delay_alu instid0(VALU_DEP_2) | instskip(NEXT) | instid1(VALU_DEP_1)
	v_lshlrev_b32_e32 v4, 20, v4
	v_or3_b32 v42, v2, v3, v4
.LBB51_982:
	s_or_b32 exec_lo, exec_lo, s3
.LBB51_983:
	s_mov_b32 s2, -1
.LBB51_984:
	s_mov_b32 s3, 0
.LBB51_985:
	s_delay_alu instid0(SALU_CYCLE_1)
	s_and_b32 vcc_lo, exec_lo, s3
	s_cbranch_vccz .LBB51_1020
; %bb.986:
	v_cmp_gt_i16_e64 s3, s65, 22
	s_delay_alu instid0(VALU_DEP_1)
	s_and_b32 vcc_lo, exec_lo, s3
	s_cbranch_vccz .LBB51_996
; %bb.987:
	v_cmp_lt_i16_e64 s2, s65, 24
	s_delay_alu instid0(VALU_DEP_1)
	s_and_b32 vcc_lo, exec_lo, s2
	s_cbranch_vccnz .LBB51_999
; %bb.988:
	v_cmp_gt_i16_e64 s2, s65, 24
	s_delay_alu instid0(VALU_DEP_1)
	s_and_b32 vcc_lo, exec_lo, s2
	s_cbranch_vccz .LBB51_1000
; %bb.989:
	global_load_u8 v2, v[0:1], off
	s_mov_b32 s2, 0
	s_mov_b32 s4, exec_lo
                                        ; implicit-def: $sgpr3
	s_waitcnt vmcnt(0)
	v_cmpx_lt_i16_e32 0x7f, v2
	s_xor_b32 s4, exec_lo, s4
	s_cbranch_execz .LBB51_1012
; %bb.990:
	s_mov_b32 s2, -1
	s_mov_b32 s5, exec_lo
                                        ; implicit-def: $sgpr3
	v_cmpx_eq_u16_e32 0x80, v2
; %bb.991:
	s_mov_b32 s3, 0x7f800001
	s_xor_b32 s2, exec_lo, -1
; %bb.992:
	s_or_b32 exec_lo, exec_lo, s5
	s_delay_alu instid0(SALU_CYCLE_1)
	s_and_b32 s2, s2, exec_lo
	s_or_saveexec_b32 s4, s4
	v_mov_b32_e32 v42, s3
	s_xor_b32 exec_lo, exec_lo, s4
	s_cbranch_execnz .LBB51_1013
.LBB51_993:
	s_or_b32 exec_lo, exec_lo, s4
	s_and_saveexec_b32 s3, s2
	s_cbranch_execz .LBB51_995
.LBB51_994:
	v_and_b32_e32 v3, 0xffff, v2
	v_lshlrev_b32_e32 v2, 24, v2
	s_delay_alu instid0(VALU_DEP_2) | instskip(NEXT) | instid1(VALU_DEP_2)
	v_and_b32_e32 v4, 3, v3
	v_and_b32_e32 v2, 0x80000000, v2
	s_delay_alu instid0(VALU_DEP_2) | instskip(NEXT) | instid1(VALU_DEP_1)
	v_clz_i32_u32_e32 v5, v4
	v_min_u32_e32 v5, 32, v5
	s_delay_alu instid0(VALU_DEP_1) | instskip(SKIP_1) | instid1(VALU_DEP_2)
	v_subrev_nc_u32_e32 v6, 29, v5
	v_sub_nc_u32_e32 v5, 30, v5
	v_lshlrev_b32_e32 v6, v6, v3
	v_bfe_u32 v3, v3, 2, 5
	s_delay_alu instid0(VALU_DEP_2) | instskip(NEXT) | instid1(VALU_DEP_2)
	v_and_b32_e32 v6, 3, v6
	v_cmp_eq_u32_e32 vcc_lo, 0, v3
	s_delay_alu instid0(VALU_DEP_2) | instskip(NEXT) | instid1(VALU_DEP_1)
	v_dual_cndmask_b32 v3, v3, v5 :: v_dual_cndmask_b32 v4, v4, v6
	v_lshl_add_u32 v3, v3, 23, 0x37800000
	s_delay_alu instid0(VALU_DEP_2) | instskip(NEXT) | instid1(VALU_DEP_1)
	v_lshlrev_b32_e32 v4, 21, v4
	v_or3_b32 v42, v2, v3, v4
.LBB51_995:
	s_or_b32 exec_lo, exec_lo, s3
	s_mov_b32 s2, 0
	s_branch .LBB51_1001
.LBB51_996:
	s_mov_b32 s3, -1
                                        ; implicit-def: $vgpr42
	s_branch .LBB51_1007
.LBB51_997:
	s_or_saveexec_b32 s4, s4
	v_mov_b32_e32 v42, s3
	s_xor_b32 exec_lo, exec_lo, s4
	s_cbranch_execz .LBB51_980
.LBB51_998:
	v_cmp_ne_u16_e32 vcc_lo, 0, v2
	v_mov_b32_e32 v42, 0
	s_and_not1_b32 s2, s2, exec_lo
	s_and_b32 s3, vcc_lo, exec_lo
	s_delay_alu instid0(SALU_CYCLE_1)
	s_or_b32 s2, s2, s3
	s_or_b32 exec_lo, exec_lo, s4
	s_and_saveexec_b32 s3, s2
	s_cbranch_execnz .LBB51_981
	s_branch .LBB51_982
.LBB51_999:
	s_mov_b32 s2, -1
                                        ; implicit-def: $vgpr42
	s_branch .LBB51_1004
.LBB51_1000:
	s_mov_b32 s2, -1
                                        ; implicit-def: $vgpr42
.LBB51_1001:
	s_delay_alu instid0(SALU_CYCLE_1)
	s_and_b32 vcc_lo, exec_lo, s2
	s_cbranch_vccz .LBB51_1003
; %bb.1002:
	global_load_u8 v2, v[0:1], off
	s_waitcnt vmcnt(0)
	v_lshlrev_b32_e32 v2, 24, v2
	s_delay_alu instid0(VALU_DEP_1) | instskip(NEXT) | instid1(VALU_DEP_1)
	v_and_b32_e32 v3, 0x7f000000, v2
	v_clz_i32_u32_e32 v4, v3
	v_add_nc_u32_e32 v6, 0x1000000, v3
	v_cmp_ne_u32_e32 vcc_lo, 0, v3
	s_delay_alu instid0(VALU_DEP_3) | instskip(NEXT) | instid1(VALU_DEP_1)
	v_min_u32_e32 v4, 32, v4
	v_sub_nc_u32_e64 v4, v4, 4 clamp
	s_delay_alu instid0(VALU_DEP_1) | instskip(SKIP_1) | instid1(VALU_DEP_2)
	v_lshlrev_b32_e32 v5, v4, v3
	v_lshlrev_b32_e32 v4, 23, v4
	v_lshrrev_b32_e32 v5, 4, v5
	s_delay_alu instid0(VALU_DEP_1) | instskip(SKIP_1) | instid1(VALU_DEP_2)
	v_sub_nc_u32_e32 v4, v5, v4
	v_ashrrev_i32_e32 v5, 8, v6
	v_add_nc_u32_e32 v4, 0x3c000000, v4
	s_delay_alu instid0(VALU_DEP_1) | instskip(NEXT) | instid1(VALU_DEP_1)
	v_and_or_b32 v4, 0x7f800000, v5, v4
	v_cndmask_b32_e32 v3, 0, v4, vcc_lo
	s_delay_alu instid0(VALU_DEP_1)
	v_and_or_b32 v42, 0x80000000, v2, v3
.LBB51_1003:
	s_mov_b32 s2, 0
.LBB51_1004:
	s_delay_alu instid0(SALU_CYCLE_1)
	s_and_not1_b32 vcc_lo, exec_lo, s2
	s_cbranch_vccnz .LBB51_1006
; %bb.1005:
	global_load_u8 v2, v[0:1], off
	s_waitcnt vmcnt(0)
	v_lshlrev_b32_e32 v3, 25, v2
	v_lshlrev_b16 v2, 8, v2
	s_delay_alu instid0(VALU_DEP_2) | instskip(NEXT) | instid1(VALU_DEP_2)
	v_lshrrev_b32_e32 v4, 4, v3
	v_and_or_b32 v5, 0x7f00, v2, 0.5
	v_bfe_i32 v2, v2, 0, 16
	s_delay_alu instid0(VALU_DEP_3) | instskip(NEXT) | instid1(VALU_DEP_1)
	v_or_b32_e32 v4, 0x70000000, v4
	v_dual_add_f32 v5, -0.5, v5 :: v_dual_mul_f32 v4, 0x7800000, v4
	v_cmp_gt_u32_e32 vcc_lo, 0x8000000, v3
	s_delay_alu instid0(VALU_DEP_2) | instskip(NEXT) | instid1(VALU_DEP_1)
	v_cndmask_b32_e32 v3, v4, v5, vcc_lo
	v_and_or_b32 v42, 0x80000000, v2, v3
.LBB51_1006:
	s_mov_b32 s3, 0
	s_mov_b32 s2, -1
.LBB51_1007:
	s_and_not1_b32 vcc_lo, exec_lo, s3
	s_cbranch_vccnz .LBB51_1020
; %bb.1008:
	v_cmp_gt_i16_e64 s3, s65, 14
	s_delay_alu instid0(VALU_DEP_1)
	s_and_b32 vcc_lo, exec_lo, s3
	s_cbranch_vccz .LBB51_1011
; %bb.1009:
	v_cmp_eq_u16_e64 s3, s65, 15
	s_delay_alu instid0(VALU_DEP_1)
	s_and_b32 vcc_lo, exec_lo, s3
	s_cbranch_vccz .LBB51_1014
; %bb.1010:
	global_load_u16 v2, v[0:1], off
	s_mov_b32 s2, -1
	s_mov_b32 s81, 0
	s_waitcnt vmcnt(0)
	v_lshlrev_b32_e32 v42, 16, v2
	s_branch .LBB51_1015
.LBB51_1011:
	s_mov_b32 s3, -1
                                        ; implicit-def: $vgpr42
	s_branch .LBB51_1016
.LBB51_1012:
	s_or_saveexec_b32 s4, s4
	v_mov_b32_e32 v42, s3
	s_xor_b32 exec_lo, exec_lo, s4
	s_cbranch_execz .LBB51_993
.LBB51_1013:
	v_cmp_ne_u16_e32 vcc_lo, 0, v2
	v_mov_b32_e32 v42, 0
	s_and_not1_b32 s2, s2, exec_lo
	s_and_b32 s3, vcc_lo, exec_lo
	s_delay_alu instid0(SALU_CYCLE_1)
	s_or_b32 s2, s2, s3
	s_or_b32 exec_lo, exec_lo, s4
	s_and_saveexec_b32 s3, s2
	s_cbranch_execnz .LBB51_994
	s_branch .LBB51_995
.LBB51_1014:
	s_mov_b32 s81, -1
                                        ; implicit-def: $vgpr42
.LBB51_1015:
	s_mov_b32 s3, 0
.LBB51_1016:
	s_delay_alu instid0(SALU_CYCLE_1)
	s_and_b32 vcc_lo, exec_lo, s3
	s_cbranch_vccz .LBB51_1020
; %bb.1017:
	v_cmp_eq_u16_e64 s3, s65, 11
	s_delay_alu instid0(VALU_DEP_1)
	s_and_b32 vcc_lo, exec_lo, s3
	s_cbranch_vccz .LBB51_1019
; %bb.1018:
	global_load_u8 v2, v[0:1], off
	s_mov_b32 s81, 0
	s_mov_b32 s2, -1
	s_waitcnt vmcnt(0)
	v_cmp_ne_u16_e32 vcc_lo, 0, v2
	v_cndmask_b32_e64 v42, 0, 1.0, vcc_lo
	s_branch .LBB51_1020
.LBB51_1019:
	s_mov_b32 s81, -1
                                        ; implicit-def: $vgpr42
.LBB51_1020:
	s_mov_b32 s3, 0
.LBB51_1021:
	s_delay_alu instid0(SALU_CYCLE_1)
	s_and_b32 vcc_lo, exec_lo, s3
	s_cbranch_vccz .LBB51_1070
; %bb.1022:
	v_cmp_lt_i16_e64 s2, s65, 5
	s_delay_alu instid0(VALU_DEP_1)
	s_and_b32 vcc_lo, exec_lo, s2
	s_cbranch_vccnz .LBB51_1027
; %bb.1023:
	v_cmp_lt_i16_e64 s2, s65, 8
	s_delay_alu instid0(VALU_DEP_1)
	s_and_b32 vcc_lo, exec_lo, s2
	s_cbranch_vccnz .LBB51_1028
	;; [unrolled: 5-line block ×3, first 2 shown]
; %bb.1025:
	v_cmp_gt_i16_e64 s2, s65, 9
	s_delay_alu instid0(VALU_DEP_1)
	s_and_b32 vcc_lo, exec_lo, s2
	s_cbranch_vccz .LBB51_1030
; %bb.1026:
	global_load_b64 v[2:3], v[0:1], off
	s_mov_b32 s2, 0
	s_waitcnt vmcnt(0)
	v_cvt_f32_f64_e32 v42, v[2:3]
	s_branch .LBB51_1031
.LBB51_1027:
	s_mov_b32 s2, -1
                                        ; implicit-def: $vgpr42
	s_branch .LBB51_1049
.LBB51_1028:
	s_mov_b32 s2, -1
                                        ; implicit-def: $vgpr42
	s_branch .LBB51_1037
.LBB51_1029:
	s_mov_b32 s2, -1
                                        ; implicit-def: $vgpr42
	s_branch .LBB51_1034
.LBB51_1030:
	s_mov_b32 s2, -1
                                        ; implicit-def: $vgpr42
.LBB51_1031:
	s_delay_alu instid0(SALU_CYCLE_1)
	s_and_not1_b32 vcc_lo, exec_lo, s2
	s_cbranch_vccnz .LBB51_1033
; %bb.1032:
	global_load_b32 v42, v[0:1], off
.LBB51_1033:
	s_mov_b32 s2, 0
.LBB51_1034:
	s_delay_alu instid0(SALU_CYCLE_1)
	s_and_not1_b32 vcc_lo, exec_lo, s2
	s_cbranch_vccnz .LBB51_1036
; %bb.1035:
	global_load_b32 v2, v[0:1], off
	s_waitcnt vmcnt(0)
	v_cvt_f32_f16_e32 v42, v2
.LBB51_1036:
	s_mov_b32 s2, 0
.LBB51_1037:
	s_delay_alu instid0(SALU_CYCLE_1)
	s_and_not1_b32 vcc_lo, exec_lo, s2
	s_cbranch_vccnz .LBB51_1048
; %bb.1038:
	v_cmp_lt_i16_e64 s2, s65, 6
	s_delay_alu instid0(VALU_DEP_1)
	s_and_b32 vcc_lo, exec_lo, s2
	s_cbranch_vccnz .LBB51_1041
; %bb.1039:
	v_cmp_gt_i16_e64 s2, s65, 6
	s_delay_alu instid0(VALU_DEP_1)
	s_and_b32 vcc_lo, exec_lo, s2
	s_cbranch_vccz .LBB51_1042
; %bb.1040:
	global_load_b64 v[2:3], v[0:1], off
	s_mov_b32 s2, 0
	s_waitcnt vmcnt(0)
	v_cvt_f32_f64_e32 v42, v[2:3]
	s_branch .LBB51_1043
.LBB51_1041:
	s_mov_b32 s2, -1
                                        ; implicit-def: $vgpr42
	s_branch .LBB51_1046
.LBB51_1042:
	s_mov_b32 s2, -1
                                        ; implicit-def: $vgpr42
.LBB51_1043:
	s_delay_alu instid0(SALU_CYCLE_1)
	s_and_not1_b32 vcc_lo, exec_lo, s2
	s_cbranch_vccnz .LBB51_1045
; %bb.1044:
	global_load_b32 v42, v[0:1], off
.LBB51_1045:
	s_mov_b32 s2, 0
.LBB51_1046:
	s_delay_alu instid0(SALU_CYCLE_1)
	s_and_not1_b32 vcc_lo, exec_lo, s2
	s_cbranch_vccnz .LBB51_1048
; %bb.1047:
	global_load_u16 v2, v[0:1], off
	s_waitcnt vmcnt(0)
	v_cvt_f32_f16_e32 v42, v2
.LBB51_1048:
	s_mov_b32 s2, 0
.LBB51_1049:
	s_delay_alu instid0(SALU_CYCLE_1)
	s_and_not1_b32 vcc_lo, exec_lo, s2
	s_cbranch_vccnz .LBB51_1069
; %bb.1050:
	v_cmp_lt_i16_e64 s2, s65, 2
	s_delay_alu instid0(VALU_DEP_1)
	s_and_b32 vcc_lo, exec_lo, s2
	s_cbranch_vccnz .LBB51_1054
; %bb.1051:
	v_cmp_lt_i16_e64 s2, s65, 3
	s_delay_alu instid0(VALU_DEP_1)
	s_and_b32 vcc_lo, exec_lo, s2
	s_cbranch_vccnz .LBB51_1055
; %bb.1052:
	v_cmp_gt_i16_e64 s2, s65, 3
	s_delay_alu instid0(VALU_DEP_1)
	s_and_b32 vcc_lo, exec_lo, s2
	s_cbranch_vccz .LBB51_1056
; %bb.1053:
	global_load_b64 v[2:3], v[0:1], off
	s_mov_b32 s2, 0
	s_waitcnt vmcnt(0)
	v_xor_b32_e32 v4, v2, v3
	v_cls_i32_e32 v5, v3
	s_delay_alu instid0(VALU_DEP_2) | instskip(NEXT) | instid1(VALU_DEP_2)
	v_ashrrev_i32_e32 v4, 31, v4
	v_add_nc_u32_e32 v5, -1, v5
	s_delay_alu instid0(VALU_DEP_2) | instskip(NEXT) | instid1(VALU_DEP_1)
	v_add_nc_u32_e32 v4, 32, v4
	v_min_u32_e32 v4, v5, v4
	s_delay_alu instid0(VALU_DEP_1) | instskip(NEXT) | instid1(VALU_DEP_1)
	v_lshlrev_b64 v[2:3], v4, v[2:3]
	v_min_u32_e32 v2, 1, v2
	s_delay_alu instid0(VALU_DEP_1) | instskip(SKIP_1) | instid1(VALU_DEP_2)
	v_or_b32_e32 v2, v3, v2
	v_sub_nc_u32_e32 v3, 32, v4
	v_cvt_f32_i32_e32 v2, v2
	s_delay_alu instid0(VALU_DEP_1)
	v_ldexp_f32 v42, v2, v3
	s_branch .LBB51_1057
.LBB51_1054:
	s_mov_b32 s2, -1
                                        ; implicit-def: $vgpr42
	s_branch .LBB51_1063
.LBB51_1055:
	s_mov_b32 s2, -1
                                        ; implicit-def: $vgpr42
	s_branch .LBB51_1060
.LBB51_1056:
	s_mov_b32 s2, -1
                                        ; implicit-def: $vgpr42
.LBB51_1057:
	s_delay_alu instid0(SALU_CYCLE_1)
	s_and_not1_b32 vcc_lo, exec_lo, s2
	s_cbranch_vccnz .LBB51_1059
; %bb.1058:
	global_load_b32 v2, v[0:1], off
	s_waitcnt vmcnt(0)
	v_cvt_f32_i32_e32 v42, v2
.LBB51_1059:
	s_mov_b32 s2, 0
.LBB51_1060:
	s_delay_alu instid0(SALU_CYCLE_1)
	s_and_not1_b32 vcc_lo, exec_lo, s2
	s_cbranch_vccnz .LBB51_1062
; %bb.1061:
	global_load_i16 v2, v[0:1], off
	s_waitcnt vmcnt(0)
	v_cvt_f32_i32_e32 v42, v2
.LBB51_1062:
	s_mov_b32 s2, 0
.LBB51_1063:
	s_delay_alu instid0(SALU_CYCLE_1)
	s_and_not1_b32 vcc_lo, exec_lo, s2
	s_cbranch_vccnz .LBB51_1069
; %bb.1064:
	v_cmp_gt_i16_e64 s2, s65, 0
	s_delay_alu instid0(VALU_DEP_1)
	s_and_b32 vcc_lo, exec_lo, s2
	s_mov_b32 s2, 0
	s_cbranch_vccz .LBB51_1066
; %bb.1065:
	global_load_i8 v2, v[0:1], off
	s_waitcnt vmcnt(0)
	v_cvt_f32_i32_e32 v42, v2
	s_branch .LBB51_1067
.LBB51_1066:
	s_mov_b32 s2, -1
                                        ; implicit-def: $vgpr42
.LBB51_1067:
	s_delay_alu instid0(SALU_CYCLE_1)
	s_and_not1_b32 vcc_lo, exec_lo, s2
	s_cbranch_vccnz .LBB51_1069
; %bb.1068:
	global_load_u8 v0, v[0:1], off
	s_waitcnt vmcnt(0)
	v_cvt_f32_ubyte0_e32 v42, v0
.LBB51_1069:
	s_mov_b32 s2, -1
.LBB51_1070:
	s_delay_alu instid0(SALU_CYCLE_1)
	s_and_not1_b32 vcc_lo, exec_lo, s2
	s_cbranch_vccnz .LBB51_1073
; %bb.1071:
	s_mov_b64 s[56:57], s[0:1]
	s_and_not1_b32 vcc_lo, exec_lo, s64
	s_cbranch_vccnz .LBB51_1074
; %bb.1072:
	s_waitcnt vmcnt(0)
	s_delay_alu instid0(VALU_DEP_1) | instskip(SKIP_3) | instid1(SALU_CYCLE_1)
	v_dual_mov_b32 v0, v40 :: v_dual_mov_b32 v1, v42
	s_getpc_b64 s[0:1]
	s_add_u32 s0, s0, _ZN12_GLOBAL__N_111calc_igammaIfEET_S1_S1_@rel32@lo+4
	s_addc_u32 s1, s1, _ZN12_GLOBAL__N_111calc_igammaIfEET_S1_S1_@rel32@hi+12
	s_swappc_b64 s[30:31], s[0:1]
	s_mov_b32 s0, 0
	s_branch .LBB51_1075
.LBB51_1073:
	s_mov_b32 s3, 0
	s_mov_b32 s2, s76
	s_branch .LBB51_1124
.LBB51_1074:
	s_mov_b32 s0, -1
                                        ; implicit-def: $vgpr0
.LBB51_1075:
	s_delay_alu instid0(SALU_CYCLE_1)
	s_and_not1_b32 vcc_lo, exec_lo, s0
	s_cbranch_vccnz .LBB51_1077
; %bb.1076:
	s_waitcnt vmcnt(0)
	s_delay_alu instid0(VALU_DEP_1) | instskip(SKIP_3) | instid1(SALU_CYCLE_1)
	v_dual_mov_b32 v0, v40 :: v_dual_mov_b32 v1, v42
	s_getpc_b64 s[0:1]
	s_add_u32 s0, s0, _ZN12_GLOBAL__N_112calc_igammacIfEET_S1_S1_@rel32@lo+4
	s_addc_u32 s1, s1, _ZN12_GLOBAL__N_112calc_igammacIfEET_S1_S1_@rel32@hi+12
	s_swappc_b64 s[30:31], s[0:1]
.LBB51_1077:
	v_and_b32_e64 v4, 0xff, s63
	v_add_co_u32 v2, s2, s36, v43
	s_delay_alu instid0(VALU_DEP_1) | instskip(NEXT) | instid1(VALU_DEP_3)
	v_add_co_ci_u32_e64 v3, null, s37, 0, s2
	v_cmp_gt_i16_e32 vcc_lo, 11, v4
	s_mov_b64 s[0:1], s[56:57]
	s_mov_b32 s3, 0
	s_mov_b32 s4, -1
	s_mov_b32 s2, s76
	s_cbranch_vccnz .LBB51_1084
; %bb.1078:
	v_cmp_lt_i16_e32 vcc_lo, 25, v4
	s_cbranch_vccz .LBB51_1147
; %bb.1079:
	v_cmp_lt_i16_e32 vcc_lo, 28, v4
	s_cbranch_vccz .LBB51_1149
	;; [unrolled: 3-line block ×4, first 2 shown]
; %bb.1082:
	v_cmp_eq_u16_e32 vcc_lo, 46, v4
	s_mov_b32 s4, 0
	s_mov_b32 s2, -1
	s_cbranch_vccz .LBB51_1154
; %bb.1083:
	v_bfe_u32 v1, v0, 16, 1
	v_cmp_o_f32_e32 vcc_lo, v0, v0
	s_mov_b32 s3, -1
	s_mov_b32 s2, 0
	s_delay_alu instid0(VALU_DEP_2) | instskip(NEXT) | instid1(VALU_DEP_1)
	v_add3_u32 v1, v0, v1, 0x7fff
	v_lshrrev_b32_e32 v1, 16, v1
	s_delay_alu instid0(VALU_DEP_1)
	v_cndmask_b32_e32 v1, 0x7fc0, v1, vcc_lo
	global_store_b32 v[2:3], v1, off
	s_branch .LBB51_1154
.LBB51_1084:
	s_and_b32 vcc_lo, exec_lo, s4
	s_cbranch_vccz .LBB51_1223
; %bb.1085:
	v_cmp_gt_i16_e32 vcc_lo, 5, v4
	s_mov_b32 s3, -1
	s_cbranch_vccnz .LBB51_1106
; %bb.1086:
	v_cmp_gt_i16_e32 vcc_lo, 8, v4
	s_cbranch_vccnz .LBB51_1096
; %bb.1087:
	v_cmp_gt_i16_e32 vcc_lo, 9, v4
	s_cbranch_vccnz .LBB51_1093
; %bb.1088:
	v_cmp_lt_i16_e32 vcc_lo, 9, v4
	s_cbranch_vccz .LBB51_1090
; %bb.1089:
	v_cvt_f64_f32_e32 v[5:6], v0
	v_mov_b32_e32 v7, 0
	s_mov_b32 s3, 0
	s_delay_alu instid0(VALU_DEP_1)
	v_mov_b32_e32 v8, v7
	global_store_b128 v[2:3], v[5:8], off
.LBB51_1090:
	s_and_not1_b32 vcc_lo, exec_lo, s3
	s_cbranch_vccnz .LBB51_1092
; %bb.1091:
	v_mov_b32_e32 v1, 0
	global_store_b64 v[2:3], v[0:1], off
.LBB51_1092:
	s_mov_b32 s3, 0
.LBB51_1093:
	s_delay_alu instid0(SALU_CYCLE_1)
	s_and_not1_b32 vcc_lo, exec_lo, s3
	s_cbranch_vccnz .LBB51_1095
; %bb.1094:
	v_cvt_f16_f32_e32 v1, v0
	s_delay_alu instid0(VALU_DEP_1)
	v_and_b32_e32 v1, 0xffff, v1
	global_store_b32 v[2:3], v1, off
.LBB51_1095:
	s_mov_b32 s3, 0
.LBB51_1096:
	s_delay_alu instid0(SALU_CYCLE_1)
	s_and_not1_b32 vcc_lo, exec_lo, s3
	s_cbranch_vccnz .LBB51_1105
; %bb.1097:
	v_cmp_gt_i16_e32 vcc_lo, 6, v4
	s_mov_b32 s3, -1
	s_cbranch_vccnz .LBB51_1103
; %bb.1098:
	v_cmp_lt_i16_e32 vcc_lo, 6, v4
	s_cbranch_vccz .LBB51_1100
; %bb.1099:
	v_cvt_f64_f32_e32 v[5:6], v0
	s_mov_b32 s3, 0
	global_store_b64 v[2:3], v[5:6], off
.LBB51_1100:
	s_and_not1_b32 vcc_lo, exec_lo, s3
	s_cbranch_vccnz .LBB51_1102
; %bb.1101:
	global_store_b32 v[2:3], v0, off
.LBB51_1102:
	s_mov_b32 s3, 0
.LBB51_1103:
	s_delay_alu instid0(SALU_CYCLE_1)
	s_and_not1_b32 vcc_lo, exec_lo, s3
	s_cbranch_vccnz .LBB51_1105
; %bb.1104:
	v_cvt_f16_f32_e32 v1, v0
	global_store_b16 v[2:3], v1, off
.LBB51_1105:
	s_mov_b32 s3, 0
.LBB51_1106:
	s_delay_alu instid0(SALU_CYCLE_1)
	s_and_not1_b32 vcc_lo, exec_lo, s3
	s_cbranch_vccnz .LBB51_1122
; %bb.1107:
	v_cmp_gt_i16_e32 vcc_lo, 2, v4
	s_mov_b32 s3, -1
	s_cbranch_vccnz .LBB51_1117
; %bb.1108:
	v_cmp_gt_i16_e32 vcc_lo, 3, v4
	s_cbranch_vccnz .LBB51_1114
; %bb.1109:
	v_cmp_lt_i16_e32 vcc_lo, 3, v4
	s_cbranch_vccz .LBB51_1111
; %bb.1110:
	v_trunc_f32_e32 v1, v0
	s_mov_b32 s3, 0
	s_delay_alu instid0(VALU_DEP_1) | instskip(NEXT) | instid1(VALU_DEP_1)
	v_mul_f32_e64 v5, 0x2f800000, |v1|
	v_floor_f32_e32 v5, v5
	s_delay_alu instid0(VALU_DEP_1) | instskip(SKIP_2) | instid1(VALU_DEP_3)
	v_fma_f32 v6, 0xcf800000, v5, |v1|
	v_ashrrev_i32_e32 v1, 31, v1
	v_cvt_u32_f32_e32 v5, v5
	v_cvt_u32_f32_e32 v6, v6
	s_delay_alu instid0(VALU_DEP_2) | instskip(NEXT) | instid1(VALU_DEP_2)
	v_xor_b32_e32 v7, v5, v1
	v_xor_b32_e32 v6, v6, v1
	s_delay_alu instid0(VALU_DEP_1) | instskip(NEXT) | instid1(VALU_DEP_3)
	v_sub_co_u32 v5, vcc_lo, v6, v1
	v_sub_co_ci_u32_e32 v6, vcc_lo, v7, v1, vcc_lo
	global_store_b64 v[2:3], v[5:6], off
.LBB51_1111:
	s_and_not1_b32 vcc_lo, exec_lo, s3
	s_cbranch_vccnz .LBB51_1113
; %bb.1112:
	v_cvt_i32_f32_e32 v1, v0
	global_store_b32 v[2:3], v1, off
.LBB51_1113:
	s_mov_b32 s3, 0
.LBB51_1114:
	s_delay_alu instid0(SALU_CYCLE_1)
	s_and_not1_b32 vcc_lo, exec_lo, s3
	s_cbranch_vccnz .LBB51_1116
; %bb.1115:
	v_cvt_i32_f32_e32 v1, v0
	global_store_b16 v[2:3], v1, off
.LBB51_1116:
	s_mov_b32 s3, 0
.LBB51_1117:
	s_delay_alu instid0(SALU_CYCLE_1)
	s_and_not1_b32 vcc_lo, exec_lo, s3
	s_cbranch_vccnz .LBB51_1122
; %bb.1118:
	v_cmp_lt_i16_e32 vcc_lo, 0, v4
	s_mov_b32 s3, -1
	s_cbranch_vccz .LBB51_1120
; %bb.1119:
	v_cvt_i32_f32_e32 v1, v0
	s_mov_b32 s3, 0
	global_store_b8 v[2:3], v1, off
.LBB51_1120:
	s_and_not1_b32 vcc_lo, exec_lo, s3
	s_cbranch_vccnz .LBB51_1122
; %bb.1121:
	v_trunc_f32_e32 v0, v0
	s_delay_alu instid0(VALU_DEP_1) | instskip(NEXT) | instid1(VALU_DEP_1)
	v_mul_f32_e64 v1, 0x2f800000, |v0|
	v_floor_f32_e32 v1, v1
	s_delay_alu instid0(VALU_DEP_1) | instskip(SKIP_1) | instid1(VALU_DEP_2)
	v_fma_f32 v1, 0xcf800000, v1, |v0|
	v_ashrrev_i32_e32 v0, 31, v0
	v_cvt_u32_f32_e32 v1, v1
	s_delay_alu instid0(VALU_DEP_1) | instskip(NEXT) | instid1(VALU_DEP_1)
	v_xor_b32_e32 v1, v1, v0
	v_sub_nc_u32_e32 v0, v1, v0
	global_store_b8 v[2:3], v0, off
.LBB51_1122:
	s_branch .LBB51_1224
.LBB51_1123:
	s_mov_b32 s3, 0
.LBB51_1124:
                                        ; implicit-def: $vgpr46
.LBB51_1125:
	s_and_not1_b32 s4, s76, exec_lo
	s_and_b32 s2, s2, exec_lo
	s_and_not1_b32 s7, s75, exec_lo
	s_or_b32 s5, s4, s2
	s_and_not1_b32 s2, s77, exec_lo
	s_and_b32 s4, s81, exec_lo
	s_and_b32 s8, s80, exec_lo
	s_or_b32 s6, s2, s4
	s_or_b32 s4, s7, s8
	s_or_not1_b32 s9, s3, exec_lo
.LBB51_1126:
	s_or_b32 exec_lo, exec_lo, s79
	s_mov_b32 s2, 0
	s_mov_b32 s8, 0
	;; [unrolled: 1-line block ×3, first 2 shown]
                                        ; implicit-def: $vgpr3
                                        ; implicit-def: $vgpr1_vgpr2
                                        ; implicit-def: $vgpr43
                                        ; implicit-def: $vgpr0
                                        ; implicit-def: $vgpr40
	s_and_saveexec_b32 s7, s9
	s_cbranch_execz .LBB51_1294
; %bb.1127:
	s_mov_b32 s10, s4
	s_mov_b32 s9, 0
	;; [unrolled: 1-line block ×3, first 2 shown]
	s_mov_b32 s8, exec_lo
                                        ; implicit-def: $vgpr3
                                        ; implicit-def: $vgpr1_vgpr2
                                        ; implicit-def: $vgpr43
                                        ; implicit-def: $vgpr0
                                        ; implicit-def: $vgpr40
	v_cmpx_gt_i32_e64 s69, v46
	s_cbranch_execz .LBB51_1293
; %bb.1128:
	s_and_not1_b32 vcc_lo, exec_lo, s61
	s_cbranch_vccnz .LBB51_1134
; %bb.1129:
	v_dual_mov_b32 v43, 0 :: v_dual_mov_b32 v0, 0
	v_mov_b32_e32 v1, 0
	s_and_not1_b32 vcc_lo, exec_lo, s70
	s_cbranch_vccnz .LBB51_1135
; %bb.1130:
	s_add_i32 s2, s68, 1
	v_dual_mov_b32 v0, 0 :: v_dual_mov_b32 v1, 0
	v_dual_mov_b32 v43, 0 :: v_dual_mov_b32 v2, v46
	s_and_b32 s10, s2, 30
	s_add_u32 s2, s48, 0xffffffec
	s_addc_u32 s3, s49, -1
	s_set_inst_prefetch_distance 0x1
	.p2align	6
.LBB51_1131:                            ; =>This Inner Loop Header: Depth=1
	s_clause 0x2
	s_load_b128 s[12:15], s[2:3], 0x18
	s_load_b64 s[20:21], s[2:3], 0x28
	s_load_b128 s[16:19], s[2:3], 0xd8
	s_waitcnt lgkmcnt(0)
	v_mul_hi_u32 v3, s13, v2
	s_delay_alu instid0(VALU_DEP_1) | instskip(NEXT) | instid1(VALU_DEP_1)
	v_add_nc_u32_e32 v3, v2, v3
	v_lshrrev_b32_e32 v3, s14, v3
	s_delay_alu instid0(VALU_DEP_1)
	v_mul_hi_u32 v4, s20, v3
	v_mul_lo_u32 v5, v3, s12
	s_load_b64 s[12:13], s[2:3], 0xe8
	s_add_u32 s2, s2, 24
	s_addc_u32 s3, s3, 0
	s_add_i32 s10, s10, -2
	s_delay_alu instid0(SALU_CYCLE_1) | instskip(NEXT) | instid1(VALU_DEP_2)
	s_cmp_eq_u32 s10, 0
	v_add_nc_u32_e32 v4, v3, v4
	s_delay_alu instid0(VALU_DEP_2) | instskip(NEXT) | instid1(VALU_DEP_2)
	v_sub_nc_u32_e32 v5, v2, v5
	v_lshrrev_b32_e32 v2, s21, v4
	s_delay_alu instid0(VALU_DEP_2) | instskip(NEXT) | instid1(VALU_DEP_2)
	v_mul_lo_u32 v6, v5, s16
	v_mul_lo_u32 v4, v2, s15
	s_delay_alu instid0(VALU_DEP_1) | instskip(SKIP_2) | instid1(VALU_DEP_3)
	v_sub_nc_u32_e32 v3, v3, v4
	v_mul_lo_u32 v4, v5, s17
	v_mul_lo_u32 v5, v5, s18
	;; [unrolled: 1-line block ×3, first 2 shown]
	s_waitcnt lgkmcnt(0)
	v_mul_lo_u32 v8, v3, s12
	v_mul_lo_u32 v3, v3, s13
	s_delay_alu instid0(VALU_DEP_3) | instskip(NEXT) | instid1(VALU_DEP_3)
	v_add3_u32 v43, v6, v43, v7
	v_add3_u32 v1, v4, v1, v8
	s_delay_alu instid0(VALU_DEP_3)
	v_add3_u32 v0, v5, v0, v3
	s_cbranch_scc0 .LBB51_1131
; %bb.1132:
	s_set_inst_prefetch_distance 0x2
	s_bitcmp1_b32 s68, 0
	s_cselect_b32 s10, -1, 0
	s_delay_alu instid0(SALU_CYCLE_1)
	s_and_b32 vcc_lo, exec_lo, s10
	s_cbranch_vccnz .LBB51_1135
; %bb.1133:
	s_clause 0x3
	s_load_b64 s[10:11], s[2:3], 0x18
	s_load_b32 s14, s[2:3], 0x20
	s_load_b64 s[12:13], s[2:3], 0xd8
	s_load_b32 s2, s[2:3], 0xe0
	s_waitcnt lgkmcnt(0)
	v_mul_hi_u32 v3, s11, v2
	s_delay_alu instid0(VALU_DEP_1) | instskip(NEXT) | instid1(VALU_DEP_1)
	v_add_nc_u32_e32 v3, v2, v3
	v_lshrrev_b32_e32 v3, s14, v3
	s_delay_alu instid0(VALU_DEP_1) | instskip(NEXT) | instid1(VALU_DEP_1)
	v_mul_lo_u32 v3, v3, s10
	v_sub_nc_u32_e32 v6, v2, v3
	s_delay_alu instid0(VALU_DEP_1) | instskip(NEXT) | instid1(VALU_DEP_1)
	v_mad_u64_u32 v[2:3], null, v6, s12, v[43:44]
	v_mad_u64_u32 v[3:4], null, v6, s13, v[1:2]
	;; [unrolled: 1-line block ×3, first 2 shown]
	v_mov_b32_e32 v43, v2
	s_delay_alu instid0(VALU_DEP_2)
	v_dual_mov_b32 v1, v3 :: v_dual_mov_b32 v0, v4
	s_branch .LBB51_1135
.LBB51_1134:
	s_mov_b32 s9, -1
                                        ; implicit-def: $vgpr43
                                        ; implicit-def: $vgpr1
                                        ; implicit-def: $vgpr0
.LBB51_1135:
	s_delay_alu instid0(SALU_CYCLE_1)
	s_and_not1_b32 vcc_lo, exec_lo, s9
	s_cbranch_vccnz .LBB51_1138
; %bb.1136:
	v_mul_hi_u32 v0, s45, v46
	s_and_not1_b32 vcc_lo, exec_lo, s67
	s_delay_alu instid0(VALU_DEP_1) | instskip(NEXT) | instid1(VALU_DEP_1)
	v_add_nc_u32_e32 v0, v46, v0
	v_lshrrev_b32_e32 v2, s46, v0
	s_delay_alu instid0(VALU_DEP_1) | instskip(NEXT) | instid1(VALU_DEP_1)
	v_mul_lo_u32 v0, v2, s44
	v_sub_nc_u32_e32 v0, v46, v0
	s_delay_alu instid0(VALU_DEP_1)
	v_mul_lo_u32 v43, v0, s40
	v_mul_lo_u32 v1, v0, s41
	;; [unrolled: 1-line block ×3, first 2 shown]
	s_cbranch_vccnz .LBB51_1138
; %bb.1137:
	v_mul_hi_u32 v3, s54, v2
	s_delay_alu instid0(VALU_DEP_1) | instskip(NEXT) | instid1(VALU_DEP_1)
	v_add_nc_u32_e32 v3, v2, v3
	v_lshrrev_b32_e32 v3, s55, v3
	s_delay_alu instid0(VALU_DEP_1) | instskip(NEXT) | instid1(VALU_DEP_1)
	v_mul_lo_u32 v3, v3, s47
	v_sub_nc_u32_e32 v6, v2, v3
	s_delay_alu instid0(VALU_DEP_1) | instskip(NEXT) | instid1(VALU_DEP_1)
	v_mad_u64_u32 v[2:3], null, v6, s43, v[43:44]
	v_mad_u64_u32 v[3:4], null, v6, s52, v[1:2]
	;; [unrolled: 1-line block ×3, first 2 shown]
	v_mov_b32_e32 v43, v2
	s_delay_alu instid0(VALU_DEP_2)
	v_dual_mov_b32 v1, v3 :: v_dual_mov_b32 v0, v4
.LBB51_1138:
	v_and_b32_e64 v3, 0xff, s66
	s_delay_alu instid0(VALU_DEP_2) | instskip(NEXT) | instid1(VALU_DEP_1)
	v_add_co_u32 v1, s2, s38, v1
	v_add_co_ci_u32_e64 v2, null, s39, 0, s2
	s_delay_alu instid0(VALU_DEP_3)
	v_cmp_gt_i16_e32 vcc_lo, 11, v3
	s_mov_b32 s9, 0
	s_cbranch_vccnz .LBB51_1145
; %bb.1139:
	v_cmp_lt_i16_e32 vcc_lo, 25, v3
	s_mov_b32 s3, 0
	s_cbranch_vccz .LBB51_1146
; %bb.1140:
	v_cmp_lt_i16_e32 vcc_lo, 28, v3
	s_cbranch_vccz .LBB51_1148
; %bb.1141:
	v_cmp_lt_i16_e32 vcc_lo, 43, v3
	;; [unrolled: 3-line block ×3, first 2 shown]
	s_cbranch_vccz .LBB51_1152
; %bb.1143:
	v_cmp_eq_u16_e32 vcc_lo, 46, v3
	s_mov_b32 s10, 0
	s_cbranch_vccz .LBB51_1225
; %bb.1144:
	global_load_b32 v4, v[1:2], off
	s_mov_b32 s2, 0
	s_mov_b32 s9, -1
	s_waitcnt vmcnt(0)
	v_lshlrev_b32_e32 v40, 16, v4
	s_branch .LBB51_1227
.LBB51_1145:
	s_mov_b32 s10, -1
	s_mov_b32 s3, 0
	s_mov_b32 s2, s4
                                        ; implicit-def: $vgpr40
	s_branch .LBB51_1292
.LBB51_1146:
	s_mov_b32 s10, -1
	s_mov_b32 s2, s4
                                        ; implicit-def: $vgpr40
	s_branch .LBB51_1258
.LBB51_1147:
	s_mov_b32 s2, s76
	s_branch .LBB51_1181
.LBB51_1148:
	s_mov_b32 s10, -1
	s_mov_b32 s2, s4
                                        ; implicit-def: $vgpr40
	s_branch .LBB51_1239
.LBB51_1149:
	s_mov_b32 s2, s76
	s_branch .LBB51_1164
.LBB51_1150:
	s_mov_b32 s10, -1
	s_mov_b32 s2, s4
                                        ; implicit-def: $vgpr40
	s_branch .LBB51_1234
.LBB51_1151:
	s_mov_b32 s2, s76
	s_branch .LBB51_1160
.LBB51_1152:
	s_mov_b32 s10, -1
	s_mov_b32 s2, s4
	s_branch .LBB51_1226
.LBB51_1153:
	s_mov_b32 s2, s76
.LBB51_1154:
	s_and_b32 vcc_lo, exec_lo, s4
	s_cbranch_vccz .LBB51_1159
; %bb.1155:
	v_cmp_eq_u16_e32 vcc_lo, 44, v4
	s_mov_b32 s2, -1
	s_cbranch_vccz .LBB51_1159
; %bb.1156:
	v_bfe_u32 v5, v0, 23, 8
	v_mov_b32_e32 v1, 0xff
	s_mov_b32 s3, exec_lo
	s_delay_alu instid0(VALU_DEP_2)
	v_cmpx_ne_u32_e32 0xff, v5
; %bb.1157:
	v_and_b32_e32 v1, 0x400000, v0
	v_and_or_b32 v5, 0x3fffff, v0, v5
	s_delay_alu instid0(VALU_DEP_2) | instskip(NEXT) | instid1(VALU_DEP_2)
	v_cmp_ne_u32_e32 vcc_lo, 0, v1
	v_cmp_ne_u32_e64 s2, 0, v5
	v_lshrrev_b32_e32 v1, 23, v0
	s_delay_alu instid0(VALU_DEP_2) | instskip(NEXT) | instid1(SALU_CYCLE_1)
	s_and_b32 s2, vcc_lo, s2
	v_cndmask_b32_e64 v5, 0, 1, s2
	s_delay_alu instid0(VALU_DEP_1)
	v_add_nc_u32_e32 v1, v1, v5
; %bb.1158:
	s_or_b32 exec_lo, exec_lo, s3
	s_mov_b32 s3, -1
	s_mov_b32 s2, 0
	global_store_b8 v[2:3], v1, off
.LBB51_1159:
	s_mov_b32 s4, 0
.LBB51_1160:
	s_delay_alu instid0(SALU_CYCLE_1)
	s_and_b32 vcc_lo, exec_lo, s4
	s_cbranch_vccz .LBB51_1163
; %bb.1161:
	v_cmp_eq_u16_e32 vcc_lo, 29, v4
	s_mov_b32 s2, -1
	s_cbranch_vccz .LBB51_1163
; %bb.1162:
	v_trunc_f32_e32 v1, v0
	s_mov_b32 s3, -1
	s_mov_b32 s2, 0
	s_mov_b32 s4, 0
	s_delay_alu instid0(VALU_DEP_1) | instskip(NEXT) | instid1(VALU_DEP_1)
	v_mul_f32_e32 v5, 0x2f800000, v1
	v_floor_f32_e32 v5, v5
	s_delay_alu instid0(VALU_DEP_1) | instskip(SKIP_1) | instid1(VALU_DEP_2)
	v_fmamk_f32 v1, v5, 0xcf800000, v1
	v_cvt_u32_f32_e32 v6, v5
	v_cvt_u32_f32_e32 v5, v1
	global_store_b64 v[2:3], v[5:6], off
	s_branch .LBB51_1164
.LBB51_1163:
	s_mov_b32 s4, 0
.LBB51_1164:
	s_delay_alu instid0(SALU_CYCLE_1)
	s_and_b32 vcc_lo, exec_lo, s4
	s_cbranch_vccz .LBB51_1180
; %bb.1165:
	v_cmp_gt_i16_e32 vcc_lo, 27, v4
	s_mov_b32 s3, -1
	s_cbranch_vccnz .LBB51_1171
; %bb.1166:
	v_cmp_lt_i16_e32 vcc_lo, 27, v4
	v_cvt_u32_f32_e32 v1, v0
	s_cbranch_vccz .LBB51_1168
; %bb.1167:
	s_mov_b32 s3, 0
	global_store_b32 v[2:3], v1, off
.LBB51_1168:
	s_and_not1_b32 vcc_lo, exec_lo, s3
	s_cbranch_vccnz .LBB51_1170
; %bb.1169:
	global_store_b16 v[2:3], v1, off
.LBB51_1170:
	s_mov_b32 s3, 0
.LBB51_1171:
	s_delay_alu instid0(SALU_CYCLE_1)
	s_and_not1_b32 vcc_lo, exec_lo, s3
	s_cbranch_vccnz .LBB51_1179
; %bb.1172:
	v_and_b32_e32 v1, 0x7fffffff, v0
	v_mov_b32_e32 v5, 0x80
	s_mov_b32 s3, exec_lo
	s_delay_alu instid0(VALU_DEP_2)
	v_cmpx_gt_u32_e32 0x43800000, v1
	s_cbranch_execz .LBB51_1178
; %bb.1173:
	v_cmp_lt_u32_e32 vcc_lo, 0x3bffffff, v1
	s_mov_b32 s4, 0
                                        ; implicit-def: $vgpr1
	s_and_saveexec_b32 s5, vcc_lo
	s_delay_alu instid0(SALU_CYCLE_1)
	s_xor_b32 s5, exec_lo, s5
	s_cbranch_execz .LBB51_1230
; %bb.1174:
	v_bfe_u32 v1, v0, 20, 1
	s_mov_b32 s4, exec_lo
	s_delay_alu instid0(VALU_DEP_1) | instskip(NEXT) | instid1(VALU_DEP_1)
	v_add3_u32 v1, v0, v1, 0x487ffff
	v_lshrrev_b32_e32 v1, 20, v1
	s_or_saveexec_b32 s5, s5
                                        ; implicit-def: $sgpr6
	s_delay_alu instid0(SALU_CYCLE_1)
	s_xor_b32 exec_lo, exec_lo, s5
	s_cbranch_execnz .LBB51_1231
.LBB51_1175:
	s_or_b32 exec_lo, exec_lo, s5
	v_mov_b32_e32 v5, s6
	s_and_saveexec_b32 s5, s4
.LBB51_1176:
	v_lshrrev_b32_e32 v5, 24, v0
	s_delay_alu instid0(VALU_DEP_1)
	v_and_or_b32 v5, 0x80, v5, v1
.LBB51_1177:
	s_or_b32 exec_lo, exec_lo, s5
.LBB51_1178:
	s_delay_alu instid0(SALU_CYCLE_1)
	s_or_b32 exec_lo, exec_lo, s3
	global_store_b8 v[2:3], v5, off
.LBB51_1179:
	s_mov_b32 s3, -1
.LBB51_1180:
	s_mov_b32 s4, 0
.LBB51_1181:
	s_delay_alu instid0(SALU_CYCLE_1)
	s_and_b32 vcc_lo, exec_lo, s4
	s_cbranch_vccz .LBB51_1222
; %bb.1182:
	v_cmp_lt_i16_e32 vcc_lo, 22, v4
	s_mov_b32 s4, -1
	s_cbranch_vccz .LBB51_1214
; %bb.1183:
	v_cmp_gt_i16_e32 vcc_lo, 24, v4
	s_mov_b32 s3, -1
	s_cbranch_vccnz .LBB51_1203
; %bb.1184:
	v_cmp_lt_i16_e32 vcc_lo, 24, v4
	s_cbranch_vccz .LBB51_1192
; %bb.1185:
	v_and_b32_e32 v1, 0x7fffffff, v0
	v_mov_b32_e32 v5, 0x80
	s_mov_b32 s3, exec_lo
	s_delay_alu instid0(VALU_DEP_2)
	v_cmpx_gt_u32_e32 0x47800000, v1
	s_cbranch_execz .LBB51_1191
; %bb.1186:
	v_cmp_lt_u32_e32 vcc_lo, 0x37ffffff, v1
	s_mov_b32 s4, 0
                                        ; implicit-def: $vgpr1
	s_and_saveexec_b32 s5, vcc_lo
	s_delay_alu instid0(SALU_CYCLE_1)
	s_xor_b32 s5, exec_lo, s5
	s_cbranch_execz .LBB51_2332
; %bb.1187:
	v_bfe_u32 v1, v0, 21, 1
	s_mov_b32 s4, exec_lo
	s_delay_alu instid0(VALU_DEP_1) | instskip(NEXT) | instid1(VALU_DEP_1)
	v_add3_u32 v1, v0, v1, 0x88fffff
	v_lshrrev_b32_e32 v1, 21, v1
	s_or_saveexec_b32 s5, s5
                                        ; implicit-def: $sgpr6
	s_delay_alu instid0(SALU_CYCLE_1)
	s_xor_b32 exec_lo, exec_lo, s5
	s_cbranch_execnz .LBB51_2333
.LBB51_1188:
	s_or_b32 exec_lo, exec_lo, s5
	v_mov_b32_e32 v5, s6
	s_and_saveexec_b32 s5, s4
.LBB51_1189:
	v_lshrrev_b32_e32 v5, 24, v0
	s_delay_alu instid0(VALU_DEP_1)
	v_and_or_b32 v5, 0x80, v5, v1
.LBB51_1190:
	s_or_b32 exec_lo, exec_lo, s5
.LBB51_1191:
	s_delay_alu instid0(SALU_CYCLE_1)
	s_or_b32 exec_lo, exec_lo, s3
	s_mov_b32 s3, 0
	global_store_b8 v[2:3], v5, off
.LBB51_1192:
	s_and_b32 vcc_lo, exec_lo, s3
	s_cbranch_vccz .LBB51_1202
; %bb.1193:
	v_and_b32_e32 v5, 0x7fffffff, v0
	s_mov_b32 s3, exec_lo
                                        ; implicit-def: $vgpr1
	s_delay_alu instid0(VALU_DEP_1)
	v_cmpx_gt_u32_e32 0x43f00000, v5
	s_xor_b32 s3, exec_lo, s3
	s_cbranch_execz .LBB51_1199
; %bb.1194:
	s_mov_b32 s4, exec_lo
                                        ; implicit-def: $vgpr1
	v_cmpx_lt_u32_e32 0x3c7fffff, v5
	s_xor_b32 s4, exec_lo, s4
; %bb.1195:
	v_bfe_u32 v1, v0, 20, 1
	s_delay_alu instid0(VALU_DEP_1) | instskip(NEXT) | instid1(VALU_DEP_1)
	v_add3_u32 v1, v0, v1, 0x407ffff
	v_and_b32_e32 v5, 0xff00000, v1
	v_lshrrev_b32_e32 v1, 20, v1
	s_delay_alu instid0(VALU_DEP_2) | instskip(NEXT) | instid1(VALU_DEP_2)
	v_cmp_ne_u32_e32 vcc_lo, 0x7f00000, v5
	v_cndmask_b32_e32 v1, 0x7e, v1, vcc_lo
; %bb.1196:
	s_and_not1_saveexec_b32 s4, s4
; %bb.1197:
	v_add_f32_e64 v1, 0x46800000, |v0|
; %bb.1198:
	s_or_b32 exec_lo, exec_lo, s4
                                        ; implicit-def: $vgpr5
.LBB51_1199:
	s_and_not1_saveexec_b32 s3, s3
; %bb.1200:
	v_mov_b32_e32 v1, 0x7f
	v_cmp_lt_u32_e32 vcc_lo, 0x7f800000, v5
	s_delay_alu instid0(VALU_DEP_2)
	v_cndmask_b32_e32 v1, 0x7e, v1, vcc_lo
; %bb.1201:
	s_or_b32 exec_lo, exec_lo, s3
	v_lshrrev_b32_e32 v5, 24, v0
	s_delay_alu instid0(VALU_DEP_1)
	v_and_or_b32 v1, 0x80, v5, v1
	global_store_b8 v[2:3], v1, off
.LBB51_1202:
	s_mov_b32 s3, 0
.LBB51_1203:
	s_delay_alu instid0(SALU_CYCLE_1)
	s_and_not1_b32 vcc_lo, exec_lo, s3
	s_cbranch_vccnz .LBB51_1213
; %bb.1204:
	v_and_b32_e32 v5, 0x7fffffff, v0
	s_mov_b32 s3, exec_lo
                                        ; implicit-def: $vgpr1
	s_delay_alu instid0(VALU_DEP_1)
	v_cmpx_gt_u32_e32 0x47800000, v5
	s_xor_b32 s3, exec_lo, s3
	s_cbranch_execz .LBB51_1210
; %bb.1205:
	s_mov_b32 s4, exec_lo
                                        ; implicit-def: $vgpr1
	v_cmpx_lt_u32_e32 0x387fffff, v5
	s_xor_b32 s4, exec_lo, s4
; %bb.1206:
	v_bfe_u32 v1, v0, 21, 1
	s_delay_alu instid0(VALU_DEP_1) | instskip(NEXT) | instid1(VALU_DEP_1)
	v_add3_u32 v1, v0, v1, 0x80fffff
	v_lshrrev_b32_e32 v1, 21, v1
; %bb.1207:
	s_and_not1_saveexec_b32 s4, s4
; %bb.1208:
	v_add_f32_e64 v1, 0x43000000, |v0|
; %bb.1209:
	s_or_b32 exec_lo, exec_lo, s4
                                        ; implicit-def: $vgpr5
.LBB51_1210:
	s_and_not1_saveexec_b32 s3, s3
; %bb.1211:
	v_mov_b32_e32 v1, 0x7f
	v_cmp_lt_u32_e32 vcc_lo, 0x7f800000, v5
	s_delay_alu instid0(VALU_DEP_2)
	v_cndmask_b32_e32 v1, 0x7c, v1, vcc_lo
; %bb.1212:
	s_or_b32 exec_lo, exec_lo, s3
	v_lshrrev_b32_e32 v5, 24, v0
	s_delay_alu instid0(VALU_DEP_1)
	v_and_or_b32 v1, 0x80, v5, v1
	global_store_b8 v[2:3], v1, off
.LBB51_1213:
	s_mov_b32 s4, 0
	s_mov_b32 s3, -1
.LBB51_1214:
	s_and_not1_b32 vcc_lo, exec_lo, s4
	s_cbranch_vccnz .LBB51_1222
; %bb.1215:
	v_cmp_lt_i16_e32 vcc_lo, 14, v4
	s_mov_b32 s4, -1
	s_cbranch_vccz .LBB51_1219
; %bb.1216:
	v_cmp_eq_u16_e32 vcc_lo, 15, v4
	s_mov_b32 s2, -1
	s_cbranch_vccz .LBB51_1218
; %bb.1217:
	v_bfe_u32 v1, v0, 16, 1
	v_cmp_o_f32_e32 vcc_lo, v0, v0
	s_mov_b32 s3, -1
	s_mov_b32 s2, 0
	s_delay_alu instid0(VALU_DEP_2) | instskip(NEXT) | instid1(VALU_DEP_1)
	v_add3_u32 v1, v0, v1, 0x7fff
	v_lshrrev_b32_e32 v1, 16, v1
	s_delay_alu instid0(VALU_DEP_1)
	v_cndmask_b32_e32 v1, 0x7fc0, v1, vcc_lo
	global_store_b16 v[2:3], v1, off
.LBB51_1218:
	s_mov_b32 s4, 0
.LBB51_1219:
	s_delay_alu instid0(SALU_CYCLE_1)
	s_and_b32 vcc_lo, exec_lo, s4
	s_cbranch_vccz .LBB51_1222
; %bb.1220:
	v_cmp_eq_u16_e32 vcc_lo, 11, v4
	s_mov_b32 s2, -1
	s_cbranch_vccz .LBB51_1222
; %bb.1221:
	v_cmp_neq_f32_e32 vcc_lo, 0, v0
	s_mov_b32 s2, 0
	s_mov_b32 s3, -1
	v_cndmask_b32_e64 v1, 0, 1, vcc_lo
	global_store_b8 v[2:3], v1, off
.LBB51_1222:
.LBB51_1223:
	s_and_not1_b32 vcc_lo, exec_lo, s3
	s_cbranch_vccnz .LBB51_1123
.LBB51_1224:
	v_add_nc_u32_e32 v46, 0x80, v46
	s_mov_b32 s3, -1
	s_branch .LBB51_1125
.LBB51_1225:
	s_mov_b32 s2, -1
.LBB51_1226:
                                        ; implicit-def: $vgpr40
.LBB51_1227:
	s_and_b32 vcc_lo, exec_lo, s10
	s_cbranch_vccz .LBB51_1233
; %bb.1228:
	v_cmp_eq_u16_e32 vcc_lo, 44, v3
	s_cbranch_vccz .LBB51_1232
; %bb.1229:
	global_load_u8 v4, v[1:2], off
	s_mov_b32 s2, 0
	s_mov_b32 s9, -1
	s_waitcnt vmcnt(0)
	v_lshlrev_b32_e32 v5, 23, v4
	v_cmp_ne_u32_e32 vcc_lo, 0xff, v4
	s_delay_alu instid0(VALU_DEP_2) | instskip(SKIP_1) | instid1(VALU_DEP_2)
	v_cndmask_b32_e32 v5, 0x7f800001, v5, vcc_lo
	v_cmp_ne_u32_e32 vcc_lo, 0, v4
	v_cndmask_b32_e32 v40, 0x400000, v5, vcc_lo
	s_branch .LBB51_1233
.LBB51_1230:
	s_or_saveexec_b32 s5, s5
                                        ; implicit-def: $sgpr6
	s_delay_alu instid0(SALU_CYCLE_1)
	s_xor_b32 exec_lo, exec_lo, s5
	s_cbranch_execz .LBB51_1175
.LBB51_1231:
	v_add_f32_e64 v1, 0x46000000, |v0|
	s_and_not1_b32 s4, s4, exec_lo
	s_mov_b32 s6, 0
	s_delay_alu instid0(VALU_DEP_1) | instskip(NEXT) | instid1(VALU_DEP_1)
	v_and_b32_e32 v1, 0xff, v1
	v_cmp_ne_u32_e32 vcc_lo, 0, v1
	s_and_b32 s7, vcc_lo, exec_lo
	s_delay_alu instid0(SALU_CYCLE_1)
	s_or_b32 s4, s4, s7
	s_or_b32 exec_lo, exec_lo, s5
	v_mov_b32_e32 v5, s6
	s_and_saveexec_b32 s5, s4
	s_cbranch_execnz .LBB51_1176
	s_branch .LBB51_1177
.LBB51_1232:
	s_mov_b32 s2, -1
                                        ; implicit-def: $vgpr40
.LBB51_1233:
	s_mov_b32 s10, 0
.LBB51_1234:
	s_delay_alu instid0(SALU_CYCLE_1)
	s_and_b32 vcc_lo, exec_lo, s10
	s_cbranch_vccz .LBB51_1238
; %bb.1235:
	v_cmp_eq_u16_e32 vcc_lo, 29, v3
	s_cbranch_vccz .LBB51_1237
; %bb.1236:
	global_load_b64 v[4:5], v[1:2], off
	s_mov_b32 s2, 0
	s_mov_b32 s9, -1
	s_mov_b32 s10, 0
	s_waitcnt vmcnt(0)
	v_clz_i32_u32_e32 v6, v5
	s_delay_alu instid0(VALU_DEP_1) | instskip(NEXT) | instid1(VALU_DEP_1)
	v_min_u32_e32 v6, 32, v6
	v_lshlrev_b64 v[4:5], v6, v[4:5]
	s_delay_alu instid0(VALU_DEP_1) | instskip(NEXT) | instid1(VALU_DEP_1)
	v_min_u32_e32 v4, 1, v4
	v_or_b32_e32 v4, v5, v4
	v_sub_nc_u32_e32 v5, 32, v6
	s_delay_alu instid0(VALU_DEP_2) | instskip(NEXT) | instid1(VALU_DEP_1)
	v_cvt_f32_u32_e32 v4, v4
	v_ldexp_f32 v40, v4, v5
	s_branch .LBB51_1239
.LBB51_1237:
	s_mov_b32 s2, -1
                                        ; implicit-def: $vgpr40
.LBB51_1238:
	s_mov_b32 s10, 0
.LBB51_1239:
	s_delay_alu instid0(SALU_CYCLE_1)
	s_and_b32 vcc_lo, exec_lo, s10
	s_cbranch_vccz .LBB51_1257
; %bb.1240:
	v_cmp_gt_i16_e32 vcc_lo, 27, v3
	s_cbranch_vccnz .LBB51_1243
; %bb.1241:
	v_cmp_lt_i16_e32 vcc_lo, 27, v3
	s_cbranch_vccz .LBB51_1244
; %bb.1242:
	global_load_b32 v4, v[1:2], off
	s_mov_b32 s9, 0
	s_waitcnt vmcnt(0)
	v_cvt_f32_u32_e32 v40, v4
	s_branch .LBB51_1245
.LBB51_1243:
	s_mov_b32 s9, -1
                                        ; implicit-def: $vgpr40
	s_branch .LBB51_1248
.LBB51_1244:
	s_mov_b32 s9, -1
                                        ; implicit-def: $vgpr40
.LBB51_1245:
	s_delay_alu instid0(SALU_CYCLE_1)
	s_and_not1_b32 vcc_lo, exec_lo, s9
	s_cbranch_vccnz .LBB51_1247
; %bb.1246:
	global_load_u16 v4, v[1:2], off
	s_waitcnt vmcnt(0)
	v_cvt_f32_u32_e32 v40, v4
.LBB51_1247:
	s_mov_b32 s9, 0
.LBB51_1248:
	s_delay_alu instid0(SALU_CYCLE_1)
	s_and_not1_b32 vcc_lo, exec_lo, s9
	s_cbranch_vccnz .LBB51_1256
; %bb.1249:
	global_load_u8 v4, v[1:2], off
	s_mov_b32 s9, 0
	s_mov_b32 s11, exec_lo
                                        ; implicit-def: $sgpr10
	s_waitcnt vmcnt(0)
	v_cmpx_lt_i16_e32 0x7f, v4
	s_xor_b32 s11, exec_lo, s11
	s_cbranch_execz .LBB51_1270
; %bb.1250:
	s_mov_b32 s9, -1
	s_mov_b32 s12, exec_lo
                                        ; implicit-def: $sgpr10
	v_cmpx_eq_u16_e32 0x80, v4
; %bb.1251:
	s_mov_b32 s10, 0x7f800001
	s_xor_b32 s9, exec_lo, -1
; %bb.1252:
	s_or_b32 exec_lo, exec_lo, s12
	s_delay_alu instid0(SALU_CYCLE_1)
	s_and_b32 s9, s9, exec_lo
	s_or_saveexec_b32 s11, s11
	v_mov_b32_e32 v40, s10
	s_xor_b32 exec_lo, exec_lo, s11
	s_cbranch_execnz .LBB51_1271
.LBB51_1253:
	s_or_b32 exec_lo, exec_lo, s11
	s_and_saveexec_b32 s10, s9
	s_cbranch_execz .LBB51_1255
.LBB51_1254:
	v_and_b32_e32 v5, 0xffff, v4
	v_lshlrev_b32_e32 v4, 24, v4
	s_delay_alu instid0(VALU_DEP_2) | instskip(NEXT) | instid1(VALU_DEP_2)
	v_and_b32_e32 v6, 7, v5
	v_and_b32_e32 v4, 0x80000000, v4
	s_delay_alu instid0(VALU_DEP_2) | instskip(NEXT) | instid1(VALU_DEP_1)
	v_clz_i32_u32_e32 v7, v6
	v_min_u32_e32 v7, 32, v7
	s_delay_alu instid0(VALU_DEP_1) | instskip(SKIP_1) | instid1(VALU_DEP_2)
	v_subrev_nc_u32_e32 v8, 28, v7
	v_sub_nc_u32_e32 v7, 29, v7
	v_lshlrev_b32_e32 v8, v8, v5
	v_bfe_u32 v5, v5, 3, 4
	s_delay_alu instid0(VALU_DEP_2) | instskip(NEXT) | instid1(VALU_DEP_2)
	v_and_b32_e32 v8, 7, v8
	v_cmp_eq_u32_e32 vcc_lo, 0, v5
	s_delay_alu instid0(VALU_DEP_2) | instskip(NEXT) | instid1(VALU_DEP_1)
	v_dual_cndmask_b32 v5, v5, v7 :: v_dual_cndmask_b32 v6, v6, v8
	v_lshl_add_u32 v5, v5, 23, 0x3b800000
	s_delay_alu instid0(VALU_DEP_2) | instskip(NEXT) | instid1(VALU_DEP_1)
	v_lshlrev_b32_e32 v6, 20, v6
	v_or3_b32 v40, v4, v5, v6
.LBB51_1255:
	s_or_b32 exec_lo, exec_lo, s10
.LBB51_1256:
	s_mov_b32 s9, -1
.LBB51_1257:
	s_mov_b32 s10, 0
.LBB51_1258:
	s_delay_alu instid0(SALU_CYCLE_1)
	s_and_b32 vcc_lo, exec_lo, s10
	s_cbranch_vccz .LBB51_1291
; %bb.1259:
	v_cmp_lt_i16_e32 vcc_lo, 22, v3
	s_cbranch_vccz .LBB51_1269
; %bb.1260:
	v_cmp_gt_i16_e32 vcc_lo, 24, v3
	s_cbranch_vccnz .LBB51_1272
; %bb.1261:
	v_cmp_lt_i16_e32 vcc_lo, 24, v3
	s_cbranch_vccz .LBB51_1273
; %bb.1262:
	global_load_u8 v4, v[1:2], off
	s_mov_b32 s10, exec_lo
                                        ; implicit-def: $sgpr9
	s_waitcnt vmcnt(0)
	v_cmpx_lt_i16_e32 0x7f, v4
	s_xor_b32 s10, exec_lo, s10
	s_cbranch_execz .LBB51_1285
; %bb.1263:
	s_mov_b32 s3, -1
	s_mov_b32 s11, exec_lo
                                        ; implicit-def: $sgpr9
	v_cmpx_eq_u16_e32 0x80, v4
; %bb.1264:
	s_mov_b32 s9, 0x7f800001
	s_xor_b32 s3, exec_lo, -1
; %bb.1265:
	s_or_b32 exec_lo, exec_lo, s11
	s_delay_alu instid0(SALU_CYCLE_1)
	s_and_b32 s3, s3, exec_lo
	s_or_saveexec_b32 s10, s10
	v_mov_b32_e32 v40, s9
	s_xor_b32 exec_lo, exec_lo, s10
	s_cbranch_execnz .LBB51_1286
.LBB51_1266:
	s_or_b32 exec_lo, exec_lo, s10
	s_and_saveexec_b32 s9, s3
	s_cbranch_execz .LBB51_1268
.LBB51_1267:
	v_and_b32_e32 v5, 0xffff, v4
	v_lshlrev_b32_e32 v4, 24, v4
	s_delay_alu instid0(VALU_DEP_2) | instskip(NEXT) | instid1(VALU_DEP_2)
	v_and_b32_e32 v6, 3, v5
	v_and_b32_e32 v4, 0x80000000, v4
	s_delay_alu instid0(VALU_DEP_2) | instskip(NEXT) | instid1(VALU_DEP_1)
	v_clz_i32_u32_e32 v7, v6
	v_min_u32_e32 v7, 32, v7
	s_delay_alu instid0(VALU_DEP_1) | instskip(SKIP_1) | instid1(VALU_DEP_2)
	v_subrev_nc_u32_e32 v8, 29, v7
	v_sub_nc_u32_e32 v7, 30, v7
	v_lshlrev_b32_e32 v8, v8, v5
	v_bfe_u32 v5, v5, 2, 5
	s_delay_alu instid0(VALU_DEP_2) | instskip(NEXT) | instid1(VALU_DEP_2)
	v_and_b32_e32 v8, 3, v8
	v_cmp_eq_u32_e32 vcc_lo, 0, v5
	s_delay_alu instid0(VALU_DEP_2) | instskip(NEXT) | instid1(VALU_DEP_1)
	v_dual_cndmask_b32 v5, v5, v7 :: v_dual_cndmask_b32 v6, v6, v8
	v_lshl_add_u32 v5, v5, 23, 0x37800000
	s_delay_alu instid0(VALU_DEP_2) | instskip(NEXT) | instid1(VALU_DEP_1)
	v_lshlrev_b32_e32 v6, 21, v6
	v_or3_b32 v40, v4, v5, v6
.LBB51_1268:
	s_or_b32 exec_lo, exec_lo, s9
	s_mov_b32 s3, 0
	s_branch .LBB51_1274
.LBB51_1269:
	s_mov_b32 s3, -1
                                        ; implicit-def: $vgpr40
	s_branch .LBB51_1280
.LBB51_1270:
	s_or_saveexec_b32 s11, s11
	v_mov_b32_e32 v40, s10
	s_xor_b32 exec_lo, exec_lo, s11
	s_cbranch_execz .LBB51_1253
.LBB51_1271:
	v_cmp_ne_u16_e32 vcc_lo, 0, v4
	v_mov_b32_e32 v40, 0
	s_and_not1_b32 s9, s9, exec_lo
	s_and_b32 s10, vcc_lo, exec_lo
	s_delay_alu instid0(SALU_CYCLE_1)
	s_or_b32 s9, s9, s10
	s_or_b32 exec_lo, exec_lo, s11
	s_and_saveexec_b32 s10, s9
	s_cbranch_execnz .LBB51_1254
	s_branch .LBB51_1255
.LBB51_1272:
	s_mov_b32 s3, -1
                                        ; implicit-def: $vgpr40
	s_branch .LBB51_1277
.LBB51_1273:
	s_mov_b32 s3, -1
                                        ; implicit-def: $vgpr40
.LBB51_1274:
	s_delay_alu instid0(SALU_CYCLE_1)
	s_and_b32 vcc_lo, exec_lo, s3
	s_cbranch_vccz .LBB51_1276
; %bb.1275:
	global_load_u8 v4, v[1:2], off
	s_waitcnt vmcnt(0)
	v_lshlrev_b32_e32 v4, 24, v4
	s_delay_alu instid0(VALU_DEP_1) | instskip(NEXT) | instid1(VALU_DEP_1)
	v_and_b32_e32 v5, 0x7f000000, v4
	v_clz_i32_u32_e32 v6, v5
	v_add_nc_u32_e32 v8, 0x1000000, v5
	v_cmp_ne_u32_e32 vcc_lo, 0, v5
	s_delay_alu instid0(VALU_DEP_3) | instskip(NEXT) | instid1(VALU_DEP_1)
	v_min_u32_e32 v6, 32, v6
	v_sub_nc_u32_e64 v6, v6, 4 clamp
	s_delay_alu instid0(VALU_DEP_1) | instskip(SKIP_1) | instid1(VALU_DEP_2)
	v_lshlrev_b32_e32 v7, v6, v5
	v_lshlrev_b32_e32 v6, 23, v6
	v_lshrrev_b32_e32 v7, 4, v7
	s_delay_alu instid0(VALU_DEP_1) | instskip(SKIP_1) | instid1(VALU_DEP_2)
	v_sub_nc_u32_e32 v6, v7, v6
	v_ashrrev_i32_e32 v7, 8, v8
	v_add_nc_u32_e32 v6, 0x3c000000, v6
	s_delay_alu instid0(VALU_DEP_1) | instskip(NEXT) | instid1(VALU_DEP_1)
	v_and_or_b32 v6, 0x7f800000, v7, v6
	v_cndmask_b32_e32 v5, 0, v6, vcc_lo
	s_delay_alu instid0(VALU_DEP_1)
	v_and_or_b32 v40, 0x80000000, v4, v5
.LBB51_1276:
	s_mov_b32 s3, 0
.LBB51_1277:
	s_delay_alu instid0(SALU_CYCLE_1)
	s_and_not1_b32 vcc_lo, exec_lo, s3
	s_cbranch_vccnz .LBB51_1279
; %bb.1278:
	global_load_u8 v4, v[1:2], off
	s_waitcnt vmcnt(0)
	v_lshlrev_b32_e32 v5, 25, v4
	v_lshlrev_b16 v4, 8, v4
	s_delay_alu instid0(VALU_DEP_2) | instskip(NEXT) | instid1(VALU_DEP_2)
	v_lshrrev_b32_e32 v6, 4, v5
	v_and_or_b32 v7, 0x7f00, v4, 0.5
	v_bfe_i32 v4, v4, 0, 16
	s_delay_alu instid0(VALU_DEP_3) | instskip(NEXT) | instid1(VALU_DEP_1)
	v_or_b32_e32 v6, 0x70000000, v6
	v_dual_add_f32 v7, -0.5, v7 :: v_dual_mul_f32 v6, 0x7800000, v6
	v_cmp_gt_u32_e32 vcc_lo, 0x8000000, v5
	s_delay_alu instid0(VALU_DEP_2) | instskip(NEXT) | instid1(VALU_DEP_1)
	v_cndmask_b32_e32 v5, v6, v7, vcc_lo
	v_and_or_b32 v40, 0x80000000, v4, v5
.LBB51_1279:
	s_mov_b32 s3, 0
	s_mov_b32 s9, -1
.LBB51_1280:
	s_and_not1_b32 vcc_lo, exec_lo, s3
	s_mov_b32 s3, 0
	s_cbranch_vccnz .LBB51_1291
; %bb.1281:
	v_cmp_lt_i16_e32 vcc_lo, 14, v3
	s_cbranch_vccz .LBB51_1284
; %bb.1282:
	v_cmp_eq_u16_e32 vcc_lo, 15, v3
	s_cbranch_vccz .LBB51_1287
; %bb.1283:
	global_load_u16 v4, v[1:2], off
	s_mov_b32 s2, 0
	s_mov_b32 s9, -1
	s_waitcnt vmcnt(0)
	v_lshlrev_b32_e32 v40, 16, v4
	s_branch .LBB51_1289
.LBB51_1284:
	s_mov_b32 s3, -1
	s_branch .LBB51_1288
.LBB51_1285:
	s_or_saveexec_b32 s10, s10
	v_mov_b32_e32 v40, s9
	s_xor_b32 exec_lo, exec_lo, s10
	s_cbranch_execz .LBB51_1266
.LBB51_1286:
	v_cmp_ne_u16_e32 vcc_lo, 0, v4
	v_mov_b32_e32 v40, 0
	s_and_not1_b32 s3, s3, exec_lo
	s_and_b32 s9, vcc_lo, exec_lo
	s_delay_alu instid0(SALU_CYCLE_1)
	s_or_b32 s3, s3, s9
	s_or_b32 exec_lo, exec_lo, s10
	s_and_saveexec_b32 s9, s3
	s_cbranch_execnz .LBB51_1267
	s_branch .LBB51_1268
.LBB51_1287:
	s_mov_b32 s2, -1
.LBB51_1288:
                                        ; implicit-def: $vgpr40
.LBB51_1289:
	s_and_b32 vcc_lo, exec_lo, s3
	s_mov_b32 s3, 0
	s_cbranch_vccz .LBB51_1291
; %bb.1290:
	v_cmp_ne_u16_e32 vcc_lo, 11, v3
	s_and_not1_b32 s2, s2, exec_lo
	s_mov_b32 s3, -1
                                        ; implicit-def: $vgpr40
	s_and_b32 s10, vcc_lo, exec_lo
	s_delay_alu instid0(SALU_CYCLE_1)
	s_or_b32 s2, s2, s10
.LBB51_1291:
	s_mov_b32 s10, 0
.LBB51_1292:
	s_and_b32 s11, s9, exec_lo
	s_and_b32 s9, s10, exec_lo
	s_and_not1_b32 s10, s4, exec_lo
	s_and_b32 s12, s2, exec_lo
	s_and_b32 s2, s3, exec_lo
	s_or_b32 s10, s10, s12
.LBB51_1293:
	s_or_b32 exec_lo, exec_lo, s8
	s_delay_alu instid0(SALU_CYCLE_1)
	s_and_b32 s8, s9, exec_lo
	s_and_not1_b32 s4, s4, exec_lo
	s_and_b32 s9, s10, exec_lo
	s_and_b32 s3, s11, exec_lo
	;; [unrolled: 1-line block ×3, first 2 shown]
	s_or_b32 s4, s4, s9
.LBB51_1294:
	s_or_b32 exec_lo, exec_lo, s7
	s_delay_alu instid0(SALU_CYCLE_1)
	s_and_not1_b32 s9, s77, exec_lo
	s_and_b32 s6, s6, exec_lo
	s_and_not1_b32 s7, s76, exec_lo
	s_and_b32 s5, s5, exec_lo
	s_or_b32 s77, s9, s6
	s_and_not1_b32 s6, s75, exec_lo
	s_and_b32 s4, s4, exec_lo
	s_or_b32 s76, s7, s5
	s_and_b32 s3, s3, exec_lo
	s_and_b32 s5, s8, exec_lo
	;; [unrolled: 1-line block ×3, first 2 shown]
	s_or_b32 s75, s6, s4
.LBB51_1295:
	s_or_b32 exec_lo, exec_lo, s78
	s_delay_alu instid0(SALU_CYCLE_1)
	s_and_not1_b32 s4, s71, exec_lo
	s_and_b32 s6, s76, exec_lo
	s_and_not1_b32 s7, s72, exec_lo
	s_and_b32 s8, s77, exec_lo
	s_or_b32 s71, s4, s6
	s_and_b32 s4, s5, exec_lo
	s_and_not1_b32 s5, s73, exec_lo
	s_and_b32 s6, s75, exec_lo
	s_or_b32 s72, s7, s8
	s_and_b32 s3, s3, exec_lo
	s_and_b32 s75, s2, exec_lo
	s_or_b32 s73, s5, s6
.LBB51_1296:
	s_or_b32 exec_lo, exec_lo, s74
	s_mov_b32 s40, 0
	s_and_saveexec_b32 s2, s73
	s_cbranch_execnz .LBB51_1308
; %bb.1297:
	s_or_b32 exec_lo, exec_lo, s2
	s_and_saveexec_b32 s2, s75
	s_delay_alu instid0(SALU_CYCLE_1)
	s_xor_b32 s2, exec_lo, s2
	s_cbranch_execz .LBB51_1299
.LBB51_1298:
	global_load_u8 v4, v[1:2], off
	s_or_b32 s3, s3, exec_lo
	s_waitcnt vmcnt(0)
	v_cmp_ne_u16_e32 vcc_lo, 0, v4
	v_cndmask_b32_e64 v40, 0, 1.0, vcc_lo
.LBB51_1299:
	s_or_b32 exec_lo, exec_lo, s2
	s_and_saveexec_b32 s2, s4
	s_cbranch_execz .LBB51_1347
; %bb.1300:
	v_cmp_gt_i16_e32 vcc_lo, 5, v3
	s_cbranch_vccnz .LBB51_1305
; %bb.1301:
	v_cmp_gt_i16_e32 vcc_lo, 8, v3
	s_cbranch_vccnz .LBB51_1306
	;; [unrolled: 3-line block ×3, first 2 shown]
; %bb.1303:
	v_cmp_lt_i16_e32 vcc_lo, 9, v3
	s_cbranch_vccz .LBB51_1310
; %bb.1304:
	global_load_b64 v[4:5], v[1:2], off
	s_mov_b32 s4, 0
	s_waitcnt vmcnt(0)
	v_cvt_f32_f64_e32 v40, v[4:5]
	s_branch .LBB51_1311
.LBB51_1305:
                                        ; implicit-def: $vgpr40
	s_branch .LBB51_1328
.LBB51_1306:
                                        ; implicit-def: $vgpr40
	s_branch .LBB51_1317
.LBB51_1307:
	s_mov_b32 s4, -1
                                        ; implicit-def: $vgpr40
	s_branch .LBB51_1314
.LBB51_1308:
	s_cbranch_execnz .LBB51_1359
; %bb.1309:
	s_mov_b32 s40, exec_lo
	s_and_not1_b32 s75, s75, exec_lo
                                        ; implicit-def: $vgpr40
	s_or_b32 exec_lo, exec_lo, s2
	s_and_saveexec_b32 s2, s75
	s_delay_alu instid0(SALU_CYCLE_1)
	s_xor_b32 s2, exec_lo, s2
	s_cbranch_execnz .LBB51_1298
	s_branch .LBB51_1299
.LBB51_1310:
	s_mov_b32 s4, -1
                                        ; implicit-def: $vgpr40
.LBB51_1311:
	s_delay_alu instid0(SALU_CYCLE_1)
	s_and_not1_b32 vcc_lo, exec_lo, s4
	s_cbranch_vccnz .LBB51_1313
; %bb.1312:
	global_load_b32 v40, v[1:2], off
.LBB51_1313:
	s_mov_b32 s4, 0
.LBB51_1314:
	s_delay_alu instid0(SALU_CYCLE_1)
	s_and_not1_b32 vcc_lo, exec_lo, s4
	s_cbranch_vccnz .LBB51_1316
; %bb.1315:
	global_load_b32 v4, v[1:2], off
	s_waitcnt vmcnt(0)
	v_cvt_f32_f16_e32 v40, v4
.LBB51_1316:
	s_cbranch_execnz .LBB51_1327
.LBB51_1317:
	v_cmp_gt_i16_e32 vcc_lo, 6, v3
	s_cbranch_vccnz .LBB51_1320
; %bb.1318:
	v_cmp_lt_i16_e32 vcc_lo, 6, v3
	s_cbranch_vccz .LBB51_1321
; %bb.1319:
	global_load_b64 v[4:5], v[1:2], off
	s_mov_b32 s4, 0
	s_waitcnt vmcnt(0)
	v_cvt_f32_f64_e32 v40, v[4:5]
	s_branch .LBB51_1322
.LBB51_1320:
	s_mov_b32 s4, -1
                                        ; implicit-def: $vgpr40
	s_branch .LBB51_1325
.LBB51_1321:
	s_mov_b32 s4, -1
                                        ; implicit-def: $vgpr40
.LBB51_1322:
	s_delay_alu instid0(SALU_CYCLE_1)
	s_and_not1_b32 vcc_lo, exec_lo, s4
	s_cbranch_vccnz .LBB51_1324
; %bb.1323:
	global_load_b32 v40, v[1:2], off
.LBB51_1324:
	s_mov_b32 s4, 0
.LBB51_1325:
	s_delay_alu instid0(SALU_CYCLE_1)
	s_and_not1_b32 vcc_lo, exec_lo, s4
	s_cbranch_vccnz .LBB51_1327
; %bb.1326:
	global_load_u16 v4, v[1:2], off
	s_waitcnt vmcnt(0)
	v_cvt_f32_f16_e32 v40, v4
.LBB51_1327:
	s_cbranch_execnz .LBB51_1346
.LBB51_1328:
	v_cmp_gt_i16_e32 vcc_lo, 2, v3
	s_cbranch_vccnz .LBB51_1332
; %bb.1329:
	v_cmp_gt_i16_e32 vcc_lo, 3, v3
	s_cbranch_vccnz .LBB51_1333
; %bb.1330:
	v_cmp_lt_i16_e32 vcc_lo, 3, v3
	s_cbranch_vccz .LBB51_1334
; %bb.1331:
	global_load_b64 v[4:5], v[1:2], off
	s_mov_b32 s4, 0
	s_waitcnt vmcnt(0)
	v_xor_b32_e32 v6, v4, v5
	v_cls_i32_e32 v7, v5
	s_delay_alu instid0(VALU_DEP_2) | instskip(NEXT) | instid1(VALU_DEP_2)
	v_ashrrev_i32_e32 v6, 31, v6
	v_add_nc_u32_e32 v7, -1, v7
	s_delay_alu instid0(VALU_DEP_2) | instskip(NEXT) | instid1(VALU_DEP_1)
	v_add_nc_u32_e32 v6, 32, v6
	v_min_u32_e32 v6, v7, v6
	s_delay_alu instid0(VALU_DEP_1) | instskip(NEXT) | instid1(VALU_DEP_1)
	v_lshlrev_b64 v[4:5], v6, v[4:5]
	v_min_u32_e32 v4, 1, v4
	s_delay_alu instid0(VALU_DEP_1) | instskip(SKIP_1) | instid1(VALU_DEP_2)
	v_or_b32_e32 v4, v5, v4
	v_sub_nc_u32_e32 v5, 32, v6
	v_cvt_f32_i32_e32 v4, v4
	s_delay_alu instid0(VALU_DEP_1)
	v_ldexp_f32 v40, v4, v5
	s_branch .LBB51_1335
.LBB51_1332:
                                        ; implicit-def: $vgpr40
	s_branch .LBB51_1341
.LBB51_1333:
	s_mov_b32 s4, -1
                                        ; implicit-def: $vgpr40
	s_branch .LBB51_1338
.LBB51_1334:
	s_mov_b32 s4, -1
                                        ; implicit-def: $vgpr40
.LBB51_1335:
	s_delay_alu instid0(SALU_CYCLE_1)
	s_and_not1_b32 vcc_lo, exec_lo, s4
	s_cbranch_vccnz .LBB51_1337
; %bb.1336:
	global_load_b32 v4, v[1:2], off
	s_waitcnt vmcnt(0)
	v_cvt_f32_i32_e32 v40, v4
.LBB51_1337:
	s_mov_b32 s4, 0
.LBB51_1338:
	s_delay_alu instid0(SALU_CYCLE_1)
	s_and_not1_b32 vcc_lo, exec_lo, s4
	s_cbranch_vccnz .LBB51_1340
; %bb.1339:
	global_load_i16 v4, v[1:2], off
	s_waitcnt vmcnt(0)
	v_cvt_f32_i32_e32 v40, v4
.LBB51_1340:
	s_cbranch_execnz .LBB51_1346
.LBB51_1341:
	v_cmp_lt_i16_e32 vcc_lo, 0, v3
	s_mov_b32 s4, 0
	s_cbranch_vccz .LBB51_1343
; %bb.1342:
	global_load_i8 v3, v[1:2], off
	s_waitcnt vmcnt(0)
	v_cvt_f32_i32_e32 v40, v3
	s_branch .LBB51_1344
.LBB51_1343:
	s_mov_b32 s4, -1
                                        ; implicit-def: $vgpr40
.LBB51_1344:
	s_delay_alu instid0(SALU_CYCLE_1)
	s_and_not1_b32 vcc_lo, exec_lo, s4
	s_cbranch_vccnz .LBB51_1346
; %bb.1345:
	global_load_u8 v1, v[1:2], off
	s_waitcnt vmcnt(0)
	v_cvt_f32_ubyte0_e32 v40, v1
.LBB51_1346:
	s_or_b32 s3, s3, exec_lo
.LBB51_1347:
	s_or_b32 exec_lo, exec_lo, s2
	s_mov_b32 s4, 0
	s_mov_b32 s6, 0
	;; [unrolled: 1-line block ×3, first 2 shown]
                                        ; implicit-def: $vgpr1_vgpr2
                                        ; implicit-def: $vgpr42
	s_and_saveexec_b32 s2, s3
	s_cbranch_execz .LBB51_1427
; %bb.1348:
	v_cmp_lt_i16_e64 s3, s65, 11
	v_add_co_u32 v1, s4, s50, v0
	s_delay_alu instid0(VALU_DEP_1) | instskip(NEXT) | instid1(VALU_DEP_3)
	v_add_co_ci_u32_e64 v2, null, s51, 0, s4
	s_and_b32 vcc_lo, exec_lo, s3
	s_cbranch_vccnz .LBB51_1355
; %bb.1349:
	v_cmp_gt_i16_e64 s3, s65, 25
	s_mov_b32 s4, 0
	s_delay_alu instid0(VALU_DEP_1)
	s_and_b32 vcc_lo, exec_lo, s3
	s_cbranch_vccz .LBB51_1356
; %bb.1350:
	v_cmp_gt_i16_e64 s3, s65, 28
	s_delay_alu instid0(VALU_DEP_1)
	s_and_b32 vcc_lo, exec_lo, s3
	s_cbranch_vccz .LBB51_1357
; %bb.1351:
	v_cmp_gt_i16_e64 s3, s65, 43
	;; [unrolled: 5-line block ×3, first 2 shown]
	s_delay_alu instid0(VALU_DEP_1)
	s_and_b32 vcc_lo, exec_lo, s3
	s_cbranch_vccz .LBB51_1361
; %bb.1353:
	v_cmp_eq_u16_e64 s3, s65, 46
	s_delay_alu instid0(VALU_DEP_1)
	s_and_b32 vcc_lo, exec_lo, s3
	s_cbranch_vccz .LBB51_1362
; %bb.1354:
	global_load_b32 v0, v[1:2], off
	s_mov_b32 s3, 0
	s_mov_b32 s5, -1
	s_waitcnt vmcnt(0)
	v_lshlrev_b32_e32 v42, 16, v0
	s_branch .LBB51_1364
.LBB51_1355:
	s_mov_b32 s6, -1
	s_mov_b32 s4, 0
	s_mov_b32 s3, s72
                                        ; implicit-def: $vgpr42
	s_branch .LBB51_1426
.LBB51_1356:
	s_mov_b32 s3, s72
                                        ; implicit-def: $vgpr42
	s_cbranch_execnz .LBB51_1393
	s_branch .LBB51_1425
.LBB51_1357:
	s_mov_b32 s6, -1
	s_mov_b32 s3, s72
                                        ; implicit-def: $vgpr42
	s_branch .LBB51_1374
.LBB51_1358:
	s_mov_b32 s6, -1
	s_mov_b32 s3, s72
                                        ; implicit-def: $vgpr42
	s_branch .LBB51_1369
.LBB51_1359:
	s_trap 2
	s_sendmsg_rtn_b32 s0, sendmsg(MSG_RTN_GET_DOORBELL)
	s_mov_b32 ttmp2, m0
	s_waitcnt lgkmcnt(0)
	s_and_b32 s0, s0, 0x3ff
	s_delay_alu instid0(SALU_CYCLE_1) | instskip(NEXT) | instid1(SALU_CYCLE_1)
	s_bitset1_b32 s0, 10
	s_mov_b32 m0, s0
	s_sendmsg sendmsg(MSG_INTERRUPT)
	s_mov_b32 m0, ttmp2
.LBB51_1360:                            ; =>This Inner Loop Header: Depth=1
	s_sethalt 5
	s_branch .LBB51_1360
.LBB51_1361:
	s_mov_b32 s6, -1
	s_mov_b32 s3, s72
	s_branch .LBB51_1363
.LBB51_1362:
	s_mov_b32 s3, -1
.LBB51_1363:
                                        ; implicit-def: $vgpr42
.LBB51_1364:
	s_and_b32 vcc_lo, exec_lo, s6
	s_cbranch_vccz .LBB51_1368
; %bb.1365:
	v_cmp_eq_u16_e64 s3, s65, 44
	s_delay_alu instid0(VALU_DEP_1)
	s_and_b32 vcc_lo, exec_lo, s3
	s_cbranch_vccz .LBB51_1367
; %bb.1366:
	global_load_u8 v0, v[1:2], off
	s_mov_b32 s3, 0
	s_mov_b32 s5, -1
	s_waitcnt vmcnt(0)
	v_lshlrev_b32_e32 v3, 23, v0
	v_cmp_ne_u32_e32 vcc_lo, 0xff, v0
	s_delay_alu instid0(VALU_DEP_2) | instskip(SKIP_1) | instid1(VALU_DEP_2)
	v_cndmask_b32_e32 v3, 0x7f800001, v3, vcc_lo
	v_cmp_ne_u32_e32 vcc_lo, 0, v0
	v_cndmask_b32_e32 v42, 0x400000, v3, vcc_lo
	s_branch .LBB51_1368
.LBB51_1367:
	s_mov_b32 s3, -1
                                        ; implicit-def: $vgpr42
.LBB51_1368:
	s_mov_b32 s6, 0
.LBB51_1369:
	s_delay_alu instid0(SALU_CYCLE_1)
	s_and_b32 vcc_lo, exec_lo, s6
	s_cbranch_vccz .LBB51_1373
; %bb.1370:
	v_cmp_eq_u16_e64 s3, s65, 29
	s_delay_alu instid0(VALU_DEP_1)
	s_and_b32 vcc_lo, exec_lo, s3
	s_cbranch_vccz .LBB51_1372
; %bb.1371:
	global_load_b64 v[3:4], v[1:2], off
	s_mov_b32 s3, 0
	s_mov_b32 s5, -1
	s_mov_b32 s6, 0
	s_waitcnt vmcnt(0)
	v_clz_i32_u32_e32 v0, v4
	s_delay_alu instid0(VALU_DEP_1) | instskip(NEXT) | instid1(VALU_DEP_1)
	v_min_u32_e32 v0, 32, v0
	v_lshlrev_b64 v[3:4], v0, v[3:4]
	v_sub_nc_u32_e32 v0, 32, v0
	s_delay_alu instid0(VALU_DEP_2) | instskip(NEXT) | instid1(VALU_DEP_1)
	v_min_u32_e32 v3, 1, v3
	v_or_b32_e32 v3, v4, v3
	s_delay_alu instid0(VALU_DEP_1) | instskip(NEXT) | instid1(VALU_DEP_1)
	v_cvt_f32_u32_e32 v3, v3
	v_ldexp_f32 v42, v3, v0
	s_branch .LBB51_1374
.LBB51_1372:
	s_mov_b32 s3, -1
                                        ; implicit-def: $vgpr42
.LBB51_1373:
	s_mov_b32 s6, 0
.LBB51_1374:
	s_delay_alu instid0(SALU_CYCLE_1)
	s_and_b32 vcc_lo, exec_lo, s6
	s_cbranch_vccz .LBB51_1392
; %bb.1375:
	v_cmp_lt_i16_e64 s5, s65, 27
	s_delay_alu instid0(VALU_DEP_1)
	s_and_b32 vcc_lo, exec_lo, s5
	s_cbranch_vccnz .LBB51_1378
; %bb.1376:
	v_cmp_gt_i16_e64 s5, s65, 27
	s_delay_alu instid0(VALU_DEP_1)
	s_and_b32 vcc_lo, exec_lo, s5
	s_cbranch_vccz .LBB51_1379
; %bb.1377:
	global_load_b32 v0, v[1:2], off
	s_mov_b32 s5, 0
	s_waitcnt vmcnt(0)
	v_cvt_f32_u32_e32 v42, v0
	s_branch .LBB51_1380
.LBB51_1378:
	s_mov_b32 s5, -1
                                        ; implicit-def: $vgpr42
	s_branch .LBB51_1383
.LBB51_1379:
	s_mov_b32 s5, -1
                                        ; implicit-def: $vgpr42
.LBB51_1380:
	s_delay_alu instid0(SALU_CYCLE_1)
	s_and_not1_b32 vcc_lo, exec_lo, s5
	s_cbranch_vccnz .LBB51_1382
; %bb.1381:
	global_load_u16 v0, v[1:2], off
	s_waitcnt vmcnt(0)
	v_cvt_f32_u32_e32 v42, v0
.LBB51_1382:
	s_mov_b32 s5, 0
.LBB51_1383:
	s_delay_alu instid0(SALU_CYCLE_1)
	s_and_not1_b32 vcc_lo, exec_lo, s5
	s_cbranch_vccnz .LBB51_1391
; %bb.1384:
	global_load_u8 v0, v[1:2], off
	s_mov_b32 s5, 0
	s_mov_b32 s7, exec_lo
                                        ; implicit-def: $sgpr6
	s_waitcnt vmcnt(0)
	v_cmpx_lt_i16_e32 0x7f, v0
	s_xor_b32 s7, exec_lo, s7
	s_cbranch_execz .LBB51_1404
; %bb.1385:
	s_mov_b32 s5, -1
	s_mov_b32 s8, exec_lo
                                        ; implicit-def: $sgpr6
	v_cmpx_eq_u16_e32 0x80, v0
; %bb.1386:
	s_mov_b32 s6, 0x7f800001
	s_xor_b32 s5, exec_lo, -1
; %bb.1387:
	s_or_b32 exec_lo, exec_lo, s8
	s_delay_alu instid0(SALU_CYCLE_1)
	s_and_b32 s5, s5, exec_lo
	s_or_saveexec_b32 s7, s7
	v_mov_b32_e32 v42, s6
	s_xor_b32 exec_lo, exec_lo, s7
	s_cbranch_execnz .LBB51_1405
.LBB51_1388:
	s_or_b32 exec_lo, exec_lo, s7
	s_and_saveexec_b32 s6, s5
	s_cbranch_execz .LBB51_1390
.LBB51_1389:
	v_and_b32_e32 v3, 0xffff, v0
	v_lshlrev_b32_e32 v0, 24, v0
	s_delay_alu instid0(VALU_DEP_2) | instskip(NEXT) | instid1(VALU_DEP_2)
	v_and_b32_e32 v4, 7, v3
	v_and_b32_e32 v0, 0x80000000, v0
	s_delay_alu instid0(VALU_DEP_2) | instskip(NEXT) | instid1(VALU_DEP_1)
	v_clz_i32_u32_e32 v5, v4
	v_min_u32_e32 v5, 32, v5
	s_delay_alu instid0(VALU_DEP_1) | instskip(SKIP_1) | instid1(VALU_DEP_2)
	v_subrev_nc_u32_e32 v6, 28, v5
	v_sub_nc_u32_e32 v5, 29, v5
	v_lshlrev_b32_e32 v6, v6, v3
	v_bfe_u32 v3, v3, 3, 4
	s_delay_alu instid0(VALU_DEP_2) | instskip(NEXT) | instid1(VALU_DEP_2)
	v_and_b32_e32 v6, 7, v6
	v_cmp_eq_u32_e32 vcc_lo, 0, v3
	s_delay_alu instid0(VALU_DEP_2) | instskip(NEXT) | instid1(VALU_DEP_1)
	v_dual_cndmask_b32 v3, v3, v5 :: v_dual_cndmask_b32 v4, v4, v6
	v_lshl_add_u32 v3, v3, 23, 0x3b800000
	s_delay_alu instid0(VALU_DEP_2) | instskip(NEXT) | instid1(VALU_DEP_1)
	v_lshlrev_b32_e32 v4, 20, v4
	v_or3_b32 v42, v0, v3, v4
.LBB51_1390:
	s_or_b32 exec_lo, exec_lo, s6
.LBB51_1391:
	s_mov_b32 s5, -1
.LBB51_1392:
	s_branch .LBB51_1425
.LBB51_1393:
	v_cmp_gt_i16_e64 s4, s65, 22
	s_delay_alu instid0(VALU_DEP_1)
	s_and_b32 vcc_lo, exec_lo, s4
	s_cbranch_vccz .LBB51_1403
; %bb.1394:
	v_cmp_lt_i16_e64 s4, s65, 24
	s_delay_alu instid0(VALU_DEP_1)
	s_and_b32 vcc_lo, exec_lo, s4
	s_cbranch_vccnz .LBB51_1406
; %bb.1395:
	v_cmp_gt_i16_e64 s4, s65, 24
	s_delay_alu instid0(VALU_DEP_1)
	s_and_b32 vcc_lo, exec_lo, s4
	s_cbranch_vccz .LBB51_1407
; %bb.1396:
	global_load_u8 v0, v[1:2], off
	s_mov_b32 s4, 0
	s_mov_b32 s6, exec_lo
                                        ; implicit-def: $sgpr5
	s_waitcnt vmcnt(0)
	v_cmpx_lt_i16_e32 0x7f, v0
	s_xor_b32 s6, exec_lo, s6
	s_cbranch_execz .LBB51_1419
; %bb.1397:
	s_mov_b32 s4, -1
	s_mov_b32 s7, exec_lo
                                        ; implicit-def: $sgpr5
	v_cmpx_eq_u16_e32 0x80, v0
; %bb.1398:
	s_mov_b32 s5, 0x7f800001
	s_xor_b32 s4, exec_lo, -1
; %bb.1399:
	s_or_b32 exec_lo, exec_lo, s7
	s_delay_alu instid0(SALU_CYCLE_1)
	s_and_b32 s4, s4, exec_lo
	s_or_saveexec_b32 s6, s6
	v_mov_b32_e32 v42, s5
	s_xor_b32 exec_lo, exec_lo, s6
	s_cbranch_execnz .LBB51_1420
.LBB51_1400:
	s_or_b32 exec_lo, exec_lo, s6
	s_and_saveexec_b32 s5, s4
	s_cbranch_execz .LBB51_1402
.LBB51_1401:
	v_and_b32_e32 v3, 0xffff, v0
	v_lshlrev_b32_e32 v0, 24, v0
	s_delay_alu instid0(VALU_DEP_2) | instskip(NEXT) | instid1(VALU_DEP_2)
	v_and_b32_e32 v4, 3, v3
	v_and_b32_e32 v0, 0x80000000, v0
	s_delay_alu instid0(VALU_DEP_2) | instskip(NEXT) | instid1(VALU_DEP_1)
	v_clz_i32_u32_e32 v5, v4
	v_min_u32_e32 v5, 32, v5
	s_delay_alu instid0(VALU_DEP_1) | instskip(SKIP_1) | instid1(VALU_DEP_2)
	v_subrev_nc_u32_e32 v6, 29, v5
	v_sub_nc_u32_e32 v5, 30, v5
	v_lshlrev_b32_e32 v6, v6, v3
	v_bfe_u32 v3, v3, 2, 5
	s_delay_alu instid0(VALU_DEP_2) | instskip(NEXT) | instid1(VALU_DEP_2)
	v_and_b32_e32 v6, 3, v6
	v_cmp_eq_u32_e32 vcc_lo, 0, v3
	s_delay_alu instid0(VALU_DEP_2) | instskip(NEXT) | instid1(VALU_DEP_1)
	v_dual_cndmask_b32 v3, v3, v5 :: v_dual_cndmask_b32 v4, v4, v6
	v_lshl_add_u32 v3, v3, 23, 0x37800000
	s_delay_alu instid0(VALU_DEP_2) | instskip(NEXT) | instid1(VALU_DEP_1)
	v_lshlrev_b32_e32 v4, 21, v4
	v_or3_b32 v42, v0, v3, v4
.LBB51_1402:
	s_or_b32 exec_lo, exec_lo, s5
	s_mov_b32 s4, 0
	s_branch .LBB51_1408
.LBB51_1403:
	s_mov_b32 s4, -1
                                        ; implicit-def: $vgpr42
	s_branch .LBB51_1414
.LBB51_1404:
	s_or_saveexec_b32 s7, s7
	v_mov_b32_e32 v42, s6
	s_xor_b32 exec_lo, exec_lo, s7
	s_cbranch_execz .LBB51_1388
.LBB51_1405:
	v_cmp_ne_u16_e32 vcc_lo, 0, v0
	v_mov_b32_e32 v42, 0
	s_and_not1_b32 s5, s5, exec_lo
	s_and_b32 s6, vcc_lo, exec_lo
	s_delay_alu instid0(SALU_CYCLE_1)
	s_or_b32 s5, s5, s6
	s_or_b32 exec_lo, exec_lo, s7
	s_and_saveexec_b32 s6, s5
	s_cbranch_execnz .LBB51_1389
	s_branch .LBB51_1390
.LBB51_1406:
	s_mov_b32 s4, -1
                                        ; implicit-def: $vgpr42
	s_branch .LBB51_1411
.LBB51_1407:
	s_mov_b32 s4, -1
                                        ; implicit-def: $vgpr42
.LBB51_1408:
	s_delay_alu instid0(SALU_CYCLE_1)
	s_and_b32 vcc_lo, exec_lo, s4
	s_cbranch_vccz .LBB51_1410
; %bb.1409:
	global_load_u8 v0, v[1:2], off
	s_waitcnt vmcnt(0)
	v_lshlrev_b32_e32 v0, 24, v0
	s_delay_alu instid0(VALU_DEP_1) | instskip(NEXT) | instid1(VALU_DEP_1)
	v_and_b32_e32 v3, 0x7f000000, v0
	v_clz_i32_u32_e32 v4, v3
	v_cmp_ne_u32_e32 vcc_lo, 0, v3
	v_add_nc_u32_e32 v6, 0x1000000, v3
	s_delay_alu instid0(VALU_DEP_3) | instskip(NEXT) | instid1(VALU_DEP_1)
	v_min_u32_e32 v4, 32, v4
	v_sub_nc_u32_e64 v4, v4, 4 clamp
	s_delay_alu instid0(VALU_DEP_1) | instskip(SKIP_1) | instid1(VALU_DEP_2)
	v_lshlrev_b32_e32 v5, v4, v3
	v_lshlrev_b32_e32 v4, 23, v4
	v_lshrrev_b32_e32 v5, 4, v5
	s_delay_alu instid0(VALU_DEP_1) | instskip(SKIP_1) | instid1(VALU_DEP_2)
	v_sub_nc_u32_e32 v4, v5, v4
	v_ashrrev_i32_e32 v5, 8, v6
	v_add_nc_u32_e32 v4, 0x3c000000, v4
	s_delay_alu instid0(VALU_DEP_1) | instskip(NEXT) | instid1(VALU_DEP_1)
	v_and_or_b32 v4, 0x7f800000, v5, v4
	v_cndmask_b32_e32 v3, 0, v4, vcc_lo
	s_delay_alu instid0(VALU_DEP_1)
	v_and_or_b32 v42, 0x80000000, v0, v3
.LBB51_1410:
	s_mov_b32 s4, 0
.LBB51_1411:
	s_delay_alu instid0(SALU_CYCLE_1)
	s_and_not1_b32 vcc_lo, exec_lo, s4
	s_cbranch_vccnz .LBB51_1413
; %bb.1412:
	global_load_u8 v0, v[1:2], off
	s_waitcnt vmcnt(0)
	v_lshlrev_b32_e32 v3, 25, v0
	v_lshlrev_b16 v0, 8, v0
	s_delay_alu instid0(VALU_DEP_2) | instskip(NEXT) | instid1(VALU_DEP_2)
	v_lshrrev_b32_e32 v4, 4, v3
	v_and_or_b32 v5, 0x7f00, v0, 0.5
	v_cmp_gt_u32_e32 vcc_lo, 0x8000000, v3
	v_bfe_i32 v0, v0, 0, 16
	s_delay_alu instid0(VALU_DEP_4) | instskip(NEXT) | instid1(VALU_DEP_1)
	v_or_b32_e32 v4, 0x70000000, v4
	v_dual_add_f32 v5, -0.5, v5 :: v_dual_mul_f32 v4, 0x7800000, v4
	s_delay_alu instid0(VALU_DEP_1) | instskip(NEXT) | instid1(VALU_DEP_1)
	v_cndmask_b32_e32 v3, v4, v5, vcc_lo
	v_and_or_b32 v42, 0x80000000, v0, v3
.LBB51_1413:
	s_mov_b32 s4, 0
	s_mov_b32 s5, -1
.LBB51_1414:
	s_and_not1_b32 vcc_lo, exec_lo, s4
	s_mov_b32 s4, 0
	s_cbranch_vccnz .LBB51_1425
; %bb.1415:
	v_cmp_gt_i16_e64 s4, s65, 14
	s_delay_alu instid0(VALU_DEP_1)
	s_and_b32 vcc_lo, exec_lo, s4
	s_cbranch_vccz .LBB51_1418
; %bb.1416:
	v_cmp_eq_u16_e64 s3, s65, 15
	s_delay_alu instid0(VALU_DEP_1)
	s_and_b32 vcc_lo, exec_lo, s3
	s_cbranch_vccz .LBB51_1421
; %bb.1417:
	global_load_u16 v0, v[1:2], off
	s_mov_b32 s3, 0
	s_mov_b32 s5, -1
	s_waitcnt vmcnt(0)
	v_lshlrev_b32_e32 v42, 16, v0
	s_branch .LBB51_1422
.LBB51_1418:
	s_mov_b32 s4, -1
                                        ; implicit-def: $vgpr42
	s_branch .LBB51_1423
.LBB51_1419:
	s_or_saveexec_b32 s6, s6
	v_mov_b32_e32 v42, s5
	s_xor_b32 exec_lo, exec_lo, s6
	s_cbranch_execz .LBB51_1400
.LBB51_1420:
	v_cmp_ne_u16_e32 vcc_lo, 0, v0
	v_mov_b32_e32 v42, 0
	s_and_not1_b32 s4, s4, exec_lo
	s_and_b32 s5, vcc_lo, exec_lo
	s_delay_alu instid0(SALU_CYCLE_1)
	s_or_b32 s4, s4, s5
	s_or_b32 exec_lo, exec_lo, s6
	s_and_saveexec_b32 s5, s4
	s_cbranch_execnz .LBB51_1401
	s_branch .LBB51_1402
.LBB51_1421:
	s_mov_b32 s3, -1
                                        ; implicit-def: $vgpr42
.LBB51_1422:
	s_mov_b32 s4, 0
.LBB51_1423:
	s_delay_alu instid0(SALU_CYCLE_1)
	s_and_b32 vcc_lo, exec_lo, s4
	s_mov_b32 s4, 0
	s_cbranch_vccz .LBB51_1425
; %bb.1424:
	v_cmp_ne_u16_e64 s4, s65, 11
	s_and_not1_b32 s3, s3, exec_lo
                                        ; implicit-def: $vgpr42
	s_delay_alu instid0(VALU_DEP_1)
	s_and_b32 s6, s4, exec_lo
	s_mov_b32 s4, -1
	s_or_b32 s3, s3, s6
.LBB51_1425:
	s_mov_b32 s6, 0
.LBB51_1426:
	s_and_not1_b32 s7, s72, exec_lo
	s_and_b32 s3, s3, exec_lo
	s_and_b32 s5, s5, exec_lo
	;; [unrolled: 1-line block ×4, first 2 shown]
	s_or_b32 s72, s7, s3
.LBB51_1427:
	s_or_b32 exec_lo, exec_lo, s2
	s_and_saveexec_b32 s2, s72
	s_cbranch_execnz .LBB51_1439
; %bb.1428:
	s_or_b32 exec_lo, exec_lo, s2
	s_and_saveexec_b32 s2, s4
	s_delay_alu instid0(SALU_CYCLE_1)
	s_xor_b32 s2, exec_lo, s2
	s_cbranch_execz .LBB51_1430
.LBB51_1429:
	global_load_u8 v0, v[1:2], off
	s_or_b32 s5, s5, exec_lo
	s_waitcnt vmcnt(0)
	v_cmp_ne_u16_e32 vcc_lo, 0, v0
	v_cndmask_b32_e64 v42, 0, 1.0, vcc_lo
.LBB51_1430:
	s_or_b32 exec_lo, exec_lo, s2
	s_and_saveexec_b32 s2, s6
	s_cbranch_execz .LBB51_1478
; %bb.1431:
	v_cmp_lt_i16_e64 s3, s65, 5
	s_delay_alu instid0(VALU_DEP_1)
	s_and_b32 vcc_lo, exec_lo, s3
	s_cbranch_vccnz .LBB51_1436
; %bb.1432:
	v_cmp_lt_i16_e64 s3, s65, 8
	s_delay_alu instid0(VALU_DEP_1)
	s_and_b32 vcc_lo, exec_lo, s3
	s_cbranch_vccnz .LBB51_1437
	;; [unrolled: 5-line block ×3, first 2 shown]
; %bb.1434:
	v_cmp_gt_i16_e64 s3, s65, 9
	s_delay_alu instid0(VALU_DEP_1)
	s_and_b32 vcc_lo, exec_lo, s3
	s_cbranch_vccz .LBB51_1441
; %bb.1435:
	global_load_b64 v[3:4], v[1:2], off
	s_mov_b32 s3, 0
	s_waitcnt vmcnt(0)
	v_cvt_f32_f64_e32 v42, v[3:4]
	s_branch .LBB51_1442
.LBB51_1436:
                                        ; implicit-def: $vgpr42
	s_branch .LBB51_1459
.LBB51_1437:
                                        ; implicit-def: $vgpr42
	s_branch .LBB51_1448
.LBB51_1438:
	s_mov_b32 s3, -1
                                        ; implicit-def: $vgpr42
	s_branch .LBB51_1445
.LBB51_1439:
	s_cbranch_execnz .LBB51_1701
; %bb.1440:
	s_or_b32 s40, s40, exec_lo
	s_and_not1_b32 s4, s4, exec_lo
                                        ; implicit-def: $vgpr42
	s_or_b32 exec_lo, exec_lo, s2
	s_and_saveexec_b32 s2, s4
	s_delay_alu instid0(SALU_CYCLE_1)
	s_xor_b32 s2, exec_lo, s2
	s_cbranch_execnz .LBB51_1429
	s_branch .LBB51_1430
.LBB51_1441:
	s_mov_b32 s3, -1
                                        ; implicit-def: $vgpr42
.LBB51_1442:
	s_delay_alu instid0(SALU_CYCLE_1)
	s_and_not1_b32 vcc_lo, exec_lo, s3
	s_cbranch_vccnz .LBB51_1444
; %bb.1443:
	global_load_b32 v42, v[1:2], off
.LBB51_1444:
	s_mov_b32 s3, 0
.LBB51_1445:
	s_delay_alu instid0(SALU_CYCLE_1)
	s_and_not1_b32 vcc_lo, exec_lo, s3
	s_cbranch_vccnz .LBB51_1447
; %bb.1446:
	global_load_b32 v0, v[1:2], off
	s_waitcnt vmcnt(0)
	v_cvt_f32_f16_e32 v42, v0
.LBB51_1447:
	s_cbranch_execnz .LBB51_1458
.LBB51_1448:
	v_cmp_lt_i16_e64 s3, s65, 6
	s_delay_alu instid0(VALU_DEP_1)
	s_and_b32 vcc_lo, exec_lo, s3
	s_cbranch_vccnz .LBB51_1451
; %bb.1449:
	v_cmp_gt_i16_e64 s3, s65, 6
	s_delay_alu instid0(VALU_DEP_1)
	s_and_b32 vcc_lo, exec_lo, s3
	s_cbranch_vccz .LBB51_1452
; %bb.1450:
	global_load_b64 v[3:4], v[1:2], off
	s_mov_b32 s3, 0
	s_waitcnt vmcnt(0)
	v_cvt_f32_f64_e32 v42, v[3:4]
	s_branch .LBB51_1453
.LBB51_1451:
	s_mov_b32 s3, -1
                                        ; implicit-def: $vgpr42
	s_branch .LBB51_1456
.LBB51_1452:
	s_mov_b32 s3, -1
                                        ; implicit-def: $vgpr42
.LBB51_1453:
	s_delay_alu instid0(SALU_CYCLE_1)
	s_and_not1_b32 vcc_lo, exec_lo, s3
	s_cbranch_vccnz .LBB51_1455
; %bb.1454:
	global_load_b32 v42, v[1:2], off
.LBB51_1455:
	s_mov_b32 s3, 0
.LBB51_1456:
	s_delay_alu instid0(SALU_CYCLE_1)
	s_and_not1_b32 vcc_lo, exec_lo, s3
	s_cbranch_vccnz .LBB51_1458
; %bb.1457:
	global_load_u16 v0, v[1:2], off
	s_waitcnt vmcnt(0)
	v_cvt_f32_f16_e32 v42, v0
.LBB51_1458:
	s_cbranch_execnz .LBB51_1477
.LBB51_1459:
	v_cmp_lt_i16_e64 s3, s65, 2
	s_delay_alu instid0(VALU_DEP_1)
	s_and_b32 vcc_lo, exec_lo, s3
	s_cbranch_vccnz .LBB51_1463
; %bb.1460:
	v_cmp_lt_i16_e64 s3, s65, 3
	s_delay_alu instid0(VALU_DEP_1)
	s_and_b32 vcc_lo, exec_lo, s3
	s_cbranch_vccnz .LBB51_1464
; %bb.1461:
	v_cmp_gt_i16_e64 s3, s65, 3
	s_delay_alu instid0(VALU_DEP_1)
	s_and_b32 vcc_lo, exec_lo, s3
	s_cbranch_vccz .LBB51_1465
; %bb.1462:
	global_load_b64 v[3:4], v[1:2], off
	s_mov_b32 s3, 0
	s_waitcnt vmcnt(0)
	v_xor_b32_e32 v0, v3, v4
	v_cls_i32_e32 v5, v4
	s_delay_alu instid0(VALU_DEP_2) | instskip(NEXT) | instid1(VALU_DEP_2)
	v_ashrrev_i32_e32 v0, 31, v0
	v_add_nc_u32_e32 v5, -1, v5
	s_delay_alu instid0(VALU_DEP_2) | instskip(NEXT) | instid1(VALU_DEP_1)
	v_add_nc_u32_e32 v0, 32, v0
	v_min_u32_e32 v0, v5, v0
	s_delay_alu instid0(VALU_DEP_1) | instskip(SKIP_1) | instid1(VALU_DEP_2)
	v_lshlrev_b64 v[3:4], v0, v[3:4]
	v_sub_nc_u32_e32 v0, 32, v0
	v_min_u32_e32 v3, 1, v3
	s_delay_alu instid0(VALU_DEP_1) | instskip(NEXT) | instid1(VALU_DEP_1)
	v_or_b32_e32 v3, v4, v3
	v_cvt_f32_i32_e32 v3, v3
	s_delay_alu instid0(VALU_DEP_1)
	v_ldexp_f32 v42, v3, v0
	s_branch .LBB51_1466
.LBB51_1463:
                                        ; implicit-def: $vgpr42
	s_branch .LBB51_1472
.LBB51_1464:
	s_mov_b32 s3, -1
                                        ; implicit-def: $vgpr42
	s_branch .LBB51_1469
.LBB51_1465:
	s_mov_b32 s3, -1
                                        ; implicit-def: $vgpr42
.LBB51_1466:
	s_delay_alu instid0(SALU_CYCLE_1)
	s_and_not1_b32 vcc_lo, exec_lo, s3
	s_cbranch_vccnz .LBB51_1468
; %bb.1467:
	global_load_b32 v0, v[1:2], off
	s_waitcnt vmcnt(0)
	v_cvt_f32_i32_e32 v42, v0
.LBB51_1468:
	s_mov_b32 s3, 0
.LBB51_1469:
	s_delay_alu instid0(SALU_CYCLE_1)
	s_and_not1_b32 vcc_lo, exec_lo, s3
	s_cbranch_vccnz .LBB51_1471
; %bb.1470:
	global_load_i16 v0, v[1:2], off
	s_waitcnt vmcnt(0)
	v_cvt_f32_i32_e32 v42, v0
.LBB51_1471:
	s_cbranch_execnz .LBB51_1477
.LBB51_1472:
	v_cmp_gt_i16_e64 s3, s65, 0
	s_delay_alu instid0(VALU_DEP_1)
	s_and_b32 vcc_lo, exec_lo, s3
	s_mov_b32 s3, 0
	s_cbranch_vccz .LBB51_1474
; %bb.1473:
	global_load_i8 v0, v[1:2], off
	s_waitcnt vmcnt(0)
	v_cvt_f32_i32_e32 v42, v0
	s_branch .LBB51_1475
.LBB51_1474:
	s_mov_b32 s3, -1
                                        ; implicit-def: $vgpr42
.LBB51_1475:
	s_delay_alu instid0(SALU_CYCLE_1)
	s_and_not1_b32 vcc_lo, exec_lo, s3
	s_cbranch_vccnz .LBB51_1477
; %bb.1476:
	global_load_u8 v0, v[1:2], off
	s_waitcnt vmcnt(0)
	v_cvt_f32_ubyte0_e32 v42, v0
.LBB51_1477:
	s_or_b32 s5, s5, exec_lo
.LBB51_1478:
	s_or_b32 exec_lo, exec_lo, s2
	s_mov_b32 s2, 0
	s_mov_b32 s3, 0
                                        ; implicit-def: $vgpr4
                                        ; implicit-def: $vgpr2_vgpr3
                                        ; implicit-def: $vgpr0
	s_and_saveexec_b32 s41, s5
	s_cbranch_execz .LBB51_1559
; %bb.1479:
	s_mov_b64 s[38:39], s[0:1]
	s_and_not1_b32 vcc_lo, exec_lo, s64
	s_cbranch_vccnz .LBB51_1481
; %bb.1480:
	s_waitcnt vmcnt(0)
	s_delay_alu instid0(VALU_DEP_1) | instskip(SKIP_3) | instid1(SALU_CYCLE_1)
	v_dual_mov_b32 v0, v40 :: v_dual_mov_b32 v1, v42
	s_getpc_b64 s[0:1]
	s_add_u32 s0, s0, _ZN12_GLOBAL__N_111calc_igammaIfEET_S1_S1_@rel32@lo+4
	s_addc_u32 s1, s1, _ZN12_GLOBAL__N_111calc_igammaIfEET_S1_S1_@rel32@hi+12
	s_swappc_b64 s[30:31], s[0:1]
	s_cbranch_execz .LBB51_1482
	s_branch .LBB51_1483
.LBB51_1481:
                                        ; implicit-def: $vgpr0
.LBB51_1482:
	s_waitcnt vmcnt(0)
	s_delay_alu instid0(VALU_DEP_1) | instskip(SKIP_3) | instid1(SALU_CYCLE_1)
	v_dual_mov_b32 v0, v40 :: v_dual_mov_b32 v1, v42
	s_getpc_b64 s[0:1]
	s_add_u32 s0, s0, _ZN12_GLOBAL__N_112calc_igammacIfEET_S1_S1_@rel32@lo+4
	s_addc_u32 s1, s1, _ZN12_GLOBAL__N_112calc_igammacIfEET_S1_S1_@rel32@hi+12
	s_swappc_b64 s[30:31], s[0:1]
.LBB51_1483:
	v_and_b32_e64 v4, 0xff, s63
	v_add_co_u32 v2, s2, s36, v43
	s_delay_alu instid0(VALU_DEP_1) | instskip(NEXT) | instid1(VALU_DEP_3)
	v_add_co_ci_u32_e64 v3, null, s37, 0, s2
	v_cmp_gt_i16_e32 vcc_lo, 11, v4
	s_mov_b64 s[0:1], s[38:39]
	s_mov_b32 s4, 0
	s_mov_b32 s3, -1
	s_mov_b32 s2, s71
	s_cbranch_vccnz .LBB51_1558
; %bb.1484:
	v_cmp_lt_i16_e32 vcc_lo, 25, v4
	s_mov_b32 s2, s71
	s_cbranch_vccz .LBB51_1517
; %bb.1485:
	v_cmp_lt_i16_e32 vcc_lo, 28, v4
	s_mov_b32 s2, s71
	s_cbranch_vccz .LBB51_1501
	;; [unrolled: 4-line block ×4, first 2 shown]
; %bb.1488:
	v_cmp_eq_u16_e32 vcc_lo, 46, v4
	s_mov_b32 s2, -1
	s_cbranch_vccz .LBB51_1490
; %bb.1489:
	v_bfe_u32 v1, v0, 16, 1
	v_cmp_o_f32_e32 vcc_lo, v0, v0
	s_mov_b32 s2, 0
	s_delay_alu instid0(VALU_DEP_2) | instskip(NEXT) | instid1(VALU_DEP_1)
	v_add3_u32 v1, v0, v1, 0x7fff
	v_lshrrev_b32_e32 v1, 16, v1
	s_delay_alu instid0(VALU_DEP_1)
	v_cndmask_b32_e32 v1, 0x7fc0, v1, vcc_lo
	global_store_b32 v[2:3], v1, off
.LBB51_1490:
	s_mov_b32 s3, 0
.LBB51_1491:
	s_delay_alu instid0(SALU_CYCLE_1)
	s_and_b32 vcc_lo, exec_lo, s3
	s_cbranch_vccz .LBB51_1496
; %bb.1492:
	v_cmp_eq_u16_e32 vcc_lo, 44, v4
	s_mov_b32 s2, -1
	s_cbranch_vccz .LBB51_1496
; %bb.1493:
	v_bfe_u32 v5, v0, 23, 8
	v_mov_b32_e32 v1, 0xff
	s_mov_b32 s3, exec_lo
	s_delay_alu instid0(VALU_DEP_2)
	v_cmpx_ne_u32_e32 0xff, v5
; %bb.1494:
	v_and_b32_e32 v1, 0x400000, v0
	v_and_or_b32 v5, 0x3fffff, v0, v5
	s_delay_alu instid0(VALU_DEP_2) | instskip(NEXT) | instid1(VALU_DEP_2)
	v_cmp_ne_u32_e32 vcc_lo, 0, v1
	v_cmp_ne_u32_e64 s2, 0, v5
	v_lshrrev_b32_e32 v1, 23, v0
	s_delay_alu instid0(VALU_DEP_2) | instskip(NEXT) | instid1(SALU_CYCLE_1)
	s_and_b32 s2, vcc_lo, s2
	v_cndmask_b32_e64 v5, 0, 1, s2
	s_delay_alu instid0(VALU_DEP_1)
	v_add_nc_u32_e32 v1, v1, v5
; %bb.1495:
	s_or_b32 exec_lo, exec_lo, s3
	s_mov_b32 s2, 0
	global_store_b8 v[2:3], v1, off
.LBB51_1496:
	s_mov_b32 s3, 0
.LBB51_1497:
	s_delay_alu instid0(SALU_CYCLE_1)
	s_and_b32 vcc_lo, exec_lo, s3
	s_cbranch_vccz .LBB51_1500
; %bb.1498:
	v_cmp_eq_u16_e32 vcc_lo, 29, v4
	s_mov_b32 s2, -1
	s_cbranch_vccz .LBB51_1500
; %bb.1499:
	v_trunc_f32_e32 v1, v0
	s_mov_b32 s2, 0
	s_delay_alu instid0(VALU_DEP_1) | instskip(NEXT) | instid1(VALU_DEP_1)
	v_mul_f32_e32 v5, 0x2f800000, v1
	v_floor_f32_e32 v5, v5
	s_delay_alu instid0(VALU_DEP_1) | instskip(SKIP_1) | instid1(VALU_DEP_2)
	v_fmamk_f32 v1, v5, 0xcf800000, v1
	v_cvt_u32_f32_e32 v6, v5
	v_cvt_u32_f32_e32 v5, v1
	global_store_b64 v[2:3], v[5:6], off
.LBB51_1500:
	s_mov_b32 s3, 0
.LBB51_1501:
	s_delay_alu instid0(SALU_CYCLE_1)
	s_and_b32 vcc_lo, exec_lo, s3
	s_cbranch_vccz .LBB51_1516
; %bb.1502:
	v_cmp_gt_i16_e32 vcc_lo, 27, v4
	s_mov_b32 s3, -1
	s_cbranch_vccnz .LBB51_1508
; %bb.1503:
	v_cmp_lt_i16_e32 vcc_lo, 27, v4
	v_cvt_u32_f32_e32 v1, v0
	s_cbranch_vccz .LBB51_1505
; %bb.1504:
	s_mov_b32 s3, 0
	global_store_b32 v[2:3], v1, off
.LBB51_1505:
	s_and_not1_b32 vcc_lo, exec_lo, s3
	s_cbranch_vccnz .LBB51_1507
; %bb.1506:
	global_store_b16 v[2:3], v1, off
.LBB51_1507:
	s_mov_b32 s3, 0
.LBB51_1508:
	s_delay_alu instid0(SALU_CYCLE_1)
	s_and_not1_b32 vcc_lo, exec_lo, s3
	s_cbranch_vccnz .LBB51_1516
; %bb.1509:
	v_and_b32_e32 v1, 0x7fffffff, v0
	v_mov_b32_e32 v5, 0x80
	s_mov_b32 s3, exec_lo
	s_delay_alu instid0(VALU_DEP_2)
	v_cmpx_gt_u32_e32 0x43800000, v1
	s_cbranch_execz .LBB51_1515
; %bb.1510:
	v_cmp_lt_u32_e32 vcc_lo, 0x3bffffff, v1
                                        ; implicit-def: $vgpr1
	s_and_saveexec_b32 s5, vcc_lo
	s_delay_alu instid0(SALU_CYCLE_1)
	s_xor_b32 s5, exec_lo, s5
	s_cbranch_execz .LBB51_1793
; %bb.1511:
	v_bfe_u32 v1, v0, 20, 1
	s_mov_b32 s4, exec_lo
	s_delay_alu instid0(VALU_DEP_1) | instskip(NEXT) | instid1(VALU_DEP_1)
	v_add3_u32 v1, v0, v1, 0x487ffff
	v_lshrrev_b32_e32 v1, 20, v1
	s_or_saveexec_b32 s5, s5
                                        ; implicit-def: $sgpr6
	s_delay_alu instid0(SALU_CYCLE_1)
	s_xor_b32 exec_lo, exec_lo, s5
	s_cbranch_execnz .LBB51_1794
.LBB51_1512:
	s_or_b32 exec_lo, exec_lo, s5
	v_mov_b32_e32 v5, s6
	s_and_saveexec_b32 s5, s4
.LBB51_1513:
	v_lshrrev_b32_e32 v5, 24, v0
	s_delay_alu instid0(VALU_DEP_1)
	v_and_or_b32 v5, 0x80, v5, v1
.LBB51_1514:
	s_or_b32 exec_lo, exec_lo, s5
.LBB51_1515:
	s_delay_alu instid0(SALU_CYCLE_1)
	s_or_b32 exec_lo, exec_lo, s3
	global_store_b8 v[2:3], v5, off
.LBB51_1516:
	s_mov_b32 s3, 0
.LBB51_1517:
	s_delay_alu instid0(SALU_CYCLE_1)
	s_and_b32 vcc_lo, exec_lo, s3
	s_mov_b32 s3, 0
	s_cbranch_vccz .LBB51_1557
; %bb.1518:
	v_cmp_lt_i16_e32 vcc_lo, 22, v4
	s_mov_b32 s4, -1
	s_cbranch_vccz .LBB51_1550
; %bb.1519:
	v_cmp_gt_i16_e32 vcc_lo, 24, v4
	s_cbranch_vccnz .LBB51_1539
; %bb.1520:
	v_cmp_lt_i16_e32 vcc_lo, 24, v4
	s_cbranch_vccz .LBB51_1528
; %bb.1521:
	v_and_b32_e32 v1, 0x7fffffff, v0
	v_mov_b32_e32 v5, 0x80
	s_mov_b32 s4, exec_lo
	s_delay_alu instid0(VALU_DEP_2)
	v_cmpx_gt_u32_e32 0x47800000, v1
	s_cbranch_execz .LBB51_1527
; %bb.1522:
	v_cmp_lt_u32_e32 vcc_lo, 0x37ffffff, v1
	s_mov_b32 s5, 0
                                        ; implicit-def: $vgpr1
	s_and_saveexec_b32 s6, vcc_lo
	s_delay_alu instid0(SALU_CYCLE_1)
	s_xor_b32 s6, exec_lo, s6
	s_cbranch_execz .LBB51_1929
; %bb.1523:
	v_bfe_u32 v1, v0, 21, 1
	s_mov_b32 s5, exec_lo
	s_delay_alu instid0(VALU_DEP_1) | instskip(NEXT) | instid1(VALU_DEP_1)
	v_add3_u32 v1, v0, v1, 0x88fffff
	v_lshrrev_b32_e32 v1, 21, v1
	s_or_saveexec_b32 s6, s6
                                        ; implicit-def: $sgpr7
	s_delay_alu instid0(SALU_CYCLE_1)
	s_xor_b32 exec_lo, exec_lo, s6
	s_cbranch_execnz .LBB51_1930
.LBB51_1524:
	s_or_b32 exec_lo, exec_lo, s6
	v_mov_b32_e32 v5, s7
	s_and_saveexec_b32 s6, s5
.LBB51_1525:
	v_lshrrev_b32_e32 v5, 24, v0
	s_delay_alu instid0(VALU_DEP_1)
	v_and_or_b32 v5, 0x80, v5, v1
.LBB51_1526:
	s_or_b32 exec_lo, exec_lo, s6
.LBB51_1527:
	s_delay_alu instid0(SALU_CYCLE_1)
	s_or_b32 exec_lo, exec_lo, s4
	s_mov_b32 s4, 0
	global_store_b8 v[2:3], v5, off
.LBB51_1528:
	s_and_b32 vcc_lo, exec_lo, s4
	s_cbranch_vccz .LBB51_1538
; %bb.1529:
	v_and_b32_e32 v5, 0x7fffffff, v0
	s_mov_b32 s4, exec_lo
                                        ; implicit-def: $vgpr1
	s_delay_alu instid0(VALU_DEP_1)
	v_cmpx_gt_u32_e32 0x43f00000, v5
	s_xor_b32 s4, exec_lo, s4
	s_cbranch_execz .LBB51_1535
; %bb.1530:
	s_mov_b32 s5, exec_lo
                                        ; implicit-def: $vgpr1
	v_cmpx_lt_u32_e32 0x3c7fffff, v5
	s_xor_b32 s5, exec_lo, s5
; %bb.1531:
	v_bfe_u32 v1, v0, 20, 1
	s_delay_alu instid0(VALU_DEP_1) | instskip(NEXT) | instid1(VALU_DEP_1)
	v_add3_u32 v1, v0, v1, 0x407ffff
	v_and_b32_e32 v5, 0xff00000, v1
	v_lshrrev_b32_e32 v1, 20, v1
	s_delay_alu instid0(VALU_DEP_2) | instskip(NEXT) | instid1(VALU_DEP_2)
	v_cmp_ne_u32_e32 vcc_lo, 0x7f00000, v5
	v_cndmask_b32_e32 v1, 0x7e, v1, vcc_lo
; %bb.1532:
	s_and_not1_saveexec_b32 s5, s5
; %bb.1533:
	v_add_f32_e64 v1, 0x46800000, |v0|
; %bb.1534:
	s_or_b32 exec_lo, exec_lo, s5
                                        ; implicit-def: $vgpr5
.LBB51_1535:
	s_and_not1_saveexec_b32 s4, s4
; %bb.1536:
	v_mov_b32_e32 v1, 0x7f
	v_cmp_lt_u32_e32 vcc_lo, 0x7f800000, v5
	s_delay_alu instid0(VALU_DEP_2)
	v_cndmask_b32_e32 v1, 0x7e, v1, vcc_lo
; %bb.1537:
	s_or_b32 exec_lo, exec_lo, s4
	v_lshrrev_b32_e32 v5, 24, v0
	s_delay_alu instid0(VALU_DEP_1)
	v_and_or_b32 v1, 0x80, v5, v1
	global_store_b8 v[2:3], v1, off
.LBB51_1538:
	s_mov_b32 s4, 0
.LBB51_1539:
	s_delay_alu instid0(SALU_CYCLE_1)
	s_and_not1_b32 vcc_lo, exec_lo, s4
	s_cbranch_vccnz .LBB51_1549
; %bb.1540:
	v_and_b32_e32 v5, 0x7fffffff, v0
	s_mov_b32 s4, exec_lo
                                        ; implicit-def: $vgpr1
	s_delay_alu instid0(VALU_DEP_1)
	v_cmpx_gt_u32_e32 0x47800000, v5
	s_xor_b32 s4, exec_lo, s4
	s_cbranch_execz .LBB51_1546
; %bb.1541:
	s_mov_b32 s5, exec_lo
                                        ; implicit-def: $vgpr1
	v_cmpx_lt_u32_e32 0x387fffff, v5
	s_xor_b32 s5, exec_lo, s5
; %bb.1542:
	v_bfe_u32 v1, v0, 21, 1
	s_delay_alu instid0(VALU_DEP_1) | instskip(NEXT) | instid1(VALU_DEP_1)
	v_add3_u32 v1, v0, v1, 0x80fffff
	v_lshrrev_b32_e32 v1, 21, v1
; %bb.1543:
	s_and_not1_saveexec_b32 s5, s5
; %bb.1544:
	v_add_f32_e64 v1, 0x43000000, |v0|
; %bb.1545:
	s_or_b32 exec_lo, exec_lo, s5
                                        ; implicit-def: $vgpr5
.LBB51_1546:
	s_and_not1_saveexec_b32 s4, s4
; %bb.1547:
	v_mov_b32_e32 v1, 0x7f
	v_cmp_lt_u32_e32 vcc_lo, 0x7f800000, v5
	s_delay_alu instid0(VALU_DEP_2)
	v_cndmask_b32_e32 v1, 0x7c, v1, vcc_lo
; %bb.1548:
	s_or_b32 exec_lo, exec_lo, s4
	v_lshrrev_b32_e32 v5, 24, v0
	s_delay_alu instid0(VALU_DEP_1)
	v_and_or_b32 v1, 0x80, v5, v1
	global_store_b8 v[2:3], v1, off
.LBB51_1549:
	s_mov_b32 s4, 0
.LBB51_1550:
	s_delay_alu instid0(SALU_CYCLE_1)
	s_and_not1_b32 vcc_lo, exec_lo, s4
	s_mov_b32 s4, 0
	s_cbranch_vccnz .LBB51_1558
; %bb.1551:
	v_cmp_lt_i16_e32 vcc_lo, 14, v4
	s_mov_b32 s4, -1
	s_cbranch_vccz .LBB51_1555
; %bb.1552:
	v_cmp_eq_u16_e32 vcc_lo, 15, v4
	s_mov_b32 s2, -1
	s_cbranch_vccz .LBB51_1554
; %bb.1553:
	v_bfe_u32 v1, v0, 16, 1
	v_cmp_o_f32_e32 vcc_lo, v0, v0
	s_mov_b32 s2, 0
	s_delay_alu instid0(VALU_DEP_2) | instskip(NEXT) | instid1(VALU_DEP_1)
	v_add3_u32 v1, v0, v1, 0x7fff
	v_lshrrev_b32_e32 v1, 16, v1
	s_delay_alu instid0(VALU_DEP_1)
	v_cndmask_b32_e32 v1, 0x7fc0, v1, vcc_lo
	global_store_b16 v[2:3], v1, off
.LBB51_1554:
	s_mov_b32 s4, 0
.LBB51_1555:
	s_delay_alu instid0(SALU_CYCLE_1)
	s_and_b32 vcc_lo, exec_lo, s4
	s_mov_b32 s4, 0
	s_cbranch_vccz .LBB51_1558
; %bb.1556:
	v_cmp_ne_u16_e32 vcc_lo, 11, v4
	s_and_not1_b32 s2, s2, exec_lo
	s_mov_b32 s4, -1
	s_and_b32 s5, vcc_lo, exec_lo
	s_delay_alu instid0(SALU_CYCLE_1)
	s_or_b32 s2, s2, s5
	s_branch .LBB51_1558
.LBB51_1557:
	s_mov_b32 s4, 0
.LBB51_1558:
	s_and_not1_b32 s5, s71, exec_lo
	s_and_b32 s6, s2, exec_lo
	s_and_b32 s3, s3, exec_lo
	;; [unrolled: 1-line block ×3, first 2 shown]
	s_or_b32 s71, s5, s6
.LBB51_1559:
	s_or_b32 exec_lo, exec_lo, s41
	s_and_saveexec_b32 s4, s71
	s_cbranch_execnz .LBB51_1661
; %bb.1560:
	s_or_b32 exec_lo, exec_lo, s4
	s_and_saveexec_b32 s4, s2
	s_delay_alu instid0(SALU_CYCLE_1)
	s_xor_b32 s2, exec_lo, s4
	s_cbranch_execz .LBB51_1562
.LBB51_1561:
	v_cmp_neq_f32_e32 vcc_lo, 0, v0
	v_cndmask_b32_e64 v1, 0, 1, vcc_lo
	global_store_b8 v[2:3], v1, off
.LBB51_1562:
	s_or_b32 exec_lo, exec_lo, s2
	s_and_saveexec_b32 s2, s3
	s_delay_alu instid0(SALU_CYCLE_1)
	s_xor_b32 s2, exec_lo, s2
	s_cbranch_execz .LBB51_1600
; %bb.1563:
	v_cmp_gt_i16_e32 vcc_lo, 5, v4
	s_mov_b32 s3, -1
	s_cbranch_vccnz .LBB51_1584
; %bb.1564:
	v_cmp_gt_i16_e32 vcc_lo, 8, v4
	s_cbranch_vccnz .LBB51_1574
; %bb.1565:
	v_cmp_gt_i16_e32 vcc_lo, 9, v4
	s_cbranch_vccnz .LBB51_1571
; %bb.1566:
	v_cmp_lt_i16_e32 vcc_lo, 9, v4
	s_cbranch_vccz .LBB51_1568
; %bb.1567:
	v_cvt_f64_f32_e32 v[5:6], v0
	v_mov_b32_e32 v7, 0
	s_mov_b32 s3, 0
	s_delay_alu instid0(VALU_DEP_1)
	v_mov_b32_e32 v8, v7
	global_store_b128 v[2:3], v[5:8], off
.LBB51_1568:
	s_and_not1_b32 vcc_lo, exec_lo, s3
	s_cbranch_vccnz .LBB51_1570
; %bb.1569:
	v_mov_b32_e32 v1, 0
	global_store_b64 v[2:3], v[0:1], off
.LBB51_1570:
	s_mov_b32 s3, 0
.LBB51_1571:
	s_delay_alu instid0(SALU_CYCLE_1)
	s_and_not1_b32 vcc_lo, exec_lo, s3
	s_cbranch_vccnz .LBB51_1573
; %bb.1572:
	v_cvt_f16_f32_e32 v1, v0
	s_delay_alu instid0(VALU_DEP_1)
	v_and_b32_e32 v1, 0xffff, v1
	global_store_b32 v[2:3], v1, off
.LBB51_1573:
	s_mov_b32 s3, 0
.LBB51_1574:
	s_delay_alu instid0(SALU_CYCLE_1)
	s_and_not1_b32 vcc_lo, exec_lo, s3
	s_cbranch_vccnz .LBB51_1583
; %bb.1575:
	v_cmp_gt_i16_e32 vcc_lo, 6, v4
	s_mov_b32 s3, -1
	s_cbranch_vccnz .LBB51_1581
; %bb.1576:
	v_cmp_lt_i16_e32 vcc_lo, 6, v4
	s_cbranch_vccz .LBB51_1578
; %bb.1577:
	v_cvt_f64_f32_e32 v[5:6], v0
	s_mov_b32 s3, 0
	global_store_b64 v[2:3], v[5:6], off
.LBB51_1578:
	s_and_not1_b32 vcc_lo, exec_lo, s3
	s_cbranch_vccnz .LBB51_1580
; %bb.1579:
	global_store_b32 v[2:3], v0, off
.LBB51_1580:
	s_mov_b32 s3, 0
.LBB51_1581:
	s_delay_alu instid0(SALU_CYCLE_1)
	s_and_not1_b32 vcc_lo, exec_lo, s3
	s_cbranch_vccnz .LBB51_1583
; %bb.1582:
	v_cvt_f16_f32_e32 v1, v0
	global_store_b16 v[2:3], v1, off
.LBB51_1583:
	s_mov_b32 s3, 0
.LBB51_1584:
	s_delay_alu instid0(SALU_CYCLE_1)
	s_and_not1_b32 vcc_lo, exec_lo, s3
	s_cbranch_vccnz .LBB51_1600
; %bb.1585:
	v_cmp_gt_i16_e32 vcc_lo, 2, v4
	s_mov_b32 s3, -1
	s_cbranch_vccnz .LBB51_1595
; %bb.1586:
	v_cmp_gt_i16_e32 vcc_lo, 3, v4
	s_cbranch_vccnz .LBB51_1592
; %bb.1587:
	v_cmp_lt_i16_e32 vcc_lo, 3, v4
	s_cbranch_vccz .LBB51_1589
; %bb.1588:
	v_trunc_f32_e32 v1, v0
	s_mov_b32 s3, 0
	s_delay_alu instid0(VALU_DEP_1) | instskip(NEXT) | instid1(VALU_DEP_1)
	v_mul_f32_e64 v5, 0x2f800000, |v1|
	v_floor_f32_e32 v5, v5
	s_delay_alu instid0(VALU_DEP_1) | instskip(SKIP_2) | instid1(VALU_DEP_3)
	v_fma_f32 v6, 0xcf800000, v5, |v1|
	v_ashrrev_i32_e32 v1, 31, v1
	v_cvt_u32_f32_e32 v5, v5
	v_cvt_u32_f32_e32 v6, v6
	s_delay_alu instid0(VALU_DEP_2) | instskip(NEXT) | instid1(VALU_DEP_2)
	v_xor_b32_e32 v7, v5, v1
	v_xor_b32_e32 v6, v6, v1
	s_delay_alu instid0(VALU_DEP_1) | instskip(NEXT) | instid1(VALU_DEP_3)
	v_sub_co_u32 v5, vcc_lo, v6, v1
	v_sub_co_ci_u32_e32 v6, vcc_lo, v7, v1, vcc_lo
	global_store_b64 v[2:3], v[5:6], off
.LBB51_1589:
	s_and_not1_b32 vcc_lo, exec_lo, s3
	s_cbranch_vccnz .LBB51_1591
; %bb.1590:
	v_cvt_i32_f32_e32 v1, v0
	global_store_b32 v[2:3], v1, off
.LBB51_1591:
	s_mov_b32 s3, 0
.LBB51_1592:
	s_delay_alu instid0(SALU_CYCLE_1)
	s_and_not1_b32 vcc_lo, exec_lo, s3
	s_cbranch_vccnz .LBB51_1594
; %bb.1593:
	v_cvt_i32_f32_e32 v1, v0
	global_store_b16 v[2:3], v1, off
.LBB51_1594:
	s_mov_b32 s3, 0
.LBB51_1595:
	s_delay_alu instid0(SALU_CYCLE_1)
	s_and_not1_b32 vcc_lo, exec_lo, s3
	s_cbranch_vccnz .LBB51_1600
; %bb.1596:
	v_cmp_lt_i16_e32 vcc_lo, 0, v4
	s_mov_b32 s3, -1
	s_cbranch_vccz .LBB51_1598
; %bb.1597:
	v_cvt_i32_f32_e32 v1, v0
	s_mov_b32 s3, 0
	global_store_b8 v[2:3], v1, off
.LBB51_1598:
	s_and_not1_b32 vcc_lo, exec_lo, s3
	s_cbranch_vccnz .LBB51_1600
; %bb.1599:
	v_trunc_f32_e32 v0, v0
	s_delay_alu instid0(VALU_DEP_1) | instskip(NEXT) | instid1(VALU_DEP_1)
	v_mul_f32_e64 v1, 0x2f800000, |v0|
	v_floor_f32_e32 v1, v1
	s_delay_alu instid0(VALU_DEP_1) | instskip(SKIP_1) | instid1(VALU_DEP_2)
	v_fma_f32 v1, 0xcf800000, v1, |v0|
	v_ashrrev_i32_e32 v0, 31, v0
	v_cvt_u32_f32_e32 v1, v1
	s_delay_alu instid0(VALU_DEP_1) | instskip(NEXT) | instid1(VALU_DEP_1)
	v_xor_b32_e32 v1, v1, v0
	v_sub_nc_u32_e32 v0, v1, v0
	global_store_b8 v[2:3], v0, off
.LBB51_1600:
	s_or_b32 exec_lo, exec_lo, s2
	s_delay_alu instid0(SALU_CYCLE_1)
	s_and_b32 s42, s40, exec_lo
                                        ; implicit-def: $vgpr5
                                        ; implicit-def: $vgpr46
.LBB51_1601:
	s_or_saveexec_b32 s43, s62
	s_mov_b32 s2, 0
                                        ; implicit-def: $vgpr2_vgpr3
                                        ; implicit-def: $vgpr4
                                        ; implicit-def: $vgpr0
	s_xor_b32 exec_lo, exec_lo, s43
	s_cbranch_execz .LBB51_2729
; %bb.1602:
	v_cndmask_b32_e64 v2, 0, 1, s61
	s_and_not1_b32 vcc_lo, exec_lo, s61
	s_cbranch_vccnz .LBB51_1608
; %bb.1603:
	v_dual_mov_b32 v58, 0 :: v_dual_mov_b32 v1, 0
	v_mov_b32_e32 v0, 0
	s_cmp_lg_u32 s58, 0
	s_mov_b32 s4, 0
	s_cbranch_scc0 .LBB51_1609
; %bb.1604:
	s_min_u32 s5, s59, 15
	v_dual_mov_b32 v0, 0 :: v_dual_mov_b32 v1, 0
	s_add_i32 s2, s5, 1
	v_dual_mov_b32 v58, 0 :: v_dual_mov_b32 v3, v46
	s_and_b32 s6, s2, 30
	s_add_u32 s2, s48, 0xffffffec
	s_addc_u32 s3, s49, -1
	s_set_inst_prefetch_distance 0x1
	.p2align	6
.LBB51_1605:                            ; =>This Inner Loop Header: Depth=1
	s_clause 0x2
	s_load_b128 s[8:11], s[2:3], 0x18
	s_load_b64 s[16:17], s[2:3], 0x28
	s_load_b128 s[12:15], s[2:3], 0xd8
	s_waitcnt lgkmcnt(0)
	v_mul_hi_u32 v4, s9, v3
	s_delay_alu instid0(VALU_DEP_1) | instskip(NEXT) | instid1(VALU_DEP_1)
	v_add_nc_u32_e32 v4, v3, v4
	v_lshrrev_b32_e32 v4, s10, v4
	s_delay_alu instid0(VALU_DEP_1)
	v_mul_hi_u32 v6, s16, v4
	v_mul_lo_u32 v7, v4, s8
	s_load_b64 s[8:9], s[2:3], 0xe8
	s_add_u32 s2, s2, 24
	s_addc_u32 s3, s3, 0
	s_add_i32 s6, s6, -2
	s_delay_alu instid0(SALU_CYCLE_1) | instskip(NEXT) | instid1(VALU_DEP_2)
	s_cmp_lg_u32 s6, 0
	v_add_nc_u32_e32 v6, v4, v6
	s_delay_alu instid0(VALU_DEP_2) | instskip(NEXT) | instid1(VALU_DEP_2)
	v_sub_nc_u32_e32 v7, v3, v7
	v_lshrrev_b32_e32 v3, s17, v6
	s_delay_alu instid0(VALU_DEP_2) | instskip(NEXT) | instid1(VALU_DEP_2)
	v_mul_lo_u32 v8, v7, s12
	v_mul_lo_u32 v6, v3, s11
	s_delay_alu instid0(VALU_DEP_1) | instskip(SKIP_2) | instid1(VALU_DEP_3)
	v_sub_nc_u32_e32 v4, v4, v6
	v_mul_lo_u32 v6, v7, s13
	v_mul_lo_u32 v7, v7, s14
	;; [unrolled: 1-line block ×3, first 2 shown]
	s_waitcnt lgkmcnt(0)
	v_mul_lo_u32 v10, v4, s8
	v_mul_lo_u32 v4, v4, s9
	s_delay_alu instid0(VALU_DEP_3) | instskip(NEXT) | instid1(VALU_DEP_3)
	v_add3_u32 v58, v8, v58, v9
	v_add3_u32 v1, v6, v1, v10
	s_delay_alu instid0(VALU_DEP_3)
	v_add3_u32 v0, v7, v0, v4
	s_cbranch_scc1 .LBB51_1605
; %bb.1606:
	s_set_inst_prefetch_distance 0x2
	s_bitcmp1_b32 s5, 0
	s_cselect_b32 s5, -1, 0
	s_delay_alu instid0(SALU_CYCLE_1)
	s_and_b32 vcc_lo, exec_lo, s5
	s_cbranch_vccnz .LBB51_1609
; %bb.1607:
	s_clause 0x3
	s_load_b64 s[6:7], s[2:3], 0x18
	s_load_b32 s5, s[2:3], 0x20
	s_load_b64 s[8:9], s[2:3], 0xd8
	s_load_b32 s2, s[2:3], 0xe0
	s_waitcnt lgkmcnt(0)
	v_mul_hi_u32 v4, s7, v3
	s_delay_alu instid0(VALU_DEP_1) | instskip(NEXT) | instid1(VALU_DEP_1)
	v_add_nc_u32_e32 v4, v3, v4
	v_lshrrev_b32_e32 v4, s5, v4
	s_delay_alu instid0(VALU_DEP_1) | instskip(NEXT) | instid1(VALU_DEP_1)
	v_mul_lo_u32 v4, v4, s6
	v_sub_nc_u32_e32 v9, v3, v4
	s_delay_alu instid0(VALU_DEP_1) | instskip(SKIP_2) | instid1(VALU_DEP_2)
	v_mad_u64_u32 v[6:7], null, v9, s9, v[1:2]
	v_mad_u64_u32 v[3:4], null, v9, s8, v[58:59]
	;; [unrolled: 1-line block ×3, first 2 shown]
	v_dual_mov_b32 v1, v6 :: v_dual_mov_b32 v58, v3
	s_delay_alu instid0(VALU_DEP_2)
	v_mov_b32_e32 v0, v7
	s_branch .LBB51_1609
.LBB51_1608:
	s_mov_b32 s4, -1
                                        ; implicit-def: $vgpr58
                                        ; implicit-def: $vgpr1
                                        ; implicit-def: $vgpr0
.LBB51_1609:
	s_delay_alu instid0(SALU_CYCLE_1)
	s_and_not1_b32 vcc_lo, exec_lo, s4
	s_cbranch_vccnz .LBB51_1612
; %bb.1610:
	s_clause 0x1
	s_load_b128 s[4:7], s[48:49], 0x4
	s_load_b128 s[8:11], s[48:49], 0xc4
	s_cmp_lt_u32 s58, 2
	s_waitcnt lgkmcnt(0)
	v_mul_hi_u32 v0, s5, v46
	s_delay_alu instid0(VALU_DEP_1) | instskip(NEXT) | instid1(VALU_DEP_1)
	v_add_nc_u32_e32 v0, v46, v0
	v_lshrrev_b32_e32 v3, s6, v0
	s_delay_alu instid0(VALU_DEP_1) | instskip(NEXT) | instid1(VALU_DEP_1)
	v_mul_lo_u32 v0, v3, s4
	v_sub_nc_u32_e32 v0, v46, v0
	s_delay_alu instid0(VALU_DEP_1)
	v_mul_lo_u32 v58, v0, s8
	v_mul_lo_u32 v1, v0, s9
	;; [unrolled: 1-line block ×3, first 2 shown]
	s_cbranch_scc1 .LBB51_1612
; %bb.1611:
	s_clause 0x1
	s_load_b128 s[4:7], s[48:49], 0x10
	s_load_b128 s[8:11], s[48:49], 0xd0
	s_waitcnt lgkmcnt(0)
	v_mul_hi_u32 v4, s5, v3
	s_delay_alu instid0(VALU_DEP_1) | instskip(NEXT) | instid1(VALU_DEP_1)
	v_add_nc_u32_e32 v4, v3, v4
	v_lshrrev_b32_e32 v4, s6, v4
	s_delay_alu instid0(VALU_DEP_1) | instskip(NEXT) | instid1(VALU_DEP_1)
	v_mul_lo_u32 v4, v4, s4
	v_sub_nc_u32_e32 v9, v3, v4
	s_delay_alu instid0(VALU_DEP_1) | instskip(SKIP_2) | instid1(VALU_DEP_2)
	v_mad_u64_u32 v[6:7], null, v9, s9, v[1:2]
	v_mad_u64_u32 v[3:4], null, v9, s8, v[58:59]
	;; [unrolled: 1-line block ×3, first 2 shown]
	v_dual_mov_b32 v1, v6 :: v_dual_mov_b32 v58, v3
	s_delay_alu instid0(VALU_DEP_2)
	v_mov_b32_e32 v0, v7
.LBB51_1612:
	v_cmp_ne_u32_e32 vcc_lo, 1, v2
	v_add_nc_u32_e32 v3, 0x80, v46
	s_cbranch_vccnz .LBB51_1618
; %bb.1613:
	v_dual_mov_b32 v45, 0 :: v_dual_mov_b32 v62, 0
	v_mov_b32_e32 v44, 0
	s_cmp_lg_u32 s58, 0
	s_mov_b32 s4, 0
	s_cbranch_scc0 .LBB51_1619
; %bb.1614:
	s_min_u32 s5, s59, 15
	v_dual_mov_b32 v44, 0 :: v_dual_mov_b32 v45, 0
	s_add_i32 s2, s5, 1
	v_mov_b32_e32 v62, 0
	v_mov_b32_e32 v4, v3
	s_and_b32 s6, s2, 30
	s_add_u32 s2, s48, 0xffffffec
	s_addc_u32 s3, s49, -1
	s_set_inst_prefetch_distance 0x1
	.p2align	6
.LBB51_1615:                            ; =>This Inner Loop Header: Depth=1
	s_clause 0x2
	s_load_b128 s[8:11], s[2:3], 0x18
	s_load_b64 s[16:17], s[2:3], 0x28
	s_load_b128 s[12:15], s[2:3], 0xd8
	s_waitcnt lgkmcnt(0)
	v_mul_hi_u32 v6, s9, v4
	s_delay_alu instid0(VALU_DEP_1) | instskip(NEXT) | instid1(VALU_DEP_1)
	v_add_nc_u32_e32 v6, v4, v6
	v_lshrrev_b32_e32 v6, s10, v6
	s_delay_alu instid0(VALU_DEP_1)
	v_mul_hi_u32 v7, s16, v6
	v_mul_lo_u32 v8, v6, s8
	s_load_b64 s[8:9], s[2:3], 0xe8
	s_add_u32 s2, s2, 24
	s_addc_u32 s3, s3, 0
	s_add_i32 s6, s6, -2
	s_delay_alu instid0(SALU_CYCLE_1) | instskip(NEXT) | instid1(VALU_DEP_2)
	s_cmp_lg_u32 s6, 0
	v_add_nc_u32_e32 v7, v6, v7
	s_delay_alu instid0(VALU_DEP_2) | instskip(NEXT) | instid1(VALU_DEP_2)
	v_sub_nc_u32_e32 v8, v4, v8
	v_lshrrev_b32_e32 v4, s17, v7
	s_delay_alu instid0(VALU_DEP_2) | instskip(NEXT) | instid1(VALU_DEP_2)
	v_mul_lo_u32 v9, v8, s12
	v_mul_lo_u32 v7, v4, s11
	s_delay_alu instid0(VALU_DEP_1) | instskip(SKIP_2) | instid1(VALU_DEP_3)
	v_sub_nc_u32_e32 v6, v6, v7
	v_mul_lo_u32 v7, v8, s13
	v_mul_lo_u32 v8, v8, s14
	;; [unrolled: 1-line block ×3, first 2 shown]
	s_waitcnt lgkmcnt(0)
	v_mul_lo_u32 v11, v6, s8
	v_mul_lo_u32 v6, v6, s9
	s_delay_alu instid0(VALU_DEP_3) | instskip(NEXT) | instid1(VALU_DEP_3)
	v_add3_u32 v45, v9, v45, v10
	v_add3_u32 v62, v7, v62, v11
	s_delay_alu instid0(VALU_DEP_3)
	v_add3_u32 v44, v8, v44, v6
	s_cbranch_scc1 .LBB51_1615
; %bb.1616:
	s_set_inst_prefetch_distance 0x2
	s_bitcmp1_b32 s5, 0
	s_cselect_b32 s5, -1, 0
	s_delay_alu instid0(SALU_CYCLE_1)
	s_and_b32 vcc_lo, exec_lo, s5
	s_cbranch_vccnz .LBB51_1619
; %bb.1617:
	s_clause 0x3
	s_load_b64 s[6:7], s[2:3], 0x18
	s_load_b32 s5, s[2:3], 0x20
	s_load_b64 s[8:9], s[2:3], 0xd8
	s_load_b32 s2, s[2:3], 0xe0
	s_waitcnt lgkmcnt(0)
	v_mul_hi_u32 v6, s7, v4
	s_delay_alu instid0(VALU_DEP_1) | instskip(NEXT) | instid1(VALU_DEP_1)
	v_add_nc_u32_e32 v6, v4, v6
	v_lshrrev_b32_e32 v6, s5, v6
	s_delay_alu instid0(VALU_DEP_1) | instskip(NEXT) | instid1(VALU_DEP_1)
	v_mul_lo_u32 v6, v6, s6
	v_sub_nc_u32_e32 v4, v4, v6
	s_delay_alu instid0(VALU_DEP_1) | instskip(SKIP_2) | instid1(VALU_DEP_2)
	v_mad_u64_u32 v[6:7], null, v4, s8, v[45:46]
	v_mad_u64_u32 v[7:8], null, v4, s9, v[62:63]
	;; [unrolled: 1-line block ×3, first 2 shown]
	v_dual_mov_b32 v45, v6 :: v_dual_mov_b32 v62, v7
	s_delay_alu instid0(VALU_DEP_2)
	v_mov_b32_e32 v44, v8
	s_branch .LBB51_1619
.LBB51_1618:
	s_mov_b32 s4, -1
                                        ; implicit-def: $vgpr45
                                        ; implicit-def: $vgpr62
                                        ; implicit-def: $vgpr44
.LBB51_1619:
	s_delay_alu instid0(SALU_CYCLE_1)
	s_and_not1_b32 vcc_lo, exec_lo, s4
	s_cbranch_vccnz .LBB51_1622
; %bb.1620:
	s_clause 0x1
	s_load_b128 s[4:7], s[48:49], 0x4
	s_load_b128 s[8:11], s[48:49], 0xc4
	s_cmp_lt_u32 s58, 2
	s_waitcnt lgkmcnt(0)
	v_mul_hi_u32 v4, s5, v3
	s_delay_alu instid0(VALU_DEP_1) | instskip(NEXT) | instid1(VALU_DEP_1)
	v_add_nc_u32_e32 v4, v3, v4
	v_lshrrev_b32_e32 v4, s6, v4
	s_delay_alu instid0(VALU_DEP_1) | instskip(NEXT) | instid1(VALU_DEP_1)
	v_mul_lo_u32 v6, v4, s4
	v_sub_nc_u32_e32 v3, v3, v6
	s_delay_alu instid0(VALU_DEP_1)
	v_mul_lo_u32 v45, v3, s8
	v_mul_lo_u32 v62, v3, s9
	;; [unrolled: 1-line block ×3, first 2 shown]
	s_cbranch_scc1 .LBB51_1622
; %bb.1621:
	s_clause 0x1
	s_load_b128 s[4:7], s[48:49], 0x10
	s_load_b128 s[8:11], s[48:49], 0xd0
	s_waitcnt lgkmcnt(0)
	v_mul_hi_u32 v3, s5, v4
	s_delay_alu instid0(VALU_DEP_1) | instskip(NEXT) | instid1(VALU_DEP_1)
	v_add_nc_u32_e32 v3, v4, v3
	v_lshrrev_b32_e32 v3, s6, v3
	s_delay_alu instid0(VALU_DEP_1) | instskip(NEXT) | instid1(VALU_DEP_1)
	v_mul_lo_u32 v3, v3, s4
	v_sub_nc_u32_e32 v9, v4, v3
	s_delay_alu instid0(VALU_DEP_1) | instskip(SKIP_2) | instid1(VALU_DEP_2)
	v_mad_u64_u32 v[6:7], null, v9, s9, v[62:63]
	v_mad_u64_u32 v[3:4], null, v9, s8, v[45:46]
	;; [unrolled: 1-line block ×3, first 2 shown]
	v_dual_mov_b32 v62, v6 :: v_dual_mov_b32 v45, v3
	s_delay_alu instid0(VALU_DEP_2)
	v_mov_b32_e32 v44, v7
.LBB51_1622:
	v_cmp_ne_u32_e32 vcc_lo, 1, v2
	v_add_nc_u32_e32 v3, 0x100, v46
	s_cbranch_vccnz .LBB51_1628
; %bb.1623:
	v_dual_mov_b32 v57, 0 :: v_dual_mov_b32 v46, 0
	v_mov_b32_e32 v61, 0
	s_cmp_lg_u32 s58, 0
	s_mov_b32 s4, 0
	s_cbranch_scc0 .LBB51_1629
; %bb.1624:
	s_min_u32 s5, s59, 15
	v_dual_mov_b32 v46, 0 :: v_dual_mov_b32 v61, 0
	s_add_i32 s2, s5, 1
	v_dual_mov_b32 v57, 0 :: v_dual_mov_b32 v4, v3
	s_and_b32 s6, s2, 30
	s_add_u32 s2, s48, 0xffffffec
	s_addc_u32 s3, s49, -1
	s_set_inst_prefetch_distance 0x1
	.p2align	6
.LBB51_1625:                            ; =>This Inner Loop Header: Depth=1
	s_clause 0x2
	s_load_b128 s[8:11], s[2:3], 0x18
	s_load_b64 s[16:17], s[2:3], 0x28
	s_load_b128 s[12:15], s[2:3], 0xd8
	s_waitcnt lgkmcnt(0)
	v_mul_hi_u32 v6, s9, v4
	s_delay_alu instid0(VALU_DEP_1) | instskip(NEXT) | instid1(VALU_DEP_1)
	v_add_nc_u32_e32 v6, v4, v6
	v_lshrrev_b32_e32 v6, s10, v6
	s_delay_alu instid0(VALU_DEP_1)
	v_mul_hi_u32 v7, s16, v6
	v_mul_lo_u32 v8, v6, s8
	s_load_b64 s[8:9], s[2:3], 0xe8
	s_add_u32 s2, s2, 24
	s_addc_u32 s3, s3, 0
	s_add_i32 s6, s6, -2
	s_delay_alu instid0(SALU_CYCLE_1) | instskip(NEXT) | instid1(VALU_DEP_2)
	s_cmp_lg_u32 s6, 0
	v_add_nc_u32_e32 v7, v6, v7
	s_delay_alu instid0(VALU_DEP_2) | instskip(NEXT) | instid1(VALU_DEP_2)
	v_sub_nc_u32_e32 v8, v4, v8
	v_lshrrev_b32_e32 v4, s17, v7
	s_delay_alu instid0(VALU_DEP_2) | instskip(NEXT) | instid1(VALU_DEP_2)
	v_mul_lo_u32 v9, v8, s12
	v_mul_lo_u32 v7, v4, s11
	s_delay_alu instid0(VALU_DEP_1) | instskip(SKIP_2) | instid1(VALU_DEP_3)
	v_sub_nc_u32_e32 v6, v6, v7
	v_mul_lo_u32 v7, v8, s13
	v_mul_lo_u32 v8, v8, s14
	;; [unrolled: 1-line block ×3, first 2 shown]
	s_waitcnt lgkmcnt(0)
	v_mul_lo_u32 v11, v6, s8
	v_mul_lo_u32 v6, v6, s9
	s_delay_alu instid0(VALU_DEP_3) | instskip(NEXT) | instid1(VALU_DEP_3)
	v_add3_u32 v57, v9, v57, v10
	v_add3_u32 v61, v7, v61, v11
	s_delay_alu instid0(VALU_DEP_3)
	v_add3_u32 v46, v8, v46, v6
	s_cbranch_scc1 .LBB51_1625
; %bb.1626:
	s_set_inst_prefetch_distance 0x2
	s_bitcmp1_b32 s5, 0
	s_cselect_b32 s5, -1, 0
	s_delay_alu instid0(SALU_CYCLE_1)
	s_and_b32 vcc_lo, exec_lo, s5
	s_cbranch_vccnz .LBB51_1629
; %bb.1627:
	s_clause 0x3
	s_load_b64 s[6:7], s[2:3], 0x18
	s_load_b32 s5, s[2:3], 0x20
	s_load_b64 s[8:9], s[2:3], 0xd8
	s_load_b32 s2, s[2:3], 0xe0
	s_waitcnt lgkmcnt(0)
	v_mul_hi_u32 v6, s7, v4
	s_delay_alu instid0(VALU_DEP_1) | instskip(NEXT) | instid1(VALU_DEP_1)
	v_add_nc_u32_e32 v6, v4, v6
	v_lshrrev_b32_e32 v6, s5, v6
	s_delay_alu instid0(VALU_DEP_1) | instskip(NEXT) | instid1(VALU_DEP_1)
	v_mul_lo_u32 v6, v6, s6
	v_sub_nc_u32_e32 v4, v4, v6
	s_delay_alu instid0(VALU_DEP_1) | instskip(SKIP_2) | instid1(VALU_DEP_3)
	v_mad_u64_u32 v[6:7], null, v4, s8, v[57:58]
	v_mad_u64_u32 v[7:8], null, v4, s9, v[61:62]
	;; [unrolled: 1-line block ×3, first 2 shown]
	v_mov_b32_e32 v57, v6
	s_delay_alu instid0(VALU_DEP_2)
	v_dual_mov_b32 v61, v7 :: v_dual_mov_b32 v46, v8
	s_branch .LBB51_1629
.LBB51_1628:
	s_mov_b32 s4, -1
                                        ; implicit-def: $vgpr57
                                        ; implicit-def: $vgpr61
                                        ; implicit-def: $vgpr46
.LBB51_1629:
	s_delay_alu instid0(SALU_CYCLE_1)
	s_and_not1_b32 vcc_lo, exec_lo, s4
	s_cbranch_vccnz .LBB51_1632
; %bb.1630:
	s_clause 0x1
	s_load_b128 s[4:7], s[48:49], 0x4
	s_load_b128 s[8:11], s[48:49], 0xc4
	s_cmp_lt_u32 s58, 2
	s_waitcnt lgkmcnt(0)
	v_mul_hi_u32 v4, s5, v3
	s_delay_alu instid0(VALU_DEP_1) | instskip(NEXT) | instid1(VALU_DEP_1)
	v_add_nc_u32_e32 v4, v3, v4
	v_lshrrev_b32_e32 v4, s6, v4
	s_delay_alu instid0(VALU_DEP_1) | instskip(NEXT) | instid1(VALU_DEP_1)
	v_mul_lo_u32 v6, v4, s4
	v_sub_nc_u32_e32 v3, v3, v6
	s_delay_alu instid0(VALU_DEP_1)
	v_mul_lo_u32 v57, v3, s8
	v_mul_lo_u32 v61, v3, s9
	;; [unrolled: 1-line block ×3, first 2 shown]
	s_cbranch_scc1 .LBB51_1632
; %bb.1631:
	s_clause 0x1
	s_load_b128 s[4:7], s[48:49], 0x10
	s_load_b128 s[8:11], s[48:49], 0xd0
	s_waitcnt lgkmcnt(0)
	v_mul_hi_u32 v3, s5, v4
	s_delay_alu instid0(VALU_DEP_1) | instskip(NEXT) | instid1(VALU_DEP_1)
	v_add_nc_u32_e32 v3, v4, v3
	v_lshrrev_b32_e32 v3, s6, v3
	s_delay_alu instid0(VALU_DEP_1) | instskip(NEXT) | instid1(VALU_DEP_1)
	v_mul_lo_u32 v3, v3, s4
	v_sub_nc_u32_e32 v9, v4, v3
	s_delay_alu instid0(VALU_DEP_1) | instskip(SKIP_2) | instid1(VALU_DEP_3)
	v_mad_u64_u32 v[6:7], null, v9, s9, v[61:62]
	v_mad_u64_u32 v[3:4], null, v9, s8, v[57:58]
	;; [unrolled: 1-line block ×3, first 2 shown]
	v_mov_b32_e32 v61, v6
	s_delay_alu instid0(VALU_DEP_3) | instskip(NEXT) | instid1(VALU_DEP_3)
	v_mov_b32_e32 v57, v3
	v_mov_b32_e32 v46, v7
.LBB51_1632:
	v_cmp_ne_u32_e32 vcc_lo, 1, v2
	s_cbranch_vccnz .LBB51_1638
; %bb.1633:
	v_dual_mov_b32 v56, 0 :: v_dual_mov_b32 v59, 0
	v_mov_b32_e32 v60, 0
	s_cmp_lg_u32 s58, 0
	s_mov_b32 s4, 0
	s_cbranch_scc0 .LBB51_1639
; %bb.1634:
	s_min_u32 s5, s59, 15
	v_dual_mov_b32 v59, 0 :: v_dual_mov_b32 v60, 0
	s_add_i32 s2, s5, 1
	v_mov_b32_e32 v56, 0
	v_mov_b32_e32 v2, v5
	s_and_b32 s6, s2, 30
	s_add_u32 s2, s48, 0xffffffec
	s_addc_u32 s3, s49, -1
	s_set_inst_prefetch_distance 0x1
	.p2align	6
.LBB51_1635:                            ; =>This Inner Loop Header: Depth=1
	s_clause 0x2
	s_load_b128 s[8:11], s[2:3], 0x18
	s_load_b64 s[16:17], s[2:3], 0x28
	s_load_b128 s[12:15], s[2:3], 0xd8
	s_waitcnt lgkmcnt(0)
	v_mul_hi_u32 v3, s9, v2
	s_delay_alu instid0(VALU_DEP_1) | instskip(NEXT) | instid1(VALU_DEP_1)
	v_add_nc_u32_e32 v3, v2, v3
	v_lshrrev_b32_e32 v3, s10, v3
	s_delay_alu instid0(VALU_DEP_1)
	v_mul_hi_u32 v4, s16, v3
	v_mul_lo_u32 v6, v3, s8
	s_load_b64 s[8:9], s[2:3], 0xe8
	s_add_u32 s2, s2, 24
	s_addc_u32 s3, s3, 0
	s_add_i32 s6, s6, -2
	s_delay_alu instid0(SALU_CYCLE_1) | instskip(NEXT) | instid1(VALU_DEP_2)
	s_cmp_lg_u32 s6, 0
	v_add_nc_u32_e32 v4, v3, v4
	s_delay_alu instid0(VALU_DEP_2) | instskip(NEXT) | instid1(VALU_DEP_2)
	v_sub_nc_u32_e32 v6, v2, v6
	v_lshrrev_b32_e32 v2, s17, v4
	s_delay_alu instid0(VALU_DEP_2) | instskip(NEXT) | instid1(VALU_DEP_2)
	v_mul_lo_u32 v7, v6, s12
	v_mul_lo_u32 v4, v2, s11
	s_delay_alu instid0(VALU_DEP_1) | instskip(SKIP_2) | instid1(VALU_DEP_3)
	v_sub_nc_u32_e32 v3, v3, v4
	v_mul_lo_u32 v4, v6, s13
	v_mul_lo_u32 v6, v6, s14
	;; [unrolled: 1-line block ×3, first 2 shown]
	s_waitcnt lgkmcnt(0)
	v_mul_lo_u32 v9, v3, s8
	v_mul_lo_u32 v3, v3, s9
	s_delay_alu instid0(VALU_DEP_3) | instskip(NEXT) | instid1(VALU_DEP_3)
	v_add3_u32 v56, v7, v56, v8
	v_add3_u32 v60, v4, v60, v9
	s_delay_alu instid0(VALU_DEP_3)
	v_add3_u32 v59, v6, v59, v3
	s_cbranch_scc1 .LBB51_1635
; %bb.1636:
	s_set_inst_prefetch_distance 0x2
	s_bitcmp1_b32 s5, 0
	s_cselect_b32 s5, -1, 0
	s_delay_alu instid0(SALU_CYCLE_1)
	s_and_b32 vcc_lo, exec_lo, s5
	s_cbranch_vccnz .LBB51_1639
; %bb.1637:
	s_clause 0x3
	s_load_b64 s[6:7], s[2:3], 0x18
	s_load_b32 s5, s[2:3], 0x20
	s_load_b64 s[8:9], s[2:3], 0xd8
	s_load_b32 s2, s[2:3], 0xe0
	s_waitcnt lgkmcnt(0)
	v_mul_hi_u32 v3, s7, v2
	s_delay_alu instid0(VALU_DEP_1) | instskip(NEXT) | instid1(VALU_DEP_1)
	v_add_nc_u32_e32 v3, v2, v3
	v_lshrrev_b32_e32 v3, s5, v3
	s_delay_alu instid0(VALU_DEP_1) | instskip(NEXT) | instid1(VALU_DEP_1)
	v_mul_lo_u32 v3, v3, s6
	v_sub_nc_u32_e32 v8, v2, v3
	s_delay_alu instid0(VALU_DEP_1) | instskip(SKIP_2) | instid1(VALU_DEP_3)
	v_mad_u64_u32 v[2:3], null, v8, s8, v[56:57]
	v_mad_u64_u32 v[3:4], null, v8, s9, v[60:61]
	;; [unrolled: 1-line block ×3, first 2 shown]
	v_mov_b32_e32 v56, v2
	s_delay_alu instid0(VALU_DEP_2)
	v_dual_mov_b32 v60, v3 :: v_dual_mov_b32 v59, v6
	s_branch .LBB51_1639
.LBB51_1638:
	s_mov_b32 s4, -1
                                        ; implicit-def: $vgpr56
                                        ; implicit-def: $vgpr60
                                        ; implicit-def: $vgpr59
.LBB51_1639:
	s_delay_alu instid0(SALU_CYCLE_1)
	s_and_not1_b32 vcc_lo, exec_lo, s4
	s_cbranch_vccnz .LBB51_1642
; %bb.1640:
	s_clause 0x1
	s_load_b128 s[4:7], s[48:49], 0x4
	s_load_b128 s[8:11], s[48:49], 0xc4
	s_cmp_lt_u32 s58, 2
	s_waitcnt lgkmcnt(0)
	v_mul_hi_u32 v2, s5, v5
	s_delay_alu instid0(VALU_DEP_1) | instskip(NEXT) | instid1(VALU_DEP_1)
	v_add_nc_u32_e32 v2, v5, v2
	v_lshrrev_b32_e32 v2, s6, v2
	s_delay_alu instid0(VALU_DEP_1) | instskip(NEXT) | instid1(VALU_DEP_1)
	v_mul_lo_u32 v3, v2, s4
	v_sub_nc_u32_e32 v3, v5, v3
	s_delay_alu instid0(VALU_DEP_1)
	v_mul_lo_u32 v56, v3, s8
	v_mul_lo_u32 v60, v3, s9
	;; [unrolled: 1-line block ×3, first 2 shown]
	s_cbranch_scc1 .LBB51_1642
; %bb.1641:
	s_clause 0x1
	s_load_b128 s[4:7], s[48:49], 0x10
	s_load_b128 s[8:11], s[48:49], 0xd0
	s_waitcnt lgkmcnt(0)
	v_mul_hi_u32 v3, s5, v2
	s_delay_alu instid0(VALU_DEP_1) | instskip(NEXT) | instid1(VALU_DEP_1)
	v_add_nc_u32_e32 v3, v2, v3
	v_lshrrev_b32_e32 v3, s6, v3
	s_delay_alu instid0(VALU_DEP_1) | instskip(NEXT) | instid1(VALU_DEP_1)
	v_mul_lo_u32 v3, v3, s4
	v_sub_nc_u32_e32 v6, v2, v3
	s_delay_alu instid0(VALU_DEP_1) | instskip(SKIP_2) | instid1(VALU_DEP_3)
	v_mad_u64_u32 v[2:3], null, v6, s8, v[56:57]
	v_mad_u64_u32 v[3:4], null, v6, s9, v[60:61]
	;; [unrolled: 1-line block ×3, first 2 shown]
	v_mov_b32_e32 v56, v2
	s_delay_alu instid0(VALU_DEP_2)
	v_dual_mov_b32 v60, v3 :: v_dual_mov_b32 v59, v4
.LBB51_1642:
	s_clause 0x1
	s_load_b32 s45, s[0:1], 0x1a8
	s_load_b128 s[36:39], s[48:49], 0x188
	s_mov_b32 s2, 0
	s_waitcnt lgkmcnt(0)
	s_lshr_b32 s0, s45, 16
	s_delay_alu instid0(SALU_CYCLE_1) | instskip(SKIP_1) | instid1(VALU_DEP_1)
	v_and_b32_e64 v47, 0xff, s0
	v_add_co_u32 v1, s0, s38, v1
	v_add_co_ci_u32_e64 v2, null, s39, 0, s0
	s_delay_alu instid0(VALU_DEP_3)
	v_cmp_gt_i16_e32 vcc_lo, 11, v47
	s_cbranch_vccnz .LBB51_1649
; %bb.1643:
	v_cmp_lt_i16_e32 vcc_lo, 25, v47
	s_mov_b32 s1, 0
	s_cbranch_vccz .LBB51_1655
; %bb.1644:
	v_cmp_lt_i16_e32 vcc_lo, 28, v47
	s_cbranch_vccz .LBB51_1657
; %bb.1645:
	v_cmp_lt_i16_e32 vcc_lo, 43, v47
	;; [unrolled: 3-line block ×3, first 2 shown]
	s_cbranch_vccz .LBB51_1663
; %bb.1647:
	v_cmp_eq_u16_e32 vcc_lo, 46, v47
	s_mov_b32 s3, 0
	s_cbranch_vccz .LBB51_1705
; %bb.1648:
	global_load_b32 v3, v[1:2], off
	s_mov_b32 s0, 0
	s_mov_b32 s2, -1
	s_waitcnt vmcnt(0)
	v_lshlrev_b32_e32 v40, 16, v3
	s_branch .LBB51_1707
.LBB51_1649:
	s_mov_b32 s44, s42
                                        ; implicit-def: $vgpr40
	s_cbranch_execz .LBB51_1770
; %bb.1650:
	v_cmp_gt_i16_e32 vcc_lo, 5, v47
	s_cbranch_vccnz .LBB51_1656
; %bb.1651:
	v_cmp_gt_i16_e32 vcc_lo, 8, v47
	s_cbranch_vccnz .LBB51_1658
	;; [unrolled: 3-line block ×3, first 2 shown]
; %bb.1653:
	v_cmp_lt_i16_e32 vcc_lo, 9, v47
	s_cbranch_vccz .LBB51_1664
; %bb.1654:
	global_load_b64 v[3:4], v[1:2], off
	s_mov_b32 s0, 0
	s_waitcnt vmcnt(0)
	v_cvt_f32_f64_e32 v40, v[3:4]
	s_branch .LBB51_1665
.LBB51_1655:
	s_mov_b32 s0, 0
                                        ; implicit-def: $vgpr40
	s_cbranch_execnz .LBB51_1735
	s_branch .LBB51_1766
.LBB51_1656:
                                        ; implicit-def: $vgpr40
	s_branch .LBB51_1682
.LBB51_1657:
	s_mov_b32 s3, -1
	s_mov_b32 s0, 0
                                        ; implicit-def: $vgpr40
	s_branch .LBB51_1716
.LBB51_1658:
                                        ; implicit-def: $vgpr40
	s_branch .LBB51_1671
.LBB51_1659:
	s_mov_b32 s0, 0
                                        ; implicit-def: $vgpr40
	s_cbranch_execnz .LBB51_1712
	s_branch .LBB51_1715
.LBB51_1660:
	s_mov_b32 s0, -1
                                        ; implicit-def: $vgpr40
	s_branch .LBB51_1668
.LBB51_1661:
	s_cbranch_execnz .LBB51_1703
; %bb.1662:
	s_or_b32 s40, s40, exec_lo
	s_and_not1_b32 s2, s2, exec_lo
	s_or_b32 exec_lo, exec_lo, s4
	s_and_saveexec_b32 s4, s2
	s_delay_alu instid0(SALU_CYCLE_1)
	s_xor_b32 s2, exec_lo, s4
	s_cbranch_execnz .LBB51_1561
	s_branch .LBB51_1562
.LBB51_1663:
	s_mov_b32 s3, -1
	s_mov_b32 s0, 0
	s_branch .LBB51_1706
.LBB51_1664:
	s_mov_b32 s0, -1
                                        ; implicit-def: $vgpr40
.LBB51_1665:
	s_delay_alu instid0(SALU_CYCLE_1)
	s_and_not1_b32 vcc_lo, exec_lo, s0
	s_cbranch_vccnz .LBB51_1667
; %bb.1666:
	global_load_b32 v40, v[1:2], off
.LBB51_1667:
	s_mov_b32 s0, 0
.LBB51_1668:
	s_delay_alu instid0(SALU_CYCLE_1)
	s_and_not1_b32 vcc_lo, exec_lo, s0
	s_cbranch_vccnz .LBB51_1670
; %bb.1669:
	global_load_b32 v3, v[1:2], off
	s_waitcnt vmcnt(0)
	v_cvt_f32_f16_e32 v40, v3
.LBB51_1670:
	s_cbranch_execnz .LBB51_1681
.LBB51_1671:
	v_cmp_gt_i16_e32 vcc_lo, 6, v47
	s_cbranch_vccnz .LBB51_1674
; %bb.1672:
	v_cmp_lt_i16_e32 vcc_lo, 6, v47
	s_cbranch_vccz .LBB51_1675
; %bb.1673:
	global_load_b64 v[3:4], v[1:2], off
	s_mov_b32 s0, 0
	s_waitcnt vmcnt(0)
	v_cvt_f32_f64_e32 v40, v[3:4]
	s_branch .LBB51_1676
.LBB51_1674:
	s_mov_b32 s0, -1
                                        ; implicit-def: $vgpr40
	s_branch .LBB51_1679
.LBB51_1675:
	s_mov_b32 s0, -1
                                        ; implicit-def: $vgpr40
.LBB51_1676:
	s_delay_alu instid0(SALU_CYCLE_1)
	s_and_not1_b32 vcc_lo, exec_lo, s0
	s_cbranch_vccnz .LBB51_1678
; %bb.1677:
	global_load_b32 v40, v[1:2], off
.LBB51_1678:
	s_mov_b32 s0, 0
.LBB51_1679:
	s_delay_alu instid0(SALU_CYCLE_1)
	s_and_not1_b32 vcc_lo, exec_lo, s0
	s_cbranch_vccnz .LBB51_1681
; %bb.1680:
	global_load_u16 v3, v[1:2], off
	s_waitcnt vmcnt(0)
	v_cvt_f32_f16_e32 v40, v3
.LBB51_1681:
	s_cbranch_execnz .LBB51_1700
.LBB51_1682:
	v_cmp_gt_i16_e32 vcc_lo, 2, v47
	s_cbranch_vccnz .LBB51_1686
; %bb.1683:
	v_cmp_gt_i16_e32 vcc_lo, 3, v47
	s_cbranch_vccnz .LBB51_1687
; %bb.1684:
	v_cmp_lt_i16_e32 vcc_lo, 3, v47
	s_cbranch_vccz .LBB51_1688
; %bb.1685:
	global_load_b64 v[3:4], v[1:2], off
	s_mov_b32 s0, 0
	s_waitcnt vmcnt(0)
	v_xor_b32_e32 v5, v3, v4
	v_cls_i32_e32 v6, v4
	s_delay_alu instid0(VALU_DEP_2) | instskip(NEXT) | instid1(VALU_DEP_2)
	v_ashrrev_i32_e32 v5, 31, v5
	v_add_nc_u32_e32 v6, -1, v6
	s_delay_alu instid0(VALU_DEP_2) | instskip(NEXT) | instid1(VALU_DEP_1)
	v_add_nc_u32_e32 v5, 32, v5
	v_min_u32_e32 v5, v6, v5
	s_delay_alu instid0(VALU_DEP_1) | instskip(NEXT) | instid1(VALU_DEP_1)
	v_lshlrev_b64 v[3:4], v5, v[3:4]
	v_min_u32_e32 v3, 1, v3
	s_delay_alu instid0(VALU_DEP_1) | instskip(SKIP_1) | instid1(VALU_DEP_2)
	v_or_b32_e32 v3, v4, v3
	v_sub_nc_u32_e32 v4, 32, v5
	v_cvt_f32_i32_e32 v3, v3
	s_delay_alu instid0(VALU_DEP_1)
	v_ldexp_f32 v40, v3, v4
	s_branch .LBB51_1689
.LBB51_1686:
                                        ; implicit-def: $vgpr40
	s_branch .LBB51_1695
.LBB51_1687:
	s_mov_b32 s0, -1
                                        ; implicit-def: $vgpr40
	s_branch .LBB51_1692
.LBB51_1688:
	s_mov_b32 s0, -1
                                        ; implicit-def: $vgpr40
.LBB51_1689:
	s_delay_alu instid0(SALU_CYCLE_1)
	s_and_not1_b32 vcc_lo, exec_lo, s0
	s_cbranch_vccnz .LBB51_1691
; %bb.1690:
	global_load_b32 v3, v[1:2], off
	s_waitcnt vmcnt(0)
	v_cvt_f32_i32_e32 v40, v3
.LBB51_1691:
	s_mov_b32 s0, 0
.LBB51_1692:
	s_delay_alu instid0(SALU_CYCLE_1)
	s_and_not1_b32 vcc_lo, exec_lo, s0
	s_cbranch_vccnz .LBB51_1694
; %bb.1693:
	global_load_i16 v3, v[1:2], off
	s_waitcnt vmcnt(0)
	v_cvt_f32_i32_e32 v40, v3
.LBB51_1694:
	s_cbranch_execnz .LBB51_1700
.LBB51_1695:
	v_cmp_lt_i16_e32 vcc_lo, 0, v47
	s_mov_b32 s0, 0
	s_cbranch_vccz .LBB51_1697
; %bb.1696:
	global_load_i8 v3, v[1:2], off
	s_waitcnt vmcnt(0)
	v_cvt_f32_i32_e32 v40, v3
	s_branch .LBB51_1698
.LBB51_1697:
	s_mov_b32 s0, -1
                                        ; implicit-def: $vgpr40
.LBB51_1698:
	s_delay_alu instid0(SALU_CYCLE_1)
	s_and_not1_b32 vcc_lo, exec_lo, s0
	s_cbranch_vccnz .LBB51_1700
; %bb.1699:
	global_load_u8 v1, v[1:2], off
	s_waitcnt vmcnt(0)
	v_cvt_f32_ubyte0_e32 v40, v1
.LBB51_1700:
	s_branch .LBB51_1771
.LBB51_1701:
	s_trap 2
	s_sendmsg_rtn_b32 s0, sendmsg(MSG_RTN_GET_DOORBELL)
	s_mov_b32 ttmp2, m0
	s_waitcnt lgkmcnt(0)
	s_and_b32 s0, s0, 0x3ff
	s_delay_alu instid0(SALU_CYCLE_1) | instskip(NEXT) | instid1(SALU_CYCLE_1)
	s_bitset1_b32 s0, 10
	s_mov_b32 m0, s0
	s_sendmsg sendmsg(MSG_INTERRUPT)
	s_mov_b32 m0, ttmp2
.LBB51_1702:                            ; =>This Inner Loop Header: Depth=1
	s_sethalt 5
	s_branch .LBB51_1702
.LBB51_1703:
	s_trap 2
	s_sendmsg_rtn_b32 s0, sendmsg(MSG_RTN_GET_DOORBELL)
	s_mov_b32 ttmp2, m0
	s_waitcnt lgkmcnt(0)
	s_and_b32 s0, s0, 0x3ff
	s_delay_alu instid0(SALU_CYCLE_1) | instskip(NEXT) | instid1(SALU_CYCLE_1)
	s_bitset1_b32 s0, 10
	s_mov_b32 m0, s0
	s_sendmsg sendmsg(MSG_INTERRUPT)
	s_mov_b32 m0, ttmp2
.LBB51_1704:                            ; =>This Inner Loop Header: Depth=1
	s_sethalt 5
	s_branch .LBB51_1704
.LBB51_1705:
	s_mov_b32 s0, -1
.LBB51_1706:
                                        ; implicit-def: $vgpr40
.LBB51_1707:
	s_and_b32 vcc_lo, exec_lo, s3
	s_cbranch_vccz .LBB51_1710
; %bb.1708:
	v_cmp_eq_u16_e32 vcc_lo, 44, v47
	s_cbranch_vccz .LBB51_1711
; %bb.1709:
	global_load_u8 v3, v[1:2], off
	s_mov_b32 s0, 0
	s_mov_b32 s2, -1
	s_waitcnt vmcnt(0)
	v_lshlrev_b32_e32 v4, 23, v3
	v_cmp_ne_u32_e32 vcc_lo, 0xff, v3
	s_delay_alu instid0(VALU_DEP_2) | instskip(SKIP_1) | instid1(VALU_DEP_2)
	v_cndmask_b32_e32 v4, 0x7f800001, v4, vcc_lo
	v_cmp_ne_u32_e32 vcc_lo, 0, v3
	v_cndmask_b32_e32 v40, 0x400000, v4, vcc_lo
.LBB51_1710:
	s_branch .LBB51_1715
.LBB51_1711:
	s_mov_b32 s0, -1
                                        ; implicit-def: $vgpr40
	s_branch .LBB51_1715
.LBB51_1712:
	v_cmp_eq_u16_e32 vcc_lo, 29, v47
	s_cbranch_vccz .LBB51_1714
; %bb.1713:
	global_load_b64 v[3:4], v[1:2], off
	s_mov_b32 s0, 0
	s_mov_b32 s2, -1
	s_mov_b32 s3, 0
	s_waitcnt vmcnt(0)
	v_clz_i32_u32_e32 v5, v4
	s_delay_alu instid0(VALU_DEP_1) | instskip(NEXT) | instid1(VALU_DEP_1)
	v_min_u32_e32 v5, 32, v5
	v_lshlrev_b64 v[3:4], v5, v[3:4]
	s_delay_alu instid0(VALU_DEP_1) | instskip(NEXT) | instid1(VALU_DEP_1)
	v_min_u32_e32 v3, 1, v3
	v_or_b32_e32 v3, v4, v3
	v_sub_nc_u32_e32 v4, 32, v5
	s_delay_alu instid0(VALU_DEP_2) | instskip(NEXT) | instid1(VALU_DEP_1)
	v_cvt_f32_u32_e32 v3, v3
	v_ldexp_f32 v40, v3, v4
	s_branch .LBB51_1716
.LBB51_1714:
	s_mov_b32 s0, -1
                                        ; implicit-def: $vgpr40
.LBB51_1715:
	s_mov_b32 s3, 0
.LBB51_1716:
	s_delay_alu instid0(SALU_CYCLE_1)
	s_and_b32 vcc_lo, exec_lo, s3
	s_cbranch_vccz .LBB51_1734
; %bb.1717:
	v_cmp_gt_i16_e32 vcc_lo, 27, v47
	s_cbranch_vccnz .LBB51_1720
; %bb.1718:
	v_cmp_lt_i16_e32 vcc_lo, 27, v47
	s_cbranch_vccz .LBB51_1721
; %bb.1719:
	global_load_b32 v3, v[1:2], off
	s_mov_b32 s2, 0
	s_waitcnt vmcnt(0)
	v_cvt_f32_u32_e32 v40, v3
	s_branch .LBB51_1722
.LBB51_1720:
	s_mov_b32 s2, -1
                                        ; implicit-def: $vgpr40
	s_branch .LBB51_1725
.LBB51_1721:
	s_mov_b32 s2, -1
                                        ; implicit-def: $vgpr40
.LBB51_1722:
	s_delay_alu instid0(SALU_CYCLE_1)
	s_and_not1_b32 vcc_lo, exec_lo, s2
	s_cbranch_vccnz .LBB51_1724
; %bb.1723:
	global_load_u16 v3, v[1:2], off
	s_waitcnt vmcnt(0)
	v_cvt_f32_u32_e32 v40, v3
.LBB51_1724:
	s_mov_b32 s2, 0
.LBB51_1725:
	s_delay_alu instid0(SALU_CYCLE_1)
	s_and_not1_b32 vcc_lo, exec_lo, s2
	s_cbranch_vccnz .LBB51_1733
; %bb.1726:
	global_load_u8 v3, v[1:2], off
	s_mov_b32 s2, 0
	s_mov_b32 s4, exec_lo
                                        ; implicit-def: $sgpr3
	s_waitcnt vmcnt(0)
	v_cmpx_lt_i16_e32 0x7f, v3
	s_xor_b32 s4, exec_lo, s4
	s_cbranch_execz .LBB51_1746
; %bb.1727:
	s_mov_b32 s2, -1
	s_mov_b32 s5, exec_lo
                                        ; implicit-def: $sgpr3
	v_cmpx_eq_u16_e32 0x80, v3
; %bb.1728:
	s_mov_b32 s3, 0x7f800001
	s_xor_b32 s2, exec_lo, -1
; %bb.1729:
	s_or_b32 exec_lo, exec_lo, s5
	s_delay_alu instid0(SALU_CYCLE_1)
	s_and_b32 s2, s2, exec_lo
	s_or_saveexec_b32 s4, s4
	v_mov_b32_e32 v40, s3
	s_xor_b32 exec_lo, exec_lo, s4
	s_cbranch_execnz .LBB51_1747
.LBB51_1730:
	s_or_b32 exec_lo, exec_lo, s4
	s_and_saveexec_b32 s3, s2
	s_cbranch_execz .LBB51_1732
.LBB51_1731:
	v_and_b32_e32 v4, 0xffff, v3
	v_lshlrev_b32_e32 v3, 24, v3
	s_delay_alu instid0(VALU_DEP_2) | instskip(NEXT) | instid1(VALU_DEP_2)
	v_and_b32_e32 v5, 7, v4
	v_and_b32_e32 v3, 0x80000000, v3
	s_delay_alu instid0(VALU_DEP_2) | instskip(NEXT) | instid1(VALU_DEP_1)
	v_clz_i32_u32_e32 v6, v5
	v_min_u32_e32 v6, 32, v6
	s_delay_alu instid0(VALU_DEP_1) | instskip(SKIP_1) | instid1(VALU_DEP_2)
	v_subrev_nc_u32_e32 v7, 28, v6
	v_sub_nc_u32_e32 v6, 29, v6
	v_lshlrev_b32_e32 v7, v7, v4
	v_bfe_u32 v4, v4, 3, 4
	s_delay_alu instid0(VALU_DEP_2) | instskip(NEXT) | instid1(VALU_DEP_2)
	v_and_b32_e32 v7, 7, v7
	v_cmp_eq_u32_e32 vcc_lo, 0, v4
	s_delay_alu instid0(VALU_DEP_2) | instskip(NEXT) | instid1(VALU_DEP_1)
	v_dual_cndmask_b32 v4, v4, v6 :: v_dual_cndmask_b32 v5, v5, v7
	v_lshl_add_u32 v4, v4, 23, 0x3b800000
	s_delay_alu instid0(VALU_DEP_2) | instskip(NEXT) | instid1(VALU_DEP_1)
	v_lshlrev_b32_e32 v5, 20, v5
	v_or3_b32 v40, v3, v4, v5
.LBB51_1732:
	s_or_b32 exec_lo, exec_lo, s3
.LBB51_1733:
	s_mov_b32 s2, -1
.LBB51_1734:
	s_branch .LBB51_1766
.LBB51_1735:
	v_cmp_lt_i16_e32 vcc_lo, 22, v47
	s_cbranch_vccz .LBB51_1745
; %bb.1736:
	v_cmp_gt_i16_e32 vcc_lo, 24, v47
	s_cbranch_vccnz .LBB51_1748
; %bb.1737:
	v_cmp_lt_i16_e32 vcc_lo, 24, v47
	s_cbranch_vccz .LBB51_1749
; %bb.1738:
	global_load_u8 v3, v[1:2], off
	s_mov_b32 s3, exec_lo
                                        ; implicit-def: $sgpr2
	s_waitcnt vmcnt(0)
	v_cmpx_lt_i16_e32 0x7f, v3
	s_xor_b32 s3, exec_lo, s3
	s_cbranch_execz .LBB51_1760
; %bb.1739:
	s_mov_b32 s1, -1
	s_mov_b32 s4, exec_lo
                                        ; implicit-def: $sgpr2
	v_cmpx_eq_u16_e32 0x80, v3
; %bb.1740:
	s_mov_b32 s2, 0x7f800001
	s_xor_b32 s1, exec_lo, -1
; %bb.1741:
	s_or_b32 exec_lo, exec_lo, s4
	s_delay_alu instid0(SALU_CYCLE_1)
	s_and_b32 s1, s1, exec_lo
	s_or_saveexec_b32 s3, s3
	v_mov_b32_e32 v40, s2
	s_xor_b32 exec_lo, exec_lo, s3
	s_cbranch_execnz .LBB51_1761
.LBB51_1742:
	s_or_b32 exec_lo, exec_lo, s3
	s_and_saveexec_b32 s2, s1
	s_cbranch_execz .LBB51_1744
.LBB51_1743:
	v_and_b32_e32 v4, 0xffff, v3
	v_lshlrev_b32_e32 v3, 24, v3
	s_delay_alu instid0(VALU_DEP_2) | instskip(NEXT) | instid1(VALU_DEP_2)
	v_and_b32_e32 v5, 3, v4
	v_and_b32_e32 v3, 0x80000000, v3
	s_delay_alu instid0(VALU_DEP_2) | instskip(NEXT) | instid1(VALU_DEP_1)
	v_clz_i32_u32_e32 v6, v5
	v_min_u32_e32 v6, 32, v6
	s_delay_alu instid0(VALU_DEP_1) | instskip(SKIP_1) | instid1(VALU_DEP_2)
	v_subrev_nc_u32_e32 v7, 29, v6
	v_sub_nc_u32_e32 v6, 30, v6
	v_lshlrev_b32_e32 v7, v7, v4
	v_bfe_u32 v4, v4, 2, 5
	s_delay_alu instid0(VALU_DEP_2) | instskip(NEXT) | instid1(VALU_DEP_2)
	v_and_b32_e32 v7, 3, v7
	v_cmp_eq_u32_e32 vcc_lo, 0, v4
	s_delay_alu instid0(VALU_DEP_2) | instskip(NEXT) | instid1(VALU_DEP_1)
	v_dual_cndmask_b32 v4, v4, v6 :: v_dual_cndmask_b32 v5, v5, v7
	v_lshl_add_u32 v4, v4, 23, 0x37800000
	s_delay_alu instid0(VALU_DEP_2) | instskip(NEXT) | instid1(VALU_DEP_1)
	v_lshlrev_b32_e32 v5, 21, v5
	v_or3_b32 v40, v3, v4, v5
.LBB51_1744:
	s_or_b32 exec_lo, exec_lo, s2
	s_mov_b32 s1, 0
	s_branch .LBB51_1750
.LBB51_1745:
                                        ; implicit-def: $vgpr40
	s_mov_b32 s1, 0
	s_branch .LBB51_1756
.LBB51_1746:
	s_or_saveexec_b32 s4, s4
	v_mov_b32_e32 v40, s3
	s_xor_b32 exec_lo, exec_lo, s4
	s_cbranch_execz .LBB51_1730
.LBB51_1747:
	v_cmp_ne_u16_e32 vcc_lo, 0, v3
	v_mov_b32_e32 v40, 0
	s_and_not1_b32 s2, s2, exec_lo
	s_and_b32 s3, vcc_lo, exec_lo
	s_delay_alu instid0(SALU_CYCLE_1)
	s_or_b32 s2, s2, s3
	s_or_b32 exec_lo, exec_lo, s4
	s_and_saveexec_b32 s3, s2
	s_cbranch_execnz .LBB51_1731
	s_branch .LBB51_1732
.LBB51_1748:
	s_mov_b32 s1, -1
                                        ; implicit-def: $vgpr40
	s_branch .LBB51_1753
.LBB51_1749:
	s_mov_b32 s1, -1
                                        ; implicit-def: $vgpr40
.LBB51_1750:
	s_delay_alu instid0(SALU_CYCLE_1)
	s_and_b32 vcc_lo, exec_lo, s1
	s_cbranch_vccz .LBB51_1752
; %bb.1751:
	global_load_u8 v3, v[1:2], off
	s_waitcnt vmcnt(0)
	v_lshlrev_b32_e32 v3, 24, v3
	s_delay_alu instid0(VALU_DEP_1) | instskip(NEXT) | instid1(VALU_DEP_1)
	v_and_b32_e32 v4, 0x7f000000, v3
	v_clz_i32_u32_e32 v5, v4
	v_add_nc_u32_e32 v7, 0x1000000, v4
	v_cmp_ne_u32_e32 vcc_lo, 0, v4
	s_delay_alu instid0(VALU_DEP_3) | instskip(NEXT) | instid1(VALU_DEP_1)
	v_min_u32_e32 v5, 32, v5
	v_sub_nc_u32_e64 v5, v5, 4 clamp
	s_delay_alu instid0(VALU_DEP_1) | instskip(SKIP_1) | instid1(VALU_DEP_2)
	v_lshlrev_b32_e32 v6, v5, v4
	v_lshlrev_b32_e32 v5, 23, v5
	v_lshrrev_b32_e32 v6, 4, v6
	s_delay_alu instid0(VALU_DEP_1) | instskip(SKIP_1) | instid1(VALU_DEP_2)
	v_sub_nc_u32_e32 v5, v6, v5
	v_ashrrev_i32_e32 v6, 8, v7
	v_add_nc_u32_e32 v5, 0x3c000000, v5
	s_delay_alu instid0(VALU_DEP_1) | instskip(NEXT) | instid1(VALU_DEP_1)
	v_and_or_b32 v5, 0x7f800000, v6, v5
	v_cndmask_b32_e32 v4, 0, v5, vcc_lo
	s_delay_alu instid0(VALU_DEP_1)
	v_and_or_b32 v40, 0x80000000, v3, v4
.LBB51_1752:
	s_mov_b32 s1, 0
.LBB51_1753:
	s_delay_alu instid0(SALU_CYCLE_1)
	s_and_not1_b32 vcc_lo, exec_lo, s1
	s_cbranch_vccnz .LBB51_1755
; %bb.1754:
	global_load_u8 v3, v[1:2], off
	s_waitcnt vmcnt(0)
	v_lshlrev_b32_e32 v4, 25, v3
	v_lshlrev_b16 v3, 8, v3
	s_delay_alu instid0(VALU_DEP_2) | instskip(NEXT) | instid1(VALU_DEP_2)
	v_lshrrev_b32_e32 v5, 4, v4
	v_and_or_b32 v6, 0x7f00, v3, 0.5
	v_bfe_i32 v3, v3, 0, 16
	s_delay_alu instid0(VALU_DEP_3) | instskip(NEXT) | instid1(VALU_DEP_1)
	v_or_b32_e32 v5, 0x70000000, v5
	v_dual_add_f32 v6, -0.5, v6 :: v_dual_mul_f32 v5, 0x7800000, v5
	v_cmp_gt_u32_e32 vcc_lo, 0x8000000, v4
	s_delay_alu instid0(VALU_DEP_2) | instskip(NEXT) | instid1(VALU_DEP_1)
	v_cndmask_b32_e32 v4, v5, v6, vcc_lo
	v_and_or_b32 v40, 0x80000000, v3, v4
.LBB51_1755:
	s_mov_b32 s2, -1
	s_mov_b32 s1, 0
	s_cbranch_execnz .LBB51_1766
.LBB51_1756:
	v_cmp_lt_i16_e32 vcc_lo, 14, v47
	s_cbranch_vccz .LBB51_1759
; %bb.1757:
	v_cmp_eq_u16_e32 vcc_lo, 15, v47
	s_cbranch_vccz .LBB51_1762
; %bb.1758:
	global_load_u16 v3, v[1:2], off
	s_mov_b32 s0, 0
	s_mov_b32 s2, -1
	s_waitcnt vmcnt(0)
	v_lshlrev_b32_e32 v40, 16, v3
	s_branch .LBB51_1764
.LBB51_1759:
	s_mov_b32 s1, -1
	s_branch .LBB51_1763
.LBB51_1760:
	s_or_saveexec_b32 s3, s3
	v_mov_b32_e32 v40, s2
	s_xor_b32 exec_lo, exec_lo, s3
	s_cbranch_execz .LBB51_1742
.LBB51_1761:
	v_cmp_ne_u16_e32 vcc_lo, 0, v3
	v_mov_b32_e32 v40, 0
	s_and_not1_b32 s1, s1, exec_lo
	s_and_b32 s2, vcc_lo, exec_lo
	s_delay_alu instid0(SALU_CYCLE_1)
	s_or_b32 s1, s1, s2
	s_or_b32 exec_lo, exec_lo, s3
	s_and_saveexec_b32 s2, s1
	s_cbranch_execnz .LBB51_1743
	s_branch .LBB51_1744
.LBB51_1762:
	s_mov_b32 s0, -1
.LBB51_1763:
                                        ; implicit-def: $vgpr40
.LBB51_1764:
	s_and_b32 vcc_lo, exec_lo, s1
	s_mov_b32 s1, 0
	s_cbranch_vccz .LBB51_1766
; %bb.1765:
	v_cmp_ne_u16_e64 s0, 11, v47
	s_mov_b32 s1, -1
                                        ; implicit-def: $vgpr40
.LBB51_1766:
	s_delay_alu instid0(VALU_DEP_1)
	s_and_b32 vcc_lo, exec_lo, s0
	s_mov_b32 s44, s42
	s_cbranch_vccnz .LBB51_1790
; %bb.1767:
	s_and_not1_b32 vcc_lo, exec_lo, s1
	s_cbranch_vccnz .LBB51_1769
.LBB51_1768:
	global_load_u8 v3, v[1:2], off
	s_mov_b32 s2, -1
	s_waitcnt vmcnt(0)
	v_cmp_ne_u16_e32 vcc_lo, 0, v3
	v_cndmask_b32_e64 v40, 0, 1.0, vcc_lo
.LBB51_1769:
.LBB51_1770:
	s_and_not1_b32 vcc_lo, exec_lo, s2
	s_cbranch_vccnz .LBB51_2727
.LBB51_1771:
	s_load_b64 s[40:41], s[48:49], 0x198
	s_lshr_b32 s46, s45, 24
	s_mov_b32 s2, 0
	v_cmp_lt_i16_e64 s0, s46, 11
	s_delay_alu instid0(VALU_DEP_1) | instskip(SKIP_2) | instid1(VALU_DEP_1)
	s_and_b32 vcc_lo, exec_lo, s0
	s_waitcnt lgkmcnt(0)
	v_add_co_u32 v0, s1, s40, v0
	v_add_co_ci_u32_e64 v1, null, s41, 0, s1
	s_cbranch_vccnz .LBB51_1778
; %bb.1772:
	v_cmp_gt_i16_e64 s0, s46, 25
	s_mov_b32 s1, 0
	s_delay_alu instid0(VALU_DEP_1)
	s_and_b32 vcc_lo, exec_lo, s0
	s_cbranch_vccz .LBB51_1784
; %bb.1773:
	v_cmp_gt_i16_e64 s0, s46, 28
	s_delay_alu instid0(VALU_DEP_1)
	s_and_b32 vcc_lo, exec_lo, s0
	s_cbranch_vccz .LBB51_1786
; %bb.1774:
	v_cmp_gt_i16_e64 s0, s46, 43
	;; [unrolled: 5-line block ×3, first 2 shown]
	s_delay_alu instid0(VALU_DEP_1)
	s_and_b32 vcc_lo, exec_lo, s0
	s_cbranch_vccz .LBB51_1792
; %bb.1776:
	v_cmp_eq_u16_e64 s0, s46, 46
	s_mov_b32 s3, 0
	s_delay_alu instid0(VALU_DEP_1)
	s_and_b32 vcc_lo, exec_lo, s0
	s_cbranch_vccz .LBB51_1836
; %bb.1777:
	global_load_b32 v2, v[0:1], off
	s_mov_b32 s0, 0
	s_mov_b32 s2, -1
	s_waitcnt vmcnt(0)
	v_lshlrev_b32_e32 v43, 16, v2
	s_branch .LBB51_1838
.LBB51_1778:
                                        ; implicit-def: $vgpr43
	s_cbranch_execz .LBB51_1903
; %bb.1779:
	v_cmp_lt_i16_e64 s0, s46, 5
	s_delay_alu instid0(VALU_DEP_1)
	s_and_b32 vcc_lo, exec_lo, s0
	s_cbranch_vccnz .LBB51_1785
; %bb.1780:
	v_cmp_lt_i16_e64 s0, s46, 8
	s_delay_alu instid0(VALU_DEP_1)
	s_and_b32 vcc_lo, exec_lo, s0
	s_cbranch_vccnz .LBB51_1787
	;; [unrolled: 5-line block ×3, first 2 shown]
; %bb.1782:
	v_cmp_gt_i16_e64 s0, s46, 9
	s_delay_alu instid0(VALU_DEP_1)
	s_and_b32 vcc_lo, exec_lo, s0
	s_cbranch_vccz .LBB51_1795
; %bb.1783:
	global_load_b64 v[2:3], v[0:1], off
	s_mov_b32 s0, 0
	s_waitcnt vmcnt(0)
	v_cvt_f32_f64_e32 v43, v[2:3]
	s_branch .LBB51_1796
.LBB51_1784:
	s_mov_b32 s0, 0
                                        ; implicit-def: $vgpr43
	s_cbranch_execnz .LBB51_1867
	s_branch .LBB51_1899
.LBB51_1785:
                                        ; implicit-def: $vgpr43
	s_branch .LBB51_1814
.LBB51_1786:
	s_mov_b32 s3, -1
	s_mov_b32 s0, 0
                                        ; implicit-def: $vgpr43
	s_branch .LBB51_1848
.LBB51_1787:
	s_mov_b32 s0, -1
                                        ; implicit-def: $vgpr43
	s_branch .LBB51_1802
.LBB51_1788:
	s_mov_b32 s3, -1
	s_mov_b32 s0, 0
                                        ; implicit-def: $vgpr43
	s_branch .LBB51_1843
.LBB51_1789:
	s_mov_b32 s0, -1
                                        ; implicit-def: $vgpr43
	s_branch .LBB51_1799
.LBB51_1790:
	s_cbranch_execnz .LBB51_1834
; %bb.1791:
	s_or_b32 s44, s42, exec_lo
                                        ; implicit-def: $vgpr40
	s_cbranch_execz .LBB51_1768
	s_branch .LBB51_1769
.LBB51_1792:
	s_mov_b32 s3, -1
	s_mov_b32 s0, 0
	s_branch .LBB51_1837
.LBB51_1793:
	s_or_saveexec_b32 s5, s5
                                        ; implicit-def: $sgpr6
	s_delay_alu instid0(SALU_CYCLE_1)
	s_xor_b32 exec_lo, exec_lo, s5
	s_cbranch_execz .LBB51_1512
.LBB51_1794:
	v_add_f32_e64 v1, 0x46000000, |v0|
	s_and_not1_b32 s4, s4, exec_lo
	s_mov_b32 s6, 0
	s_delay_alu instid0(VALU_DEP_1) | instskip(NEXT) | instid1(VALU_DEP_1)
	v_and_b32_e32 v1, 0xff, v1
	v_cmp_ne_u32_e32 vcc_lo, 0, v1
	s_and_b32 s7, vcc_lo, exec_lo
	s_delay_alu instid0(SALU_CYCLE_1)
	s_or_b32 s4, s4, s7
	s_or_b32 exec_lo, exec_lo, s5
	v_mov_b32_e32 v5, s6
	s_and_saveexec_b32 s5, s4
	s_cbranch_execnz .LBB51_1513
	s_branch .LBB51_1514
.LBB51_1795:
	s_mov_b32 s0, -1
                                        ; implicit-def: $vgpr43
.LBB51_1796:
	s_delay_alu instid0(SALU_CYCLE_1)
	s_and_not1_b32 vcc_lo, exec_lo, s0
	s_cbranch_vccnz .LBB51_1798
; %bb.1797:
	global_load_b32 v43, v[0:1], off
.LBB51_1798:
	s_mov_b32 s0, 0
.LBB51_1799:
	s_delay_alu instid0(SALU_CYCLE_1)
	s_and_not1_b32 vcc_lo, exec_lo, s0
	s_cbranch_vccnz .LBB51_1801
; %bb.1800:
	global_load_b32 v2, v[0:1], off
	s_waitcnt vmcnt(0)
	v_cvt_f32_f16_e32 v43, v2
.LBB51_1801:
	s_mov_b32 s0, 0
.LBB51_1802:
	s_delay_alu instid0(SALU_CYCLE_1)
	s_and_not1_b32 vcc_lo, exec_lo, s0
	s_cbranch_vccnz .LBB51_1813
; %bb.1803:
	v_cmp_lt_i16_e64 s0, s46, 6
	s_delay_alu instid0(VALU_DEP_1)
	s_and_b32 vcc_lo, exec_lo, s0
	s_cbranch_vccnz .LBB51_1806
; %bb.1804:
	v_cmp_gt_i16_e64 s0, s46, 6
	s_delay_alu instid0(VALU_DEP_1)
	s_and_b32 vcc_lo, exec_lo, s0
	s_cbranch_vccz .LBB51_1807
; %bb.1805:
	global_load_b64 v[2:3], v[0:1], off
	s_mov_b32 s0, 0
	s_waitcnt vmcnt(0)
	v_cvt_f32_f64_e32 v43, v[2:3]
	s_branch .LBB51_1808
.LBB51_1806:
	s_mov_b32 s0, -1
                                        ; implicit-def: $vgpr43
	s_branch .LBB51_1811
.LBB51_1807:
	s_mov_b32 s0, -1
                                        ; implicit-def: $vgpr43
.LBB51_1808:
	s_delay_alu instid0(SALU_CYCLE_1)
	s_and_not1_b32 vcc_lo, exec_lo, s0
	s_cbranch_vccnz .LBB51_1810
; %bb.1809:
	global_load_b32 v43, v[0:1], off
.LBB51_1810:
	s_mov_b32 s0, 0
.LBB51_1811:
	s_delay_alu instid0(SALU_CYCLE_1)
	s_and_not1_b32 vcc_lo, exec_lo, s0
	s_cbranch_vccnz .LBB51_1813
; %bb.1812:
	global_load_u16 v2, v[0:1], off
	s_waitcnt vmcnt(0)
	v_cvt_f32_f16_e32 v43, v2
.LBB51_1813:
	s_cbranch_execnz .LBB51_1833
.LBB51_1814:
	v_cmp_lt_i16_e64 s0, s46, 2
	s_delay_alu instid0(VALU_DEP_1)
	s_and_b32 vcc_lo, exec_lo, s0
	s_cbranch_vccnz .LBB51_1818
; %bb.1815:
	v_cmp_lt_i16_e64 s0, s46, 3
	s_delay_alu instid0(VALU_DEP_1)
	s_and_b32 vcc_lo, exec_lo, s0
	s_cbranch_vccnz .LBB51_1819
; %bb.1816:
	v_cmp_gt_i16_e64 s0, s46, 3
	s_delay_alu instid0(VALU_DEP_1)
	s_and_b32 vcc_lo, exec_lo, s0
	s_cbranch_vccz .LBB51_1820
; %bb.1817:
	global_load_b64 v[2:3], v[0:1], off
	s_mov_b32 s0, 0
	s_waitcnt vmcnt(0)
	v_xor_b32_e32 v4, v2, v3
	v_cls_i32_e32 v5, v3
	s_delay_alu instid0(VALU_DEP_2) | instskip(NEXT) | instid1(VALU_DEP_2)
	v_ashrrev_i32_e32 v4, 31, v4
	v_add_nc_u32_e32 v5, -1, v5
	s_delay_alu instid0(VALU_DEP_2) | instskip(NEXT) | instid1(VALU_DEP_1)
	v_add_nc_u32_e32 v4, 32, v4
	v_min_u32_e32 v4, v5, v4
	s_delay_alu instid0(VALU_DEP_1) | instskip(NEXT) | instid1(VALU_DEP_1)
	v_lshlrev_b64 v[2:3], v4, v[2:3]
	v_min_u32_e32 v2, 1, v2
	s_delay_alu instid0(VALU_DEP_1) | instskip(SKIP_1) | instid1(VALU_DEP_2)
	v_or_b32_e32 v2, v3, v2
	v_sub_nc_u32_e32 v3, 32, v4
	v_cvt_f32_i32_e32 v2, v2
	s_delay_alu instid0(VALU_DEP_1)
	v_ldexp_f32 v43, v2, v3
	s_branch .LBB51_1821
.LBB51_1818:
	s_mov_b32 s0, -1
                                        ; implicit-def: $vgpr43
	s_branch .LBB51_1827
.LBB51_1819:
	s_mov_b32 s0, -1
                                        ; implicit-def: $vgpr43
	s_branch .LBB51_1824
.LBB51_1820:
	s_mov_b32 s0, -1
                                        ; implicit-def: $vgpr43
.LBB51_1821:
	s_delay_alu instid0(SALU_CYCLE_1)
	s_and_not1_b32 vcc_lo, exec_lo, s0
	s_cbranch_vccnz .LBB51_1823
; %bb.1822:
	global_load_b32 v2, v[0:1], off
	s_waitcnt vmcnt(0)
	v_cvt_f32_i32_e32 v43, v2
.LBB51_1823:
	s_mov_b32 s0, 0
.LBB51_1824:
	s_delay_alu instid0(SALU_CYCLE_1)
	s_and_not1_b32 vcc_lo, exec_lo, s0
	s_cbranch_vccnz .LBB51_1826
; %bb.1825:
	global_load_i16 v2, v[0:1], off
	s_waitcnt vmcnt(0)
	v_cvt_f32_i32_e32 v43, v2
.LBB51_1826:
	s_mov_b32 s0, 0
.LBB51_1827:
	s_delay_alu instid0(SALU_CYCLE_1)
	s_and_not1_b32 vcc_lo, exec_lo, s0
	s_cbranch_vccnz .LBB51_1833
; %bb.1828:
	v_cmp_gt_i16_e64 s0, s46, 0
	s_delay_alu instid0(VALU_DEP_1)
	s_and_b32 vcc_lo, exec_lo, s0
	s_mov_b32 s0, 0
	s_cbranch_vccz .LBB51_1830
; %bb.1829:
	global_load_i8 v2, v[0:1], off
	s_waitcnt vmcnt(0)
	v_cvt_f32_i32_e32 v43, v2
	s_branch .LBB51_1831
.LBB51_1830:
	s_mov_b32 s0, -1
                                        ; implicit-def: $vgpr43
.LBB51_1831:
	s_delay_alu instid0(SALU_CYCLE_1)
	s_and_not1_b32 vcc_lo, exec_lo, s0
	s_cbranch_vccnz .LBB51_1833
; %bb.1832:
	global_load_u8 v0, v[0:1], off
	s_waitcnt vmcnt(0)
	v_cvt_f32_ubyte0_e32 v43, v0
.LBB51_1833:
	s_branch .LBB51_1904
.LBB51_1834:
	s_trap 2
	s_sendmsg_rtn_b32 s0, sendmsg(MSG_RTN_GET_DOORBELL)
	s_mov_b32 ttmp2, m0
	s_waitcnt lgkmcnt(0)
	s_and_b32 s0, s0, 0x3ff
	s_delay_alu instid0(SALU_CYCLE_1) | instskip(NEXT) | instid1(SALU_CYCLE_1)
	s_bitset1_b32 s0, 10
	s_mov_b32 m0, s0
	s_sendmsg sendmsg(MSG_INTERRUPT)
	s_mov_b32 m0, ttmp2
.LBB51_1835:                            ; =>This Inner Loop Header: Depth=1
	s_sethalt 5
	s_branch .LBB51_1835
.LBB51_1836:
	s_mov_b32 s0, -1
.LBB51_1837:
                                        ; implicit-def: $vgpr43
.LBB51_1838:
	s_and_b32 vcc_lo, exec_lo, s3
	s_cbranch_vccz .LBB51_1842
; %bb.1839:
	v_cmp_eq_u16_e64 s0, s46, 44
	s_delay_alu instid0(VALU_DEP_1)
	s_and_b32 vcc_lo, exec_lo, s0
	s_cbranch_vccz .LBB51_1841
; %bb.1840:
	global_load_u8 v2, v[0:1], off
	s_mov_b32 s0, 0
	s_mov_b32 s2, -1
	s_waitcnt vmcnt(0)
	v_lshlrev_b32_e32 v3, 23, v2
	v_cmp_ne_u32_e32 vcc_lo, 0xff, v2
	s_delay_alu instid0(VALU_DEP_2) | instskip(SKIP_1) | instid1(VALU_DEP_2)
	v_cndmask_b32_e32 v3, 0x7f800001, v3, vcc_lo
	v_cmp_ne_u32_e32 vcc_lo, 0, v2
	v_cndmask_b32_e32 v43, 0x400000, v3, vcc_lo
	s_branch .LBB51_1842
.LBB51_1841:
	s_mov_b32 s0, -1
                                        ; implicit-def: $vgpr43
.LBB51_1842:
	s_mov_b32 s3, 0
.LBB51_1843:
	s_delay_alu instid0(SALU_CYCLE_1)
	s_and_b32 vcc_lo, exec_lo, s3
	s_cbranch_vccz .LBB51_1847
; %bb.1844:
	v_cmp_eq_u16_e64 s0, s46, 29
	s_delay_alu instid0(VALU_DEP_1)
	s_and_b32 vcc_lo, exec_lo, s0
	s_cbranch_vccz .LBB51_1846
; %bb.1845:
	global_load_b64 v[2:3], v[0:1], off
	s_mov_b32 s0, 0
	s_mov_b32 s2, -1
	s_mov_b32 s3, 0
	s_waitcnt vmcnt(0)
	v_clz_i32_u32_e32 v4, v3
	s_delay_alu instid0(VALU_DEP_1) | instskip(NEXT) | instid1(VALU_DEP_1)
	v_min_u32_e32 v4, 32, v4
	v_lshlrev_b64 v[2:3], v4, v[2:3]
	s_delay_alu instid0(VALU_DEP_1) | instskip(NEXT) | instid1(VALU_DEP_1)
	v_min_u32_e32 v2, 1, v2
	v_or_b32_e32 v2, v3, v2
	v_sub_nc_u32_e32 v3, 32, v4
	s_delay_alu instid0(VALU_DEP_2) | instskip(NEXT) | instid1(VALU_DEP_1)
	v_cvt_f32_u32_e32 v2, v2
	v_ldexp_f32 v43, v2, v3
	s_branch .LBB51_1848
.LBB51_1846:
	s_mov_b32 s0, -1
                                        ; implicit-def: $vgpr43
.LBB51_1847:
	s_mov_b32 s3, 0
.LBB51_1848:
	s_delay_alu instid0(SALU_CYCLE_1)
	s_and_b32 vcc_lo, exec_lo, s3
	s_cbranch_vccz .LBB51_1866
; %bb.1849:
	v_cmp_lt_i16_e64 s2, s46, 27
	s_delay_alu instid0(VALU_DEP_1)
	s_and_b32 vcc_lo, exec_lo, s2
	s_cbranch_vccnz .LBB51_1852
; %bb.1850:
	v_cmp_gt_i16_e64 s2, s46, 27
	s_delay_alu instid0(VALU_DEP_1)
	s_and_b32 vcc_lo, exec_lo, s2
	s_cbranch_vccz .LBB51_1853
; %bb.1851:
	global_load_b32 v2, v[0:1], off
	s_mov_b32 s2, 0
	s_waitcnt vmcnt(0)
	v_cvt_f32_u32_e32 v43, v2
	s_branch .LBB51_1854
.LBB51_1852:
	s_mov_b32 s2, -1
                                        ; implicit-def: $vgpr43
	s_branch .LBB51_1857
.LBB51_1853:
	s_mov_b32 s2, -1
                                        ; implicit-def: $vgpr43
.LBB51_1854:
	s_delay_alu instid0(SALU_CYCLE_1)
	s_and_not1_b32 vcc_lo, exec_lo, s2
	s_cbranch_vccnz .LBB51_1856
; %bb.1855:
	global_load_u16 v2, v[0:1], off
	s_waitcnt vmcnt(0)
	v_cvt_f32_u32_e32 v43, v2
.LBB51_1856:
	s_mov_b32 s2, 0
.LBB51_1857:
	s_delay_alu instid0(SALU_CYCLE_1)
	s_and_not1_b32 vcc_lo, exec_lo, s2
	s_cbranch_vccnz .LBB51_1865
; %bb.1858:
	global_load_u8 v2, v[0:1], off
	s_mov_b32 s2, 0
	s_mov_b32 s4, exec_lo
                                        ; implicit-def: $sgpr3
	s_waitcnt vmcnt(0)
	v_cmpx_lt_i16_e32 0x7f, v2
	s_xor_b32 s4, exec_lo, s4
	s_cbranch_execz .LBB51_1878
; %bb.1859:
	s_mov_b32 s2, -1
	s_mov_b32 s5, exec_lo
                                        ; implicit-def: $sgpr3
	v_cmpx_eq_u16_e32 0x80, v2
; %bb.1860:
	s_mov_b32 s3, 0x7f800001
	s_xor_b32 s2, exec_lo, -1
; %bb.1861:
	s_or_b32 exec_lo, exec_lo, s5
	s_delay_alu instid0(SALU_CYCLE_1)
	s_and_b32 s2, s2, exec_lo
	s_or_saveexec_b32 s4, s4
	v_mov_b32_e32 v43, s3
	s_xor_b32 exec_lo, exec_lo, s4
	s_cbranch_execnz .LBB51_1879
.LBB51_1862:
	s_or_b32 exec_lo, exec_lo, s4
	s_and_saveexec_b32 s3, s2
	s_cbranch_execz .LBB51_1864
.LBB51_1863:
	v_and_b32_e32 v3, 0xffff, v2
	v_lshlrev_b32_e32 v2, 24, v2
	s_delay_alu instid0(VALU_DEP_2) | instskip(NEXT) | instid1(VALU_DEP_2)
	v_and_b32_e32 v4, 7, v3
	v_and_b32_e32 v2, 0x80000000, v2
	s_delay_alu instid0(VALU_DEP_2) | instskip(NEXT) | instid1(VALU_DEP_1)
	v_clz_i32_u32_e32 v5, v4
	v_min_u32_e32 v5, 32, v5
	s_delay_alu instid0(VALU_DEP_1) | instskip(SKIP_1) | instid1(VALU_DEP_2)
	v_subrev_nc_u32_e32 v6, 28, v5
	v_sub_nc_u32_e32 v5, 29, v5
	v_lshlrev_b32_e32 v6, v6, v3
	v_bfe_u32 v3, v3, 3, 4
	s_delay_alu instid0(VALU_DEP_2) | instskip(NEXT) | instid1(VALU_DEP_2)
	v_and_b32_e32 v6, 7, v6
	v_cmp_eq_u32_e32 vcc_lo, 0, v3
	s_delay_alu instid0(VALU_DEP_2) | instskip(NEXT) | instid1(VALU_DEP_1)
	v_dual_cndmask_b32 v3, v3, v5 :: v_dual_cndmask_b32 v4, v4, v6
	v_lshl_add_u32 v3, v3, 23, 0x3b800000
	s_delay_alu instid0(VALU_DEP_2) | instskip(NEXT) | instid1(VALU_DEP_1)
	v_lshlrev_b32_e32 v4, 20, v4
	v_or3_b32 v43, v2, v3, v4
.LBB51_1864:
	s_or_b32 exec_lo, exec_lo, s3
.LBB51_1865:
	s_mov_b32 s2, -1
.LBB51_1866:
	s_branch .LBB51_1899
.LBB51_1867:
	v_cmp_gt_i16_e64 s1, s46, 22
	s_delay_alu instid0(VALU_DEP_1)
	s_and_b32 vcc_lo, exec_lo, s1
	s_cbranch_vccz .LBB51_1877
; %bb.1868:
	v_cmp_lt_i16_e64 s1, s46, 24
	s_delay_alu instid0(VALU_DEP_1)
	s_and_b32 vcc_lo, exec_lo, s1
	s_cbranch_vccnz .LBB51_1880
; %bb.1869:
	v_cmp_gt_i16_e64 s1, s46, 24
	s_delay_alu instid0(VALU_DEP_1)
	s_and_b32 vcc_lo, exec_lo, s1
	s_cbranch_vccz .LBB51_1881
; %bb.1870:
	global_load_u8 v2, v[0:1], off
	s_mov_b32 s1, 0
	s_mov_b32 s3, exec_lo
                                        ; implicit-def: $sgpr2
	s_waitcnt vmcnt(0)
	v_cmpx_lt_i16_e32 0x7f, v2
	s_xor_b32 s3, exec_lo, s3
	s_cbranch_execz .LBB51_1893
; %bb.1871:
	s_mov_b32 s1, -1
	s_mov_b32 s4, exec_lo
                                        ; implicit-def: $sgpr2
	v_cmpx_eq_u16_e32 0x80, v2
; %bb.1872:
	s_mov_b32 s2, 0x7f800001
	s_xor_b32 s1, exec_lo, -1
; %bb.1873:
	s_or_b32 exec_lo, exec_lo, s4
	s_delay_alu instid0(SALU_CYCLE_1)
	s_and_b32 s1, s1, exec_lo
	s_or_saveexec_b32 s3, s3
	v_mov_b32_e32 v43, s2
	s_xor_b32 exec_lo, exec_lo, s3
	s_cbranch_execnz .LBB51_1894
.LBB51_1874:
	s_or_b32 exec_lo, exec_lo, s3
	s_and_saveexec_b32 s2, s1
	s_cbranch_execz .LBB51_1876
.LBB51_1875:
	v_and_b32_e32 v3, 0xffff, v2
	v_lshlrev_b32_e32 v2, 24, v2
	s_delay_alu instid0(VALU_DEP_2) | instskip(NEXT) | instid1(VALU_DEP_2)
	v_and_b32_e32 v4, 3, v3
	v_and_b32_e32 v2, 0x80000000, v2
	s_delay_alu instid0(VALU_DEP_2) | instskip(NEXT) | instid1(VALU_DEP_1)
	v_clz_i32_u32_e32 v5, v4
	v_min_u32_e32 v5, 32, v5
	s_delay_alu instid0(VALU_DEP_1) | instskip(SKIP_1) | instid1(VALU_DEP_2)
	v_subrev_nc_u32_e32 v6, 29, v5
	v_sub_nc_u32_e32 v5, 30, v5
	v_lshlrev_b32_e32 v6, v6, v3
	v_bfe_u32 v3, v3, 2, 5
	s_delay_alu instid0(VALU_DEP_2) | instskip(NEXT) | instid1(VALU_DEP_2)
	v_and_b32_e32 v6, 3, v6
	v_cmp_eq_u32_e32 vcc_lo, 0, v3
	s_delay_alu instid0(VALU_DEP_2) | instskip(NEXT) | instid1(VALU_DEP_1)
	v_dual_cndmask_b32 v3, v3, v5 :: v_dual_cndmask_b32 v4, v4, v6
	v_lshl_add_u32 v3, v3, 23, 0x37800000
	s_delay_alu instid0(VALU_DEP_2) | instskip(NEXT) | instid1(VALU_DEP_1)
	v_lshlrev_b32_e32 v4, 21, v4
	v_or3_b32 v43, v2, v3, v4
.LBB51_1876:
	s_or_b32 exec_lo, exec_lo, s2
	s_mov_b32 s1, 0
	s_branch .LBB51_1882
.LBB51_1877:
	s_mov_b32 s1, -1
                                        ; implicit-def: $vgpr43
	s_branch .LBB51_1888
.LBB51_1878:
	s_or_saveexec_b32 s4, s4
	v_mov_b32_e32 v43, s3
	s_xor_b32 exec_lo, exec_lo, s4
	s_cbranch_execz .LBB51_1862
.LBB51_1879:
	v_cmp_ne_u16_e32 vcc_lo, 0, v2
	v_mov_b32_e32 v43, 0
	s_and_not1_b32 s2, s2, exec_lo
	s_and_b32 s3, vcc_lo, exec_lo
	s_delay_alu instid0(SALU_CYCLE_1)
	s_or_b32 s2, s2, s3
	s_or_b32 exec_lo, exec_lo, s4
	s_and_saveexec_b32 s3, s2
	s_cbranch_execnz .LBB51_1863
	s_branch .LBB51_1864
.LBB51_1880:
	s_mov_b32 s1, -1
                                        ; implicit-def: $vgpr43
	s_branch .LBB51_1885
.LBB51_1881:
	s_mov_b32 s1, -1
                                        ; implicit-def: $vgpr43
.LBB51_1882:
	s_delay_alu instid0(SALU_CYCLE_1)
	s_and_b32 vcc_lo, exec_lo, s1
	s_cbranch_vccz .LBB51_1884
; %bb.1883:
	global_load_u8 v2, v[0:1], off
	s_waitcnt vmcnt(0)
	v_lshlrev_b32_e32 v2, 24, v2
	s_delay_alu instid0(VALU_DEP_1) | instskip(NEXT) | instid1(VALU_DEP_1)
	v_and_b32_e32 v3, 0x7f000000, v2
	v_clz_i32_u32_e32 v4, v3
	v_add_nc_u32_e32 v6, 0x1000000, v3
	v_cmp_ne_u32_e32 vcc_lo, 0, v3
	s_delay_alu instid0(VALU_DEP_3) | instskip(NEXT) | instid1(VALU_DEP_1)
	v_min_u32_e32 v4, 32, v4
	v_sub_nc_u32_e64 v4, v4, 4 clamp
	s_delay_alu instid0(VALU_DEP_1) | instskip(SKIP_1) | instid1(VALU_DEP_2)
	v_lshlrev_b32_e32 v5, v4, v3
	v_lshlrev_b32_e32 v4, 23, v4
	v_lshrrev_b32_e32 v5, 4, v5
	s_delay_alu instid0(VALU_DEP_1) | instskip(SKIP_1) | instid1(VALU_DEP_2)
	v_sub_nc_u32_e32 v4, v5, v4
	v_ashrrev_i32_e32 v5, 8, v6
	v_add_nc_u32_e32 v4, 0x3c000000, v4
	s_delay_alu instid0(VALU_DEP_1) | instskip(NEXT) | instid1(VALU_DEP_1)
	v_and_or_b32 v4, 0x7f800000, v5, v4
	v_cndmask_b32_e32 v3, 0, v4, vcc_lo
	s_delay_alu instid0(VALU_DEP_1)
	v_and_or_b32 v43, 0x80000000, v2, v3
.LBB51_1884:
	s_mov_b32 s1, 0
.LBB51_1885:
	s_delay_alu instid0(SALU_CYCLE_1)
	s_and_not1_b32 vcc_lo, exec_lo, s1
	s_cbranch_vccnz .LBB51_1887
; %bb.1886:
	global_load_u8 v2, v[0:1], off
	s_waitcnt vmcnt(0)
	v_lshlrev_b32_e32 v3, 25, v2
	v_lshlrev_b16 v2, 8, v2
	s_delay_alu instid0(VALU_DEP_2) | instskip(NEXT) | instid1(VALU_DEP_2)
	v_lshrrev_b32_e32 v4, 4, v3
	v_and_or_b32 v5, 0x7f00, v2, 0.5
	v_bfe_i32 v2, v2, 0, 16
	s_delay_alu instid0(VALU_DEP_3) | instskip(NEXT) | instid1(VALU_DEP_1)
	v_or_b32_e32 v4, 0x70000000, v4
	v_dual_add_f32 v5, -0.5, v5 :: v_dual_mul_f32 v4, 0x7800000, v4
	v_cmp_gt_u32_e32 vcc_lo, 0x8000000, v3
	s_delay_alu instid0(VALU_DEP_2) | instskip(NEXT) | instid1(VALU_DEP_1)
	v_cndmask_b32_e32 v3, v4, v5, vcc_lo
	v_and_or_b32 v43, 0x80000000, v2, v3
.LBB51_1887:
	s_mov_b32 s1, 0
	s_mov_b32 s2, -1
.LBB51_1888:
	s_and_not1_b32 vcc_lo, exec_lo, s1
	s_mov_b32 s1, 0
	s_cbranch_vccnz .LBB51_1899
; %bb.1889:
	v_cmp_gt_i16_e64 s1, s46, 14
	s_delay_alu instid0(VALU_DEP_1)
	s_and_b32 vcc_lo, exec_lo, s1
	s_cbranch_vccz .LBB51_1892
; %bb.1890:
	v_cmp_eq_u16_e64 s0, s46, 15
	s_delay_alu instid0(VALU_DEP_1)
	s_and_b32 vcc_lo, exec_lo, s0
	s_cbranch_vccz .LBB51_1895
; %bb.1891:
	global_load_u16 v2, v[0:1], off
	s_mov_b32 s0, 0
	s_mov_b32 s2, -1
	s_waitcnt vmcnt(0)
	v_lshlrev_b32_e32 v43, 16, v2
	s_branch .LBB51_1896
.LBB51_1892:
	s_mov_b32 s1, -1
                                        ; implicit-def: $vgpr43
	s_branch .LBB51_1897
.LBB51_1893:
	s_or_saveexec_b32 s3, s3
	v_mov_b32_e32 v43, s2
	s_xor_b32 exec_lo, exec_lo, s3
	s_cbranch_execz .LBB51_1874
.LBB51_1894:
	v_cmp_ne_u16_e32 vcc_lo, 0, v2
	v_mov_b32_e32 v43, 0
	s_and_not1_b32 s1, s1, exec_lo
	s_and_b32 s2, vcc_lo, exec_lo
	s_delay_alu instid0(SALU_CYCLE_1)
	s_or_b32 s1, s1, s2
	s_or_b32 exec_lo, exec_lo, s3
	s_and_saveexec_b32 s2, s1
	s_cbranch_execnz .LBB51_1875
	s_branch .LBB51_1876
.LBB51_1895:
	s_mov_b32 s0, -1
                                        ; implicit-def: $vgpr43
.LBB51_1896:
	s_mov_b32 s1, 0
.LBB51_1897:
	s_delay_alu instid0(SALU_CYCLE_1)
	s_and_b32 vcc_lo, exec_lo, s1
	s_mov_b32 s1, 0
	s_cbranch_vccz .LBB51_1899
; %bb.1898:
	v_cmp_ne_u16_e64 s0, s46, 11
	s_mov_b32 s1, -1
                                        ; implicit-def: $vgpr43
.LBB51_1899:
	s_delay_alu instid0(VALU_DEP_1)
	s_and_b32 vcc_lo, exec_lo, s0
	s_cbranch_vccnz .LBB51_1927
; %bb.1900:
	s_and_not1_b32 vcc_lo, exec_lo, s1
	s_cbranch_vccnz .LBB51_1902
.LBB51_1901:
	global_load_u8 v2, v[0:1], off
	s_mov_b32 s2, -1
	s_waitcnt vmcnt(0)
	v_cmp_ne_u16_e32 vcc_lo, 0, v2
	v_cndmask_b32_e64 v43, 0, 1.0, vcc_lo
.LBB51_1902:
.LBB51_1903:
	s_and_not1_b32 vcc_lo, exec_lo, s2
	s_cbranch_vccnz .LBB51_2727
.LBB51_1904:
	s_load_b32 s0, s[48:49], 0x1a0
	s_waitcnt lgkmcnt(0)
	s_bitcmp1_b32 s0, 0
	s_cselect_b32 s0, -1, 0
	s_delay_alu instid0(SALU_CYCLE_1)
	s_xor_b32 s47, s0, -1
	s_mov_b32 s0, -1
	s_and_b32 vcc_lo, exec_lo, s47
	s_cbranch_vccz .LBB51_1906
; %bb.1905:
	s_waitcnt vmcnt(0)
	s_delay_alu instid0(VALU_DEP_1) | instskip(SKIP_3) | instid1(SALU_CYCLE_1)
	v_dual_mov_b32 v0, v40 :: v_dual_mov_b32 v1, v43
	s_getpc_b64 s[0:1]
	s_add_u32 s0, s0, _ZN12_GLOBAL__N_111calc_igammaIfEET_S1_S1_@rel32@lo+4
	s_addc_u32 s1, s1, _ZN12_GLOBAL__N_111calc_igammaIfEET_S1_S1_@rel32@hi+12
	s_swappc_b64 s[30:31], s[0:1]
	v_mov_b32_e32 v42, v0
	s_cbranch_execz .LBB51_1907
	s_branch .LBB51_1908
.LBB51_1906:
                                        ; implicit-def: $vgpr42
	s_and_not1_b32 vcc_lo, exec_lo, s0
	s_cbranch_vccnz .LBB51_1908
.LBB51_1907:
	s_waitcnt vmcnt(0)
	s_delay_alu instid0(VALU_DEP_1) | instskip(SKIP_3) | instid1(SALU_CYCLE_1)
	v_dual_mov_b32 v0, v40 :: v_dual_mov_b32 v1, v43
	s_getpc_b64 s[0:1]
	s_add_u32 s0, s0, _ZN12_GLOBAL__N_112calc_igammacIfEET_S1_S1_@rel32@lo+4
	s_addc_u32 s1, s1, _ZN12_GLOBAL__N_112calc_igammacIfEET_S1_S1_@rel32@hi+12
	s_swappc_b64 s[30:31], s[0:1]
	v_mov_b32_e32 v42, v0
.LBB51_1908:
	v_cmp_gt_i16_e32 vcc_lo, 11, v47
	v_add_co_u32 v0, s0, s38, v62
	s_delay_alu instid0(VALU_DEP_1)
	v_add_co_ci_u32_e64 v1, null, s39, 0, s0
	s_mov_b32 s2, 0
	s_cbranch_vccnz .LBB51_1915
; %bb.1909:
	v_cmp_lt_i16_e32 vcc_lo, 25, v47
	s_mov_b32 s1, 0
	s_cbranch_vccz .LBB51_1921
; %bb.1910:
	v_cmp_lt_i16_e32 vcc_lo, 28, v47
	s_cbranch_vccz .LBB51_1923
; %bb.1911:
	v_cmp_lt_i16_e32 vcc_lo, 43, v47
	;; [unrolled: 3-line block ×3, first 2 shown]
	s_cbranch_vccz .LBB51_1931
; %bb.1913:
	v_cmp_eq_u16_e32 vcc_lo, 46, v47
	s_mov_b32 s3, 0
	s_cbranch_vccz .LBB51_1974
; %bb.1914:
	global_load_b32 v2, v[0:1], off
	s_mov_b32 s0, 0
	s_mov_b32 s2, -1
	s_waitcnt vmcnt(0)
	v_lshlrev_b32_e32 v40, 16, v2
	s_branch .LBB51_1976
.LBB51_1915:
                                        ; implicit-def: $vgpr40
	s_cbranch_execz .LBB51_2042
; %bb.1916:
	v_cmp_gt_i16_e32 vcc_lo, 5, v47
	s_cbranch_vccnz .LBB51_1922
; %bb.1917:
	v_cmp_gt_i16_e32 vcc_lo, 8, v47
	s_cbranch_vccnz .LBB51_1924
; %bb.1918:
	v_cmp_gt_i16_e32 vcc_lo, 9, v47
	s_cbranch_vccnz .LBB51_1926
; %bb.1919:
	v_cmp_lt_i16_e32 vcc_lo, 9, v47
	s_cbranch_vccz .LBB51_1932
; %bb.1920:
	global_load_b64 v[2:3], v[0:1], off
	s_mov_b32 s0, 0
	s_waitcnt vmcnt(0)
	v_cvt_f32_f64_e32 v40, v[2:3]
	s_branch .LBB51_1933
.LBB51_1921:
	s_mov_b32 s3, -1
	s_mov_b32 s0, 0
                                        ; implicit-def: $vgpr40
	s_branch .LBB51_2005
.LBB51_1922:
	s_mov_b32 s0, -1
                                        ; implicit-def: $vgpr40
	s_branch .LBB51_1951
.LBB51_1923:
	s_mov_b32 s3, -1
	s_mov_b32 s0, 0
                                        ; implicit-def: $vgpr40
	s_branch .LBB51_1986
.LBB51_1924:
	s_mov_b32 s0, -1
                                        ; implicit-def: $vgpr40
	s_branch .LBB51_1939
.LBB51_1925:
	s_mov_b32 s3, -1
	s_mov_b32 s0, 0
                                        ; implicit-def: $vgpr40
	s_branch .LBB51_1981
.LBB51_1926:
	s_mov_b32 s0, -1
                                        ; implicit-def: $vgpr40
	s_branch .LBB51_1936
.LBB51_1927:
	s_cbranch_execnz .LBB51_1972
; %bb.1928:
	s_or_b32 s44, s44, exec_lo
                                        ; implicit-def: $vgpr43
	s_cbranch_execz .LBB51_1901
	s_branch .LBB51_1902
.LBB51_1929:
	s_or_saveexec_b32 s6, s6
                                        ; implicit-def: $sgpr7
	s_delay_alu instid0(SALU_CYCLE_1)
	s_xor_b32 exec_lo, exec_lo, s6
	s_cbranch_execz .LBB51_1524
.LBB51_1930:
	v_add_f32_e64 v1, 0x42800000, |v0|
	s_and_not1_b32 s5, s5, exec_lo
	s_mov_b32 s7, 0
	s_delay_alu instid0(VALU_DEP_1) | instskip(NEXT) | instid1(VALU_DEP_1)
	v_and_b32_e32 v1, 0xff, v1
	v_cmp_ne_u32_e32 vcc_lo, 0, v1
	s_and_b32 s8, vcc_lo, exec_lo
	s_delay_alu instid0(SALU_CYCLE_1)
	s_or_b32 s5, s5, s8
	s_or_b32 exec_lo, exec_lo, s6
	v_mov_b32_e32 v5, s7
	s_and_saveexec_b32 s6, s5
	s_cbranch_execnz .LBB51_1525
	s_branch .LBB51_1526
.LBB51_1931:
	s_mov_b32 s3, -1
	s_mov_b32 s0, 0
	s_branch .LBB51_1975
.LBB51_1932:
	s_mov_b32 s0, -1
                                        ; implicit-def: $vgpr40
.LBB51_1933:
	s_delay_alu instid0(SALU_CYCLE_1)
	s_and_not1_b32 vcc_lo, exec_lo, s0
	s_cbranch_vccnz .LBB51_1935
; %bb.1934:
	global_load_b32 v40, v[0:1], off
.LBB51_1935:
	s_mov_b32 s0, 0
.LBB51_1936:
	s_delay_alu instid0(SALU_CYCLE_1)
	s_and_not1_b32 vcc_lo, exec_lo, s0
	s_cbranch_vccnz .LBB51_1938
; %bb.1937:
	global_load_b32 v2, v[0:1], off
	s_waitcnt vmcnt(0)
	v_cvt_f32_f16_e32 v40, v2
.LBB51_1938:
	s_mov_b32 s0, 0
.LBB51_1939:
	s_delay_alu instid0(SALU_CYCLE_1)
	s_and_not1_b32 vcc_lo, exec_lo, s0
	s_cbranch_vccnz .LBB51_1950
; %bb.1940:
	v_cmp_gt_i16_e32 vcc_lo, 6, v47
	s_cbranch_vccnz .LBB51_1943
; %bb.1941:
	v_cmp_lt_i16_e32 vcc_lo, 6, v47
	s_cbranch_vccz .LBB51_1944
; %bb.1942:
	global_load_b64 v[2:3], v[0:1], off
	s_mov_b32 s0, 0
	s_waitcnt vmcnt(0)
	v_cvt_f32_f64_e32 v40, v[2:3]
	s_branch .LBB51_1945
.LBB51_1943:
	s_mov_b32 s0, -1
                                        ; implicit-def: $vgpr40
	s_branch .LBB51_1948
.LBB51_1944:
	s_mov_b32 s0, -1
                                        ; implicit-def: $vgpr40
.LBB51_1945:
	s_delay_alu instid0(SALU_CYCLE_1)
	s_and_not1_b32 vcc_lo, exec_lo, s0
	s_cbranch_vccnz .LBB51_1947
; %bb.1946:
	global_load_b32 v40, v[0:1], off
.LBB51_1947:
	s_mov_b32 s0, 0
.LBB51_1948:
	s_delay_alu instid0(SALU_CYCLE_1)
	s_and_not1_b32 vcc_lo, exec_lo, s0
	s_cbranch_vccnz .LBB51_1950
; %bb.1949:
	global_load_u16 v2, v[0:1], off
	s_waitcnt vmcnt(0)
	v_cvt_f32_f16_e32 v40, v2
.LBB51_1950:
	s_mov_b32 s0, 0
.LBB51_1951:
	s_delay_alu instid0(SALU_CYCLE_1)
	s_and_not1_b32 vcc_lo, exec_lo, s0
	s_cbranch_vccnz .LBB51_1971
; %bb.1952:
	v_cmp_gt_i16_e32 vcc_lo, 2, v47
	s_cbranch_vccnz .LBB51_1956
; %bb.1953:
	v_cmp_gt_i16_e32 vcc_lo, 3, v47
	s_cbranch_vccnz .LBB51_1957
; %bb.1954:
	v_cmp_lt_i16_e32 vcc_lo, 3, v47
	s_cbranch_vccz .LBB51_1958
; %bb.1955:
	global_load_b64 v[2:3], v[0:1], off
	s_mov_b32 s0, 0
	s_waitcnt vmcnt(0)
	v_xor_b32_e32 v4, v2, v3
	v_cls_i32_e32 v5, v3
	s_delay_alu instid0(VALU_DEP_2) | instskip(NEXT) | instid1(VALU_DEP_2)
	v_ashrrev_i32_e32 v4, 31, v4
	v_add_nc_u32_e32 v5, -1, v5
	s_delay_alu instid0(VALU_DEP_2) | instskip(NEXT) | instid1(VALU_DEP_1)
	v_add_nc_u32_e32 v4, 32, v4
	v_min_u32_e32 v4, v5, v4
	s_delay_alu instid0(VALU_DEP_1) | instskip(NEXT) | instid1(VALU_DEP_1)
	v_lshlrev_b64 v[2:3], v4, v[2:3]
	v_min_u32_e32 v2, 1, v2
	s_delay_alu instid0(VALU_DEP_1) | instskip(SKIP_1) | instid1(VALU_DEP_2)
	v_or_b32_e32 v2, v3, v2
	v_sub_nc_u32_e32 v3, 32, v4
	v_cvt_f32_i32_e32 v2, v2
	s_delay_alu instid0(VALU_DEP_1)
	v_ldexp_f32 v40, v2, v3
	s_branch .LBB51_1959
.LBB51_1956:
	s_mov_b32 s0, -1
                                        ; implicit-def: $vgpr40
	s_branch .LBB51_1965
.LBB51_1957:
	s_mov_b32 s0, -1
                                        ; implicit-def: $vgpr40
	s_branch .LBB51_1962
.LBB51_1958:
	s_mov_b32 s0, -1
                                        ; implicit-def: $vgpr40
.LBB51_1959:
	s_delay_alu instid0(SALU_CYCLE_1)
	s_and_not1_b32 vcc_lo, exec_lo, s0
	s_cbranch_vccnz .LBB51_1961
; %bb.1960:
	global_load_b32 v2, v[0:1], off
	s_waitcnt vmcnt(0)
	v_cvt_f32_i32_e32 v40, v2
.LBB51_1961:
	s_mov_b32 s0, 0
.LBB51_1962:
	s_delay_alu instid0(SALU_CYCLE_1)
	s_and_not1_b32 vcc_lo, exec_lo, s0
	s_cbranch_vccnz .LBB51_1964
; %bb.1963:
	global_load_i16 v2, v[0:1], off
	s_waitcnt vmcnt(0)
	v_cvt_f32_i32_e32 v40, v2
.LBB51_1964:
	s_mov_b32 s0, 0
.LBB51_1965:
	s_delay_alu instid0(SALU_CYCLE_1)
	s_and_not1_b32 vcc_lo, exec_lo, s0
	s_cbranch_vccnz .LBB51_1971
; %bb.1966:
	v_cmp_lt_i16_e32 vcc_lo, 0, v47
	s_mov_b32 s0, 0
	s_cbranch_vccz .LBB51_1968
; %bb.1967:
	global_load_i8 v2, v[0:1], off
	s_waitcnt vmcnt(0)
	v_cvt_f32_i32_e32 v40, v2
	s_branch .LBB51_1969
.LBB51_1968:
	s_mov_b32 s0, -1
                                        ; implicit-def: $vgpr40
.LBB51_1969:
	s_delay_alu instid0(SALU_CYCLE_1)
	s_and_not1_b32 vcc_lo, exec_lo, s0
	s_cbranch_vccnz .LBB51_1971
; %bb.1970:
	global_load_u8 v0, v[0:1], off
	s_waitcnt vmcnt(0)
	v_cvt_f32_ubyte0_e32 v40, v0
.LBB51_1971:
	s_branch .LBB51_2043
.LBB51_1972:
	s_trap 2
	s_sendmsg_rtn_b32 s0, sendmsg(MSG_RTN_GET_DOORBELL)
	s_mov_b32 ttmp2, m0
	s_waitcnt lgkmcnt(0)
	s_and_b32 s0, s0, 0x3ff
	s_delay_alu instid0(SALU_CYCLE_1) | instskip(NEXT) | instid1(SALU_CYCLE_1)
	s_bitset1_b32 s0, 10
	s_mov_b32 m0, s0
	s_sendmsg sendmsg(MSG_INTERRUPT)
	s_mov_b32 m0, ttmp2
.LBB51_1973:                            ; =>This Inner Loop Header: Depth=1
	s_sethalt 5
	s_branch .LBB51_1973
.LBB51_1974:
	s_mov_b32 s0, -1
.LBB51_1975:
                                        ; implicit-def: $vgpr40
.LBB51_1976:
	s_and_b32 vcc_lo, exec_lo, s3
	s_cbranch_vccz .LBB51_1980
; %bb.1977:
	v_cmp_eq_u16_e32 vcc_lo, 44, v47
	s_cbranch_vccz .LBB51_1979
; %bb.1978:
	global_load_u8 v2, v[0:1], off
	s_mov_b32 s0, 0
	s_mov_b32 s2, -1
	s_waitcnt vmcnt(0)
	v_lshlrev_b32_e32 v3, 23, v2
	v_cmp_ne_u32_e32 vcc_lo, 0xff, v2
	s_delay_alu instid0(VALU_DEP_2) | instskip(SKIP_1) | instid1(VALU_DEP_2)
	v_cndmask_b32_e32 v3, 0x7f800001, v3, vcc_lo
	v_cmp_ne_u32_e32 vcc_lo, 0, v2
	v_cndmask_b32_e32 v40, 0x400000, v3, vcc_lo
	s_branch .LBB51_1980
.LBB51_1979:
	s_mov_b32 s0, -1
                                        ; implicit-def: $vgpr40
.LBB51_1980:
	s_mov_b32 s3, 0
.LBB51_1981:
	s_delay_alu instid0(SALU_CYCLE_1)
	s_and_b32 vcc_lo, exec_lo, s3
	s_cbranch_vccz .LBB51_1985
; %bb.1982:
	v_cmp_eq_u16_e32 vcc_lo, 29, v47
	s_cbranch_vccz .LBB51_1984
; %bb.1983:
	global_load_b64 v[2:3], v[0:1], off
	s_mov_b32 s0, 0
	s_mov_b32 s2, -1
	s_mov_b32 s3, 0
	s_waitcnt vmcnt(0)
	v_clz_i32_u32_e32 v4, v3
	s_delay_alu instid0(VALU_DEP_1) | instskip(NEXT) | instid1(VALU_DEP_1)
	v_min_u32_e32 v4, 32, v4
	v_lshlrev_b64 v[2:3], v4, v[2:3]
	s_delay_alu instid0(VALU_DEP_1) | instskip(NEXT) | instid1(VALU_DEP_1)
	v_min_u32_e32 v2, 1, v2
	v_or_b32_e32 v2, v3, v2
	v_sub_nc_u32_e32 v3, 32, v4
	s_delay_alu instid0(VALU_DEP_2) | instskip(NEXT) | instid1(VALU_DEP_1)
	v_cvt_f32_u32_e32 v2, v2
	v_ldexp_f32 v40, v2, v3
	s_branch .LBB51_1986
.LBB51_1984:
	s_mov_b32 s0, -1
                                        ; implicit-def: $vgpr40
.LBB51_1985:
	s_mov_b32 s3, 0
.LBB51_1986:
	s_delay_alu instid0(SALU_CYCLE_1)
	s_and_b32 vcc_lo, exec_lo, s3
	s_cbranch_vccz .LBB51_2004
; %bb.1987:
	v_cmp_gt_i16_e32 vcc_lo, 27, v47
	s_cbranch_vccnz .LBB51_1990
; %bb.1988:
	v_cmp_lt_i16_e32 vcc_lo, 27, v47
	s_cbranch_vccz .LBB51_1991
; %bb.1989:
	global_load_b32 v2, v[0:1], off
	s_mov_b32 s2, 0
	s_waitcnt vmcnt(0)
	v_cvt_f32_u32_e32 v40, v2
	s_branch .LBB51_1992
.LBB51_1990:
	s_mov_b32 s2, -1
                                        ; implicit-def: $vgpr40
	s_branch .LBB51_1995
.LBB51_1991:
	s_mov_b32 s2, -1
                                        ; implicit-def: $vgpr40
.LBB51_1992:
	s_delay_alu instid0(SALU_CYCLE_1)
	s_and_not1_b32 vcc_lo, exec_lo, s2
	s_cbranch_vccnz .LBB51_1994
; %bb.1993:
	global_load_u16 v2, v[0:1], off
	s_waitcnt vmcnt(0)
	v_cvt_f32_u32_e32 v40, v2
.LBB51_1994:
	s_mov_b32 s2, 0
.LBB51_1995:
	s_delay_alu instid0(SALU_CYCLE_1)
	s_and_not1_b32 vcc_lo, exec_lo, s2
	s_cbranch_vccnz .LBB51_2003
; %bb.1996:
	global_load_u8 v2, v[0:1], off
	s_mov_b32 s2, 0
	s_mov_b32 s4, exec_lo
                                        ; implicit-def: $sgpr3
	s_waitcnt vmcnt(0)
	v_cmpx_lt_i16_e32 0x7f, v2
	s_xor_b32 s4, exec_lo, s4
	s_cbranch_execz .LBB51_2017
; %bb.1997:
	s_mov_b32 s2, -1
	s_mov_b32 s5, exec_lo
                                        ; implicit-def: $sgpr3
	v_cmpx_eq_u16_e32 0x80, v2
; %bb.1998:
	s_mov_b32 s3, 0x7f800001
	s_xor_b32 s2, exec_lo, -1
; %bb.1999:
	s_or_b32 exec_lo, exec_lo, s5
	s_delay_alu instid0(SALU_CYCLE_1)
	s_and_b32 s2, s2, exec_lo
	s_or_saveexec_b32 s4, s4
	v_mov_b32_e32 v40, s3
	s_xor_b32 exec_lo, exec_lo, s4
	s_cbranch_execnz .LBB51_2018
.LBB51_2000:
	s_or_b32 exec_lo, exec_lo, s4
	s_and_saveexec_b32 s3, s2
	s_cbranch_execz .LBB51_2002
.LBB51_2001:
	v_and_b32_e32 v3, 0xffff, v2
	v_lshlrev_b32_e32 v2, 24, v2
	s_delay_alu instid0(VALU_DEP_2) | instskip(NEXT) | instid1(VALU_DEP_2)
	v_and_b32_e32 v4, 7, v3
	v_and_b32_e32 v2, 0x80000000, v2
	s_delay_alu instid0(VALU_DEP_2) | instskip(NEXT) | instid1(VALU_DEP_1)
	v_clz_i32_u32_e32 v5, v4
	v_min_u32_e32 v5, 32, v5
	s_delay_alu instid0(VALU_DEP_1) | instskip(SKIP_1) | instid1(VALU_DEP_2)
	v_subrev_nc_u32_e32 v6, 28, v5
	v_sub_nc_u32_e32 v5, 29, v5
	v_lshlrev_b32_e32 v6, v6, v3
	v_bfe_u32 v3, v3, 3, 4
	s_delay_alu instid0(VALU_DEP_2) | instskip(NEXT) | instid1(VALU_DEP_2)
	v_and_b32_e32 v6, 7, v6
	v_cmp_eq_u32_e32 vcc_lo, 0, v3
	s_delay_alu instid0(VALU_DEP_2) | instskip(NEXT) | instid1(VALU_DEP_1)
	v_dual_cndmask_b32 v3, v3, v5 :: v_dual_cndmask_b32 v4, v4, v6
	v_lshl_add_u32 v3, v3, 23, 0x3b800000
	s_delay_alu instid0(VALU_DEP_2) | instskip(NEXT) | instid1(VALU_DEP_1)
	v_lshlrev_b32_e32 v4, 20, v4
	v_or3_b32 v40, v2, v3, v4
.LBB51_2002:
	s_or_b32 exec_lo, exec_lo, s3
.LBB51_2003:
	s_mov_b32 s2, -1
.LBB51_2004:
	s_mov_b32 s3, 0
.LBB51_2005:
	s_delay_alu instid0(SALU_CYCLE_1)
	s_and_b32 vcc_lo, exec_lo, s3
	s_cbranch_vccz .LBB51_2038
; %bb.2006:
	v_cmp_lt_i16_e32 vcc_lo, 22, v47
	s_cbranch_vccz .LBB51_2016
; %bb.2007:
	v_cmp_gt_i16_e32 vcc_lo, 24, v47
	s_cbranch_vccnz .LBB51_2019
; %bb.2008:
	v_cmp_lt_i16_e32 vcc_lo, 24, v47
	s_cbranch_vccz .LBB51_2020
; %bb.2009:
	global_load_u8 v2, v[0:1], off
	s_mov_b32 s3, exec_lo
                                        ; implicit-def: $sgpr2
	s_waitcnt vmcnt(0)
	v_cmpx_lt_i16_e32 0x7f, v2
	s_xor_b32 s3, exec_lo, s3
	s_cbranch_execz .LBB51_2032
; %bb.2010:
	s_mov_b32 s1, -1
	s_mov_b32 s4, exec_lo
                                        ; implicit-def: $sgpr2
	v_cmpx_eq_u16_e32 0x80, v2
; %bb.2011:
	s_mov_b32 s2, 0x7f800001
	s_xor_b32 s1, exec_lo, -1
; %bb.2012:
	s_or_b32 exec_lo, exec_lo, s4
	s_delay_alu instid0(SALU_CYCLE_1)
	s_and_b32 s1, s1, exec_lo
	s_or_saveexec_b32 s3, s3
	v_mov_b32_e32 v40, s2
	s_xor_b32 exec_lo, exec_lo, s3
	s_cbranch_execnz .LBB51_2033
.LBB51_2013:
	s_or_b32 exec_lo, exec_lo, s3
	s_and_saveexec_b32 s2, s1
	s_cbranch_execz .LBB51_2015
.LBB51_2014:
	v_and_b32_e32 v3, 0xffff, v2
	v_lshlrev_b32_e32 v2, 24, v2
	s_delay_alu instid0(VALU_DEP_2) | instskip(NEXT) | instid1(VALU_DEP_2)
	v_and_b32_e32 v4, 3, v3
	v_and_b32_e32 v2, 0x80000000, v2
	s_delay_alu instid0(VALU_DEP_2) | instskip(NEXT) | instid1(VALU_DEP_1)
	v_clz_i32_u32_e32 v5, v4
	v_min_u32_e32 v5, 32, v5
	s_delay_alu instid0(VALU_DEP_1) | instskip(SKIP_1) | instid1(VALU_DEP_2)
	v_subrev_nc_u32_e32 v6, 29, v5
	v_sub_nc_u32_e32 v5, 30, v5
	v_lshlrev_b32_e32 v6, v6, v3
	v_bfe_u32 v3, v3, 2, 5
	s_delay_alu instid0(VALU_DEP_2) | instskip(NEXT) | instid1(VALU_DEP_2)
	v_and_b32_e32 v6, 3, v6
	v_cmp_eq_u32_e32 vcc_lo, 0, v3
	s_delay_alu instid0(VALU_DEP_2) | instskip(NEXT) | instid1(VALU_DEP_1)
	v_dual_cndmask_b32 v3, v3, v5 :: v_dual_cndmask_b32 v4, v4, v6
	v_lshl_add_u32 v3, v3, 23, 0x37800000
	s_delay_alu instid0(VALU_DEP_2) | instskip(NEXT) | instid1(VALU_DEP_1)
	v_lshlrev_b32_e32 v4, 21, v4
	v_or3_b32 v40, v2, v3, v4
.LBB51_2015:
	s_or_b32 exec_lo, exec_lo, s2
	s_mov_b32 s1, 0
	s_branch .LBB51_2021
.LBB51_2016:
	s_mov_b32 s1, -1
                                        ; implicit-def: $vgpr40
	s_branch .LBB51_2027
.LBB51_2017:
	s_or_saveexec_b32 s4, s4
	v_mov_b32_e32 v40, s3
	s_xor_b32 exec_lo, exec_lo, s4
	s_cbranch_execz .LBB51_2000
.LBB51_2018:
	v_cmp_ne_u16_e32 vcc_lo, 0, v2
	v_mov_b32_e32 v40, 0
	s_and_not1_b32 s2, s2, exec_lo
	s_and_b32 s3, vcc_lo, exec_lo
	s_delay_alu instid0(SALU_CYCLE_1)
	s_or_b32 s2, s2, s3
	s_or_b32 exec_lo, exec_lo, s4
	s_and_saveexec_b32 s3, s2
	s_cbranch_execnz .LBB51_2001
	s_branch .LBB51_2002
.LBB51_2019:
	s_mov_b32 s1, -1
                                        ; implicit-def: $vgpr40
	s_branch .LBB51_2024
.LBB51_2020:
	s_mov_b32 s1, -1
                                        ; implicit-def: $vgpr40
.LBB51_2021:
	s_delay_alu instid0(SALU_CYCLE_1)
	s_and_b32 vcc_lo, exec_lo, s1
	s_cbranch_vccz .LBB51_2023
; %bb.2022:
	global_load_u8 v2, v[0:1], off
	s_waitcnt vmcnt(0)
	v_lshlrev_b32_e32 v2, 24, v2
	s_delay_alu instid0(VALU_DEP_1) | instskip(NEXT) | instid1(VALU_DEP_1)
	v_and_b32_e32 v3, 0x7f000000, v2
	v_clz_i32_u32_e32 v4, v3
	v_add_nc_u32_e32 v6, 0x1000000, v3
	v_cmp_ne_u32_e32 vcc_lo, 0, v3
	s_delay_alu instid0(VALU_DEP_3) | instskip(NEXT) | instid1(VALU_DEP_1)
	v_min_u32_e32 v4, 32, v4
	v_sub_nc_u32_e64 v4, v4, 4 clamp
	s_delay_alu instid0(VALU_DEP_1) | instskip(SKIP_1) | instid1(VALU_DEP_2)
	v_lshlrev_b32_e32 v5, v4, v3
	v_lshlrev_b32_e32 v4, 23, v4
	v_lshrrev_b32_e32 v5, 4, v5
	s_delay_alu instid0(VALU_DEP_1) | instskip(SKIP_1) | instid1(VALU_DEP_2)
	v_sub_nc_u32_e32 v4, v5, v4
	v_ashrrev_i32_e32 v5, 8, v6
	v_add_nc_u32_e32 v4, 0x3c000000, v4
	s_delay_alu instid0(VALU_DEP_1) | instskip(NEXT) | instid1(VALU_DEP_1)
	v_and_or_b32 v4, 0x7f800000, v5, v4
	v_cndmask_b32_e32 v3, 0, v4, vcc_lo
	s_delay_alu instid0(VALU_DEP_1)
	v_and_or_b32 v40, 0x80000000, v2, v3
.LBB51_2023:
	s_mov_b32 s1, 0
.LBB51_2024:
	s_delay_alu instid0(SALU_CYCLE_1)
	s_and_not1_b32 vcc_lo, exec_lo, s1
	s_cbranch_vccnz .LBB51_2026
; %bb.2025:
	global_load_u8 v2, v[0:1], off
	s_waitcnt vmcnt(0)
	v_lshlrev_b32_e32 v3, 25, v2
	v_lshlrev_b16 v2, 8, v2
	s_delay_alu instid0(VALU_DEP_2) | instskip(NEXT) | instid1(VALU_DEP_2)
	v_lshrrev_b32_e32 v4, 4, v3
	v_and_or_b32 v5, 0x7f00, v2, 0.5
	v_bfe_i32 v2, v2, 0, 16
	s_delay_alu instid0(VALU_DEP_3) | instskip(NEXT) | instid1(VALU_DEP_1)
	v_or_b32_e32 v4, 0x70000000, v4
	v_dual_add_f32 v5, -0.5, v5 :: v_dual_mul_f32 v4, 0x7800000, v4
	v_cmp_gt_u32_e32 vcc_lo, 0x8000000, v3
	s_delay_alu instid0(VALU_DEP_2) | instskip(NEXT) | instid1(VALU_DEP_1)
	v_cndmask_b32_e32 v3, v4, v5, vcc_lo
	v_and_or_b32 v40, 0x80000000, v2, v3
.LBB51_2026:
	s_mov_b32 s1, 0
	s_mov_b32 s2, -1
.LBB51_2027:
	s_and_not1_b32 vcc_lo, exec_lo, s1
	s_mov_b32 s1, 0
	s_cbranch_vccnz .LBB51_2038
; %bb.2028:
	v_cmp_lt_i16_e32 vcc_lo, 14, v47
	s_cbranch_vccz .LBB51_2031
; %bb.2029:
	v_cmp_eq_u16_e32 vcc_lo, 15, v47
	s_cbranch_vccz .LBB51_2034
; %bb.2030:
	global_load_u16 v2, v[0:1], off
	s_mov_b32 s0, 0
	s_mov_b32 s2, -1
	s_waitcnt vmcnt(0)
	v_lshlrev_b32_e32 v40, 16, v2
	s_branch .LBB51_2036
.LBB51_2031:
	s_mov_b32 s1, -1
	s_branch .LBB51_2035
.LBB51_2032:
	s_or_saveexec_b32 s3, s3
	v_mov_b32_e32 v40, s2
	s_xor_b32 exec_lo, exec_lo, s3
	s_cbranch_execz .LBB51_2013
.LBB51_2033:
	v_cmp_ne_u16_e32 vcc_lo, 0, v2
	v_mov_b32_e32 v40, 0
	s_and_not1_b32 s1, s1, exec_lo
	s_and_b32 s2, vcc_lo, exec_lo
	s_delay_alu instid0(SALU_CYCLE_1)
	s_or_b32 s1, s1, s2
	s_or_b32 exec_lo, exec_lo, s3
	s_and_saveexec_b32 s2, s1
	s_cbranch_execnz .LBB51_2014
	s_branch .LBB51_2015
.LBB51_2034:
	s_mov_b32 s0, -1
.LBB51_2035:
                                        ; implicit-def: $vgpr40
.LBB51_2036:
	s_and_b32 vcc_lo, exec_lo, s1
	s_mov_b32 s1, 0
	s_cbranch_vccz .LBB51_2038
; %bb.2037:
	v_cmp_ne_u16_e64 s0, 11, v47
	s_mov_b32 s1, -1
                                        ; implicit-def: $vgpr40
.LBB51_2038:
	s_delay_alu instid0(VALU_DEP_1)
	s_and_b32 vcc_lo, exec_lo, s0
	s_cbranch_vccnz .LBB51_2054
; %bb.2039:
	s_and_not1_b32 vcc_lo, exec_lo, s1
	s_cbranch_vccnz .LBB51_2041
.LBB51_2040:
	global_load_u8 v2, v[0:1], off
	s_mov_b32 s2, -1
	s_waitcnt vmcnt(0)
	v_cmp_ne_u16_e32 vcc_lo, 0, v2
	v_cndmask_b32_e64 v40, 0, 1.0, vcc_lo
.LBB51_2041:
.LBB51_2042:
	s_and_not1_b32 vcc_lo, exec_lo, s2
	s_cbranch_vccnz .LBB51_2727
.LBB51_2043:
	v_cmp_lt_i16_e64 s0, s46, 11
	v_add_co_u32 v0, s1, s40, v44
	s_delay_alu instid0(VALU_DEP_1) | instskip(NEXT) | instid1(VALU_DEP_3)
	v_add_co_ci_u32_e64 v1, null, s41, 0, s1
	s_and_b32 vcc_lo, exec_lo, s0
	s_mov_b32 s2, 0
	s_cbranch_vccnz .LBB51_2050
; %bb.2044:
	v_cmp_gt_i16_e64 s0, s46, 25
	s_mov_b32 s1, 0
	s_delay_alu instid0(VALU_DEP_1)
	s_and_b32 vcc_lo, exec_lo, s0
	s_cbranch_vccz .LBB51_2051
; %bb.2045:
	v_cmp_gt_i16_e64 s0, s46, 28
	s_delay_alu instid0(VALU_DEP_1)
	s_and_b32 vcc_lo, exec_lo, s0
	s_cbranch_vccz .LBB51_2052
; %bb.2046:
	v_cmp_gt_i16_e64 s0, s46, 43
	;; [unrolled: 5-line block ×3, first 2 shown]
	s_delay_alu instid0(VALU_DEP_1)
	s_and_b32 vcc_lo, exec_lo, s0
	s_cbranch_vccz .LBB51_2056
; %bb.2048:
	v_cmp_eq_u16_e64 s0, s46, 46
	s_mov_b32 s3, 0
	s_delay_alu instid0(VALU_DEP_1)
	s_and_b32 vcc_lo, exec_lo, s0
	s_cbranch_vccz .LBB51_2059
; %bb.2049:
	global_load_b32 v2, v[0:1], off
	s_mov_b32 s0, 0
	s_mov_b32 s2, -1
	s_waitcnt vmcnt(0)
	v_lshlrev_b32_e32 v43, 16, v2
	s_branch .LBB51_2061
.LBB51_2050:
	s_mov_b32 s0, -1
                                        ; implicit-def: $vgpr43
	s_branch .LBB51_2127
.LBB51_2051:
	s_mov_b32 s3, -1
	s_mov_b32 s0, 0
                                        ; implicit-def: $vgpr43
	s_branch .LBB51_2090
.LBB51_2052:
	s_mov_b32 s3, -1
	s_mov_b32 s0, 0
                                        ; implicit-def: $vgpr43
	s_branch .LBB51_2071
.LBB51_2053:
	s_mov_b32 s3, -1
	s_mov_b32 s0, 0
                                        ; implicit-def: $vgpr43
	s_branch .LBB51_2066
.LBB51_2054:
	s_cbranch_execnz .LBB51_2057
; %bb.2055:
	s_or_b32 s44, s44, exec_lo
                                        ; implicit-def: $vgpr40
	s_cbranch_execz .LBB51_2040
	s_branch .LBB51_2041
.LBB51_2056:
	s_mov_b32 s3, -1
	s_mov_b32 s0, 0
	s_branch .LBB51_2060
.LBB51_2057:
	s_trap 2
	s_sendmsg_rtn_b32 s0, sendmsg(MSG_RTN_GET_DOORBELL)
	s_mov_b32 ttmp2, m0
	s_waitcnt lgkmcnt(0)
	s_and_b32 s0, s0, 0x3ff
	s_delay_alu instid0(SALU_CYCLE_1) | instskip(NEXT) | instid1(SALU_CYCLE_1)
	s_bitset1_b32 s0, 10
	s_mov_b32 m0, s0
	s_sendmsg sendmsg(MSG_INTERRUPT)
	s_mov_b32 m0, ttmp2
.LBB51_2058:                            ; =>This Inner Loop Header: Depth=1
	s_sethalt 5
	s_branch .LBB51_2058
.LBB51_2059:
	s_mov_b32 s0, -1
.LBB51_2060:
                                        ; implicit-def: $vgpr43
.LBB51_2061:
	s_and_b32 vcc_lo, exec_lo, s3
	s_cbranch_vccz .LBB51_2065
; %bb.2062:
	v_cmp_eq_u16_e64 s0, s46, 44
	s_delay_alu instid0(VALU_DEP_1)
	s_and_b32 vcc_lo, exec_lo, s0
	s_cbranch_vccz .LBB51_2064
; %bb.2063:
	global_load_u8 v2, v[0:1], off
	s_mov_b32 s0, 0
	s_mov_b32 s2, -1
	s_waitcnt vmcnt(0)
	v_lshlrev_b32_e32 v3, 23, v2
	v_cmp_ne_u32_e32 vcc_lo, 0xff, v2
	s_delay_alu instid0(VALU_DEP_2) | instskip(SKIP_1) | instid1(VALU_DEP_2)
	v_cndmask_b32_e32 v3, 0x7f800001, v3, vcc_lo
	v_cmp_ne_u32_e32 vcc_lo, 0, v2
	v_cndmask_b32_e32 v43, 0x400000, v3, vcc_lo
	s_branch .LBB51_2065
.LBB51_2064:
	s_mov_b32 s0, -1
                                        ; implicit-def: $vgpr43
.LBB51_2065:
	s_mov_b32 s3, 0
.LBB51_2066:
	s_delay_alu instid0(SALU_CYCLE_1)
	s_and_b32 vcc_lo, exec_lo, s3
	s_cbranch_vccz .LBB51_2070
; %bb.2067:
	v_cmp_eq_u16_e64 s0, s46, 29
	s_delay_alu instid0(VALU_DEP_1)
	s_and_b32 vcc_lo, exec_lo, s0
	s_cbranch_vccz .LBB51_2069
; %bb.2068:
	global_load_b64 v[2:3], v[0:1], off
	s_mov_b32 s0, 0
	s_mov_b32 s2, -1
	s_mov_b32 s3, 0
	s_waitcnt vmcnt(0)
	v_clz_i32_u32_e32 v4, v3
	s_delay_alu instid0(VALU_DEP_1) | instskip(NEXT) | instid1(VALU_DEP_1)
	v_min_u32_e32 v4, 32, v4
	v_lshlrev_b64 v[2:3], v4, v[2:3]
	s_delay_alu instid0(VALU_DEP_1) | instskip(NEXT) | instid1(VALU_DEP_1)
	v_min_u32_e32 v2, 1, v2
	v_or_b32_e32 v2, v3, v2
	v_sub_nc_u32_e32 v3, 32, v4
	s_delay_alu instid0(VALU_DEP_2) | instskip(NEXT) | instid1(VALU_DEP_1)
	v_cvt_f32_u32_e32 v2, v2
	v_ldexp_f32 v43, v2, v3
	s_branch .LBB51_2071
.LBB51_2069:
	s_mov_b32 s0, -1
                                        ; implicit-def: $vgpr43
.LBB51_2070:
	s_mov_b32 s3, 0
.LBB51_2071:
	s_delay_alu instid0(SALU_CYCLE_1)
	s_and_b32 vcc_lo, exec_lo, s3
	s_cbranch_vccz .LBB51_2089
; %bb.2072:
	v_cmp_lt_i16_e64 s2, s46, 27
	s_delay_alu instid0(VALU_DEP_1)
	s_and_b32 vcc_lo, exec_lo, s2
	s_cbranch_vccnz .LBB51_2075
; %bb.2073:
	v_cmp_gt_i16_e64 s2, s46, 27
	s_delay_alu instid0(VALU_DEP_1)
	s_and_b32 vcc_lo, exec_lo, s2
	s_cbranch_vccz .LBB51_2076
; %bb.2074:
	global_load_b32 v2, v[0:1], off
	s_mov_b32 s2, 0
	s_waitcnt vmcnt(0)
	v_cvt_f32_u32_e32 v43, v2
	s_branch .LBB51_2077
.LBB51_2075:
	s_mov_b32 s2, -1
                                        ; implicit-def: $vgpr43
	s_branch .LBB51_2080
.LBB51_2076:
	s_mov_b32 s2, -1
                                        ; implicit-def: $vgpr43
.LBB51_2077:
	s_delay_alu instid0(SALU_CYCLE_1)
	s_and_not1_b32 vcc_lo, exec_lo, s2
	s_cbranch_vccnz .LBB51_2079
; %bb.2078:
	global_load_u16 v2, v[0:1], off
	s_waitcnt vmcnt(0)
	v_cvt_f32_u32_e32 v43, v2
.LBB51_2079:
	s_mov_b32 s2, 0
.LBB51_2080:
	s_delay_alu instid0(SALU_CYCLE_1)
	s_and_not1_b32 vcc_lo, exec_lo, s2
	s_cbranch_vccnz .LBB51_2088
; %bb.2081:
	global_load_u8 v2, v[0:1], off
	s_mov_b32 s2, 0
	s_mov_b32 s4, exec_lo
                                        ; implicit-def: $sgpr3
	s_waitcnt vmcnt(0)
	v_cmpx_lt_i16_e32 0x7f, v2
	s_xor_b32 s4, exec_lo, s4
	s_cbranch_execz .LBB51_2102
; %bb.2082:
	s_mov_b32 s2, -1
	s_mov_b32 s5, exec_lo
                                        ; implicit-def: $sgpr3
	v_cmpx_eq_u16_e32 0x80, v2
; %bb.2083:
	s_mov_b32 s3, 0x7f800001
	s_xor_b32 s2, exec_lo, -1
; %bb.2084:
	s_or_b32 exec_lo, exec_lo, s5
	s_delay_alu instid0(SALU_CYCLE_1)
	s_and_b32 s2, s2, exec_lo
	s_or_saveexec_b32 s4, s4
	v_mov_b32_e32 v43, s3
	s_xor_b32 exec_lo, exec_lo, s4
	s_cbranch_execnz .LBB51_2103
.LBB51_2085:
	s_or_b32 exec_lo, exec_lo, s4
	s_and_saveexec_b32 s3, s2
	s_cbranch_execz .LBB51_2087
.LBB51_2086:
	v_and_b32_e32 v3, 0xffff, v2
	v_lshlrev_b32_e32 v2, 24, v2
	s_delay_alu instid0(VALU_DEP_2) | instskip(NEXT) | instid1(VALU_DEP_2)
	v_and_b32_e32 v4, 7, v3
	v_and_b32_e32 v2, 0x80000000, v2
	s_delay_alu instid0(VALU_DEP_2) | instskip(NEXT) | instid1(VALU_DEP_1)
	v_clz_i32_u32_e32 v5, v4
	v_min_u32_e32 v5, 32, v5
	s_delay_alu instid0(VALU_DEP_1) | instskip(SKIP_1) | instid1(VALU_DEP_2)
	v_subrev_nc_u32_e32 v6, 28, v5
	v_sub_nc_u32_e32 v5, 29, v5
	v_lshlrev_b32_e32 v6, v6, v3
	v_bfe_u32 v3, v3, 3, 4
	s_delay_alu instid0(VALU_DEP_2) | instskip(NEXT) | instid1(VALU_DEP_2)
	v_and_b32_e32 v6, 7, v6
	v_cmp_eq_u32_e32 vcc_lo, 0, v3
	s_delay_alu instid0(VALU_DEP_2) | instskip(NEXT) | instid1(VALU_DEP_1)
	v_dual_cndmask_b32 v3, v3, v5 :: v_dual_cndmask_b32 v4, v4, v6
	v_lshl_add_u32 v3, v3, 23, 0x3b800000
	s_delay_alu instid0(VALU_DEP_2) | instskip(NEXT) | instid1(VALU_DEP_1)
	v_lshlrev_b32_e32 v4, 20, v4
	v_or3_b32 v43, v2, v3, v4
.LBB51_2087:
	s_or_b32 exec_lo, exec_lo, s3
.LBB51_2088:
	s_mov_b32 s2, -1
.LBB51_2089:
	s_mov_b32 s3, 0
.LBB51_2090:
	s_delay_alu instid0(SALU_CYCLE_1)
	s_and_b32 vcc_lo, exec_lo, s3
	s_cbranch_vccz .LBB51_2123
; %bb.2091:
	v_cmp_gt_i16_e64 s1, s46, 22
	s_delay_alu instid0(VALU_DEP_1)
	s_and_b32 vcc_lo, exec_lo, s1
	s_cbranch_vccz .LBB51_2101
; %bb.2092:
	v_cmp_lt_i16_e64 s1, s46, 24
	s_delay_alu instid0(VALU_DEP_1)
	s_and_b32 vcc_lo, exec_lo, s1
	s_cbranch_vccnz .LBB51_2104
; %bb.2093:
	v_cmp_gt_i16_e64 s1, s46, 24
	s_delay_alu instid0(VALU_DEP_1)
	s_and_b32 vcc_lo, exec_lo, s1
	s_cbranch_vccz .LBB51_2105
; %bb.2094:
	global_load_u8 v2, v[0:1], off
	s_mov_b32 s1, 0
	s_mov_b32 s3, exec_lo
                                        ; implicit-def: $sgpr2
	s_waitcnt vmcnt(0)
	v_cmpx_lt_i16_e32 0x7f, v2
	s_xor_b32 s3, exec_lo, s3
	s_cbranch_execz .LBB51_2117
; %bb.2095:
	s_mov_b32 s1, -1
	s_mov_b32 s4, exec_lo
                                        ; implicit-def: $sgpr2
	v_cmpx_eq_u16_e32 0x80, v2
; %bb.2096:
	s_mov_b32 s2, 0x7f800001
	s_xor_b32 s1, exec_lo, -1
; %bb.2097:
	s_or_b32 exec_lo, exec_lo, s4
	s_delay_alu instid0(SALU_CYCLE_1)
	s_and_b32 s1, s1, exec_lo
	s_or_saveexec_b32 s3, s3
	v_mov_b32_e32 v43, s2
	s_xor_b32 exec_lo, exec_lo, s3
	s_cbranch_execnz .LBB51_2118
.LBB51_2098:
	s_or_b32 exec_lo, exec_lo, s3
	s_and_saveexec_b32 s2, s1
	s_cbranch_execz .LBB51_2100
.LBB51_2099:
	v_and_b32_e32 v3, 0xffff, v2
	v_lshlrev_b32_e32 v2, 24, v2
	s_delay_alu instid0(VALU_DEP_2) | instskip(NEXT) | instid1(VALU_DEP_2)
	v_and_b32_e32 v4, 3, v3
	v_and_b32_e32 v2, 0x80000000, v2
	s_delay_alu instid0(VALU_DEP_2) | instskip(NEXT) | instid1(VALU_DEP_1)
	v_clz_i32_u32_e32 v5, v4
	v_min_u32_e32 v5, 32, v5
	s_delay_alu instid0(VALU_DEP_1) | instskip(SKIP_1) | instid1(VALU_DEP_2)
	v_subrev_nc_u32_e32 v6, 29, v5
	v_sub_nc_u32_e32 v5, 30, v5
	v_lshlrev_b32_e32 v6, v6, v3
	v_bfe_u32 v3, v3, 2, 5
	s_delay_alu instid0(VALU_DEP_2) | instskip(NEXT) | instid1(VALU_DEP_2)
	v_and_b32_e32 v6, 3, v6
	v_cmp_eq_u32_e32 vcc_lo, 0, v3
	s_delay_alu instid0(VALU_DEP_2) | instskip(NEXT) | instid1(VALU_DEP_1)
	v_dual_cndmask_b32 v3, v3, v5 :: v_dual_cndmask_b32 v4, v4, v6
	v_lshl_add_u32 v3, v3, 23, 0x37800000
	s_delay_alu instid0(VALU_DEP_2) | instskip(NEXT) | instid1(VALU_DEP_1)
	v_lshlrev_b32_e32 v4, 21, v4
	v_or3_b32 v43, v2, v3, v4
.LBB51_2100:
	s_or_b32 exec_lo, exec_lo, s2
	s_mov_b32 s1, 0
	s_branch .LBB51_2106
.LBB51_2101:
	s_mov_b32 s1, -1
                                        ; implicit-def: $vgpr43
	s_branch .LBB51_2112
.LBB51_2102:
	s_or_saveexec_b32 s4, s4
	v_mov_b32_e32 v43, s3
	s_xor_b32 exec_lo, exec_lo, s4
	s_cbranch_execz .LBB51_2085
.LBB51_2103:
	v_cmp_ne_u16_e32 vcc_lo, 0, v2
	v_mov_b32_e32 v43, 0
	s_and_not1_b32 s2, s2, exec_lo
	s_and_b32 s3, vcc_lo, exec_lo
	s_delay_alu instid0(SALU_CYCLE_1)
	s_or_b32 s2, s2, s3
	s_or_b32 exec_lo, exec_lo, s4
	s_and_saveexec_b32 s3, s2
	s_cbranch_execnz .LBB51_2086
	s_branch .LBB51_2087
.LBB51_2104:
	s_mov_b32 s1, -1
                                        ; implicit-def: $vgpr43
	s_branch .LBB51_2109
.LBB51_2105:
	s_mov_b32 s1, -1
                                        ; implicit-def: $vgpr43
.LBB51_2106:
	s_delay_alu instid0(SALU_CYCLE_1)
	s_and_b32 vcc_lo, exec_lo, s1
	s_cbranch_vccz .LBB51_2108
; %bb.2107:
	global_load_u8 v2, v[0:1], off
	s_waitcnt vmcnt(0)
	v_lshlrev_b32_e32 v2, 24, v2
	s_delay_alu instid0(VALU_DEP_1) | instskip(NEXT) | instid1(VALU_DEP_1)
	v_and_b32_e32 v3, 0x7f000000, v2
	v_clz_i32_u32_e32 v4, v3
	v_add_nc_u32_e32 v6, 0x1000000, v3
	v_cmp_ne_u32_e32 vcc_lo, 0, v3
	s_delay_alu instid0(VALU_DEP_3) | instskip(NEXT) | instid1(VALU_DEP_1)
	v_min_u32_e32 v4, 32, v4
	v_sub_nc_u32_e64 v4, v4, 4 clamp
	s_delay_alu instid0(VALU_DEP_1) | instskip(SKIP_1) | instid1(VALU_DEP_2)
	v_lshlrev_b32_e32 v5, v4, v3
	v_lshlrev_b32_e32 v4, 23, v4
	v_lshrrev_b32_e32 v5, 4, v5
	s_delay_alu instid0(VALU_DEP_1) | instskip(SKIP_1) | instid1(VALU_DEP_2)
	v_sub_nc_u32_e32 v4, v5, v4
	v_ashrrev_i32_e32 v5, 8, v6
	v_add_nc_u32_e32 v4, 0x3c000000, v4
	s_delay_alu instid0(VALU_DEP_1) | instskip(NEXT) | instid1(VALU_DEP_1)
	v_and_or_b32 v4, 0x7f800000, v5, v4
	v_cndmask_b32_e32 v3, 0, v4, vcc_lo
	s_delay_alu instid0(VALU_DEP_1)
	v_and_or_b32 v43, 0x80000000, v2, v3
.LBB51_2108:
	s_mov_b32 s1, 0
.LBB51_2109:
	s_delay_alu instid0(SALU_CYCLE_1)
	s_and_not1_b32 vcc_lo, exec_lo, s1
	s_cbranch_vccnz .LBB51_2111
; %bb.2110:
	global_load_u8 v2, v[0:1], off
	s_waitcnt vmcnt(0)
	v_lshlrev_b32_e32 v3, 25, v2
	v_lshlrev_b16 v2, 8, v2
	s_delay_alu instid0(VALU_DEP_2) | instskip(NEXT) | instid1(VALU_DEP_2)
	v_lshrrev_b32_e32 v4, 4, v3
	v_and_or_b32 v5, 0x7f00, v2, 0.5
	v_bfe_i32 v2, v2, 0, 16
	s_delay_alu instid0(VALU_DEP_3) | instskip(NEXT) | instid1(VALU_DEP_1)
	v_or_b32_e32 v4, 0x70000000, v4
	v_dual_add_f32 v5, -0.5, v5 :: v_dual_mul_f32 v4, 0x7800000, v4
	v_cmp_gt_u32_e32 vcc_lo, 0x8000000, v3
	s_delay_alu instid0(VALU_DEP_2) | instskip(NEXT) | instid1(VALU_DEP_1)
	v_cndmask_b32_e32 v3, v4, v5, vcc_lo
	v_and_or_b32 v43, 0x80000000, v2, v3
.LBB51_2111:
	s_mov_b32 s1, 0
	s_mov_b32 s2, -1
.LBB51_2112:
	s_and_not1_b32 vcc_lo, exec_lo, s1
	s_mov_b32 s1, 0
	s_cbranch_vccnz .LBB51_2123
; %bb.2113:
	v_cmp_gt_i16_e64 s1, s46, 14
	s_delay_alu instid0(VALU_DEP_1)
	s_and_b32 vcc_lo, exec_lo, s1
	s_cbranch_vccz .LBB51_2116
; %bb.2114:
	v_cmp_eq_u16_e64 s0, s46, 15
	s_delay_alu instid0(VALU_DEP_1)
	s_and_b32 vcc_lo, exec_lo, s0
	s_cbranch_vccz .LBB51_2119
; %bb.2115:
	global_load_u16 v2, v[0:1], off
	s_mov_b32 s0, 0
	s_mov_b32 s2, -1
	s_waitcnt vmcnt(0)
	v_lshlrev_b32_e32 v43, 16, v2
	s_branch .LBB51_2120
.LBB51_2116:
	s_mov_b32 s1, -1
                                        ; implicit-def: $vgpr43
	s_branch .LBB51_2121
.LBB51_2117:
	s_or_saveexec_b32 s3, s3
	v_mov_b32_e32 v43, s2
	s_xor_b32 exec_lo, exec_lo, s3
	s_cbranch_execz .LBB51_2098
.LBB51_2118:
	v_cmp_ne_u16_e32 vcc_lo, 0, v2
	v_mov_b32_e32 v43, 0
	s_and_not1_b32 s1, s1, exec_lo
	s_and_b32 s2, vcc_lo, exec_lo
	s_delay_alu instid0(SALU_CYCLE_1)
	s_or_b32 s1, s1, s2
	s_or_b32 exec_lo, exec_lo, s3
	s_and_saveexec_b32 s2, s1
	s_cbranch_execnz .LBB51_2099
	s_branch .LBB51_2100
.LBB51_2119:
	s_mov_b32 s0, -1
                                        ; implicit-def: $vgpr43
.LBB51_2120:
	s_mov_b32 s1, 0
.LBB51_2121:
	s_delay_alu instid0(SALU_CYCLE_1)
	s_and_b32 vcc_lo, exec_lo, s1
	s_mov_b32 s1, 0
	s_cbranch_vccz .LBB51_2123
; %bb.2122:
	v_cmp_ne_u16_e64 s0, s46, 11
	s_mov_b32 s1, -1
                                        ; implicit-def: $vgpr43
.LBB51_2123:
	s_delay_alu instid0(VALU_DEP_1)
	s_and_b32 vcc_lo, exec_lo, s0
	s_cbranch_vccnz .LBB51_2193
; %bb.2124:
	s_and_not1_b32 vcc_lo, exec_lo, s1
	s_cbranch_vccnz .LBB51_2126
.LBB51_2125:
	global_load_u8 v2, v[0:1], off
	s_mov_b32 s2, -1
	s_waitcnt vmcnt(0)
	v_cmp_ne_u16_e32 vcc_lo, 0, v2
	v_cndmask_b32_e64 v43, 0, 1.0, vcc_lo
.LBB51_2126:
	s_mov_b32 s0, 0
.LBB51_2127:
	s_delay_alu instid0(SALU_CYCLE_1)
	s_and_b32 vcc_lo, exec_lo, s0
	s_cbranch_vccz .LBB51_2176
; %bb.2128:
	v_cmp_lt_i16_e64 s0, s46, 5
	s_delay_alu instid0(VALU_DEP_1)
	s_and_b32 vcc_lo, exec_lo, s0
	s_cbranch_vccnz .LBB51_2133
; %bb.2129:
	v_cmp_lt_i16_e64 s0, s46, 8
	s_delay_alu instid0(VALU_DEP_1)
	s_and_b32 vcc_lo, exec_lo, s0
	s_cbranch_vccnz .LBB51_2134
	;; [unrolled: 5-line block ×3, first 2 shown]
; %bb.2131:
	v_cmp_gt_i16_e64 s0, s46, 9
	s_delay_alu instid0(VALU_DEP_1)
	s_and_b32 vcc_lo, exec_lo, s0
	s_cbranch_vccz .LBB51_2136
; %bb.2132:
	global_load_b64 v[2:3], v[0:1], off
	s_mov_b32 s0, 0
	s_waitcnt vmcnt(0)
	v_cvt_f32_f64_e32 v43, v[2:3]
	s_branch .LBB51_2137
.LBB51_2133:
	s_mov_b32 s0, -1
                                        ; implicit-def: $vgpr43
	s_branch .LBB51_2155
.LBB51_2134:
	s_mov_b32 s0, -1
                                        ; implicit-def: $vgpr43
	s_branch .LBB51_2143
.LBB51_2135:
	s_mov_b32 s0, -1
                                        ; implicit-def: $vgpr43
	s_branch .LBB51_2140
.LBB51_2136:
	s_mov_b32 s0, -1
                                        ; implicit-def: $vgpr43
.LBB51_2137:
	s_delay_alu instid0(SALU_CYCLE_1)
	s_and_not1_b32 vcc_lo, exec_lo, s0
	s_cbranch_vccnz .LBB51_2139
; %bb.2138:
	global_load_b32 v43, v[0:1], off
.LBB51_2139:
	s_mov_b32 s0, 0
.LBB51_2140:
	s_delay_alu instid0(SALU_CYCLE_1)
	s_and_not1_b32 vcc_lo, exec_lo, s0
	s_cbranch_vccnz .LBB51_2142
; %bb.2141:
	global_load_b32 v2, v[0:1], off
	s_waitcnt vmcnt(0)
	v_cvt_f32_f16_e32 v43, v2
.LBB51_2142:
	s_mov_b32 s0, 0
.LBB51_2143:
	s_delay_alu instid0(SALU_CYCLE_1)
	s_and_not1_b32 vcc_lo, exec_lo, s0
	s_cbranch_vccnz .LBB51_2154
; %bb.2144:
	v_cmp_lt_i16_e64 s0, s46, 6
	s_delay_alu instid0(VALU_DEP_1)
	s_and_b32 vcc_lo, exec_lo, s0
	s_cbranch_vccnz .LBB51_2147
; %bb.2145:
	v_cmp_gt_i16_e64 s0, s46, 6
	s_delay_alu instid0(VALU_DEP_1)
	s_and_b32 vcc_lo, exec_lo, s0
	s_cbranch_vccz .LBB51_2148
; %bb.2146:
	global_load_b64 v[2:3], v[0:1], off
	s_mov_b32 s0, 0
	s_waitcnt vmcnt(0)
	v_cvt_f32_f64_e32 v43, v[2:3]
	s_branch .LBB51_2149
.LBB51_2147:
	s_mov_b32 s0, -1
                                        ; implicit-def: $vgpr43
	s_branch .LBB51_2152
.LBB51_2148:
	s_mov_b32 s0, -1
                                        ; implicit-def: $vgpr43
.LBB51_2149:
	s_delay_alu instid0(SALU_CYCLE_1)
	s_and_not1_b32 vcc_lo, exec_lo, s0
	s_cbranch_vccnz .LBB51_2151
; %bb.2150:
	global_load_b32 v43, v[0:1], off
.LBB51_2151:
	s_mov_b32 s0, 0
.LBB51_2152:
	s_delay_alu instid0(SALU_CYCLE_1)
	s_and_not1_b32 vcc_lo, exec_lo, s0
	s_cbranch_vccnz .LBB51_2154
; %bb.2153:
	global_load_u16 v2, v[0:1], off
	s_waitcnt vmcnt(0)
	v_cvt_f32_f16_e32 v43, v2
.LBB51_2154:
	s_mov_b32 s0, 0
.LBB51_2155:
	s_delay_alu instid0(SALU_CYCLE_1)
	s_and_not1_b32 vcc_lo, exec_lo, s0
	s_cbranch_vccnz .LBB51_2175
; %bb.2156:
	v_cmp_lt_i16_e64 s0, s46, 2
	s_delay_alu instid0(VALU_DEP_1)
	s_and_b32 vcc_lo, exec_lo, s0
	s_cbranch_vccnz .LBB51_2160
; %bb.2157:
	v_cmp_lt_i16_e64 s0, s46, 3
	s_delay_alu instid0(VALU_DEP_1)
	s_and_b32 vcc_lo, exec_lo, s0
	s_cbranch_vccnz .LBB51_2161
; %bb.2158:
	v_cmp_gt_i16_e64 s0, s46, 3
	s_delay_alu instid0(VALU_DEP_1)
	s_and_b32 vcc_lo, exec_lo, s0
	s_cbranch_vccz .LBB51_2162
; %bb.2159:
	global_load_b64 v[2:3], v[0:1], off
	s_mov_b32 s0, 0
	s_waitcnt vmcnt(0)
	v_xor_b32_e32 v4, v2, v3
	v_cls_i32_e32 v5, v3
	s_delay_alu instid0(VALU_DEP_2) | instskip(NEXT) | instid1(VALU_DEP_2)
	v_ashrrev_i32_e32 v4, 31, v4
	v_add_nc_u32_e32 v5, -1, v5
	s_delay_alu instid0(VALU_DEP_2) | instskip(NEXT) | instid1(VALU_DEP_1)
	v_add_nc_u32_e32 v4, 32, v4
	v_min_u32_e32 v4, v5, v4
	s_delay_alu instid0(VALU_DEP_1) | instskip(NEXT) | instid1(VALU_DEP_1)
	v_lshlrev_b64 v[2:3], v4, v[2:3]
	v_min_u32_e32 v2, 1, v2
	s_delay_alu instid0(VALU_DEP_1) | instskip(SKIP_1) | instid1(VALU_DEP_2)
	v_or_b32_e32 v2, v3, v2
	v_sub_nc_u32_e32 v3, 32, v4
	v_cvt_f32_i32_e32 v2, v2
	s_delay_alu instid0(VALU_DEP_1)
	v_ldexp_f32 v43, v2, v3
	s_branch .LBB51_2163
.LBB51_2160:
	s_mov_b32 s0, -1
                                        ; implicit-def: $vgpr43
	s_branch .LBB51_2169
.LBB51_2161:
	s_mov_b32 s0, -1
                                        ; implicit-def: $vgpr43
	s_branch .LBB51_2166
.LBB51_2162:
	s_mov_b32 s0, -1
                                        ; implicit-def: $vgpr43
.LBB51_2163:
	s_delay_alu instid0(SALU_CYCLE_1)
	s_and_not1_b32 vcc_lo, exec_lo, s0
	s_cbranch_vccnz .LBB51_2165
; %bb.2164:
	global_load_b32 v2, v[0:1], off
	s_waitcnt vmcnt(0)
	v_cvt_f32_i32_e32 v43, v2
.LBB51_2165:
	s_mov_b32 s0, 0
.LBB51_2166:
	s_delay_alu instid0(SALU_CYCLE_1)
	s_and_not1_b32 vcc_lo, exec_lo, s0
	s_cbranch_vccnz .LBB51_2168
; %bb.2167:
	global_load_i16 v2, v[0:1], off
	s_waitcnt vmcnt(0)
	v_cvt_f32_i32_e32 v43, v2
.LBB51_2168:
	s_mov_b32 s0, 0
.LBB51_2169:
	s_delay_alu instid0(SALU_CYCLE_1)
	s_and_not1_b32 vcc_lo, exec_lo, s0
	s_cbranch_vccnz .LBB51_2175
; %bb.2170:
	v_cmp_gt_i16_e64 s0, s46, 0
	s_delay_alu instid0(VALU_DEP_1)
	s_and_b32 vcc_lo, exec_lo, s0
	s_mov_b32 s0, 0
	s_cbranch_vccz .LBB51_2172
; %bb.2171:
	global_load_i8 v2, v[0:1], off
	s_waitcnt vmcnt(0)
	v_cvt_f32_i32_e32 v43, v2
	s_branch .LBB51_2173
.LBB51_2172:
	s_mov_b32 s0, -1
                                        ; implicit-def: $vgpr43
.LBB51_2173:
	s_delay_alu instid0(SALU_CYCLE_1)
	s_and_not1_b32 vcc_lo, exec_lo, s0
	s_cbranch_vccnz .LBB51_2175
; %bb.2174:
	global_load_u8 v0, v[0:1], off
	s_waitcnt vmcnt(0)
	v_cvt_f32_ubyte0_e32 v43, v0
.LBB51_2175:
	s_mov_b32 s2, -1
.LBB51_2176:
	s_delay_alu instid0(SALU_CYCLE_1)
	s_and_not1_b32 vcc_lo, exec_lo, s2
	s_cbranch_vccnz .LBB51_2727
; %bb.2177:
	s_and_b32 vcc_lo, exec_lo, s47
	s_cbranch_vccz .LBB51_2179
; %bb.2178:
	s_waitcnt vmcnt(0)
	s_delay_alu instid0(VALU_DEP_1) | instskip(SKIP_3) | instid1(SALU_CYCLE_1)
	v_dual_mov_b32 v0, v40 :: v_dual_mov_b32 v1, v43
	s_getpc_b64 s[0:1]
	s_add_u32 s0, s0, _ZN12_GLOBAL__N_111calc_igammaIfEET_S1_S1_@rel32@lo+4
	s_addc_u32 s1, s1, _ZN12_GLOBAL__N_111calc_igammaIfEET_S1_S1_@rel32@hi+12
	s_swappc_b64 s[30:31], s[0:1]
	v_mov_b32_e32 v44, v0
	s_mov_b32 s0, 0
	s_branch .LBB51_2180
.LBB51_2179:
	s_mov_b32 s0, -1
                                        ; implicit-def: $vgpr44
.LBB51_2180:
	s_delay_alu instid0(SALU_CYCLE_1)
	s_and_not1_b32 vcc_lo, exec_lo, s0
	s_cbranch_vccnz .LBB51_2182
; %bb.2181:
	s_waitcnt vmcnt(0)
	s_delay_alu instid0(VALU_DEP_1) | instskip(SKIP_3) | instid1(SALU_CYCLE_1)
	v_dual_mov_b32 v0, v40 :: v_dual_mov_b32 v1, v43
	s_getpc_b64 s[0:1]
	s_add_u32 s0, s0, _ZN12_GLOBAL__N_112calc_igammacIfEET_S1_S1_@rel32@lo+4
	s_addc_u32 s1, s1, _ZN12_GLOBAL__N_112calc_igammacIfEET_S1_S1_@rel32@hi+12
	s_swappc_b64 s[30:31], s[0:1]
	v_mov_b32_e32 v44, v0
.LBB51_2182:
	v_cmp_gt_i16_e32 vcc_lo, 11, v47
	v_add_co_u32 v0, s0, s38, v61
	s_delay_alu instid0(VALU_DEP_1)
	v_add_co_ci_u32_e64 v1, null, s39, 0, s0
	s_mov_b32 s2, 0
	s_cbranch_vccnz .LBB51_2189
; %bb.2183:
	v_cmp_lt_i16_e32 vcc_lo, 25, v47
	s_mov_b32 s1, 0
	s_cbranch_vccz .LBB51_2190
; %bb.2184:
	v_cmp_lt_i16_e32 vcc_lo, 28, v47
	s_cbranch_vccz .LBB51_2191
; %bb.2185:
	v_cmp_lt_i16_e32 vcc_lo, 43, v47
	;; [unrolled: 3-line block ×3, first 2 shown]
	s_cbranch_vccz .LBB51_2195
; %bb.2187:
	v_cmp_eq_u16_e32 vcc_lo, 46, v47
	s_mov_b32 s3, 0
	s_cbranch_vccz .LBB51_2198
; %bb.2188:
	global_load_b32 v2, v[0:1], off
	s_mov_b32 s0, 0
	s_mov_b32 s2, -1
	s_waitcnt vmcnt(0)
	v_lshlrev_b32_e32 v40, 16, v2
	s_branch .LBB51_2200
.LBB51_2189:
	s_mov_b32 s0, -1
                                        ; implicit-def: $vgpr40
	s_branch .LBB51_2266
.LBB51_2190:
	s_mov_b32 s3, -1
	s_mov_b32 s0, 0
                                        ; implicit-def: $vgpr40
	s_branch .LBB51_2229
.LBB51_2191:
	s_mov_b32 s3, -1
	s_mov_b32 s0, 0
                                        ; implicit-def: $vgpr40
	s_branch .LBB51_2210
.LBB51_2192:
	s_mov_b32 s3, -1
	s_mov_b32 s0, 0
                                        ; implicit-def: $vgpr40
	s_branch .LBB51_2205
.LBB51_2193:
	s_cbranch_execnz .LBB51_2196
; %bb.2194:
	s_or_b32 s44, s44, exec_lo
                                        ; implicit-def: $vgpr43
	s_cbranch_execz .LBB51_2125
	s_branch .LBB51_2126
.LBB51_2195:
	s_mov_b32 s3, -1
	s_mov_b32 s0, 0
	s_branch .LBB51_2199
.LBB51_2196:
	s_trap 2
	s_sendmsg_rtn_b32 s0, sendmsg(MSG_RTN_GET_DOORBELL)
	s_mov_b32 ttmp2, m0
	s_waitcnt lgkmcnt(0)
	s_and_b32 s0, s0, 0x3ff
	s_delay_alu instid0(SALU_CYCLE_1) | instskip(NEXT) | instid1(SALU_CYCLE_1)
	s_bitset1_b32 s0, 10
	s_mov_b32 m0, s0
	s_sendmsg sendmsg(MSG_INTERRUPT)
	s_mov_b32 m0, ttmp2
.LBB51_2197:                            ; =>This Inner Loop Header: Depth=1
	s_sethalt 5
	s_branch .LBB51_2197
.LBB51_2198:
	s_mov_b32 s0, -1
.LBB51_2199:
                                        ; implicit-def: $vgpr40
.LBB51_2200:
	s_and_b32 vcc_lo, exec_lo, s3
	s_cbranch_vccz .LBB51_2204
; %bb.2201:
	v_cmp_eq_u16_e32 vcc_lo, 44, v47
	s_cbranch_vccz .LBB51_2203
; %bb.2202:
	global_load_u8 v2, v[0:1], off
	s_mov_b32 s0, 0
	s_mov_b32 s2, -1
	s_waitcnt vmcnt(0)
	v_lshlrev_b32_e32 v3, 23, v2
	v_cmp_ne_u32_e32 vcc_lo, 0xff, v2
	s_delay_alu instid0(VALU_DEP_2) | instskip(SKIP_1) | instid1(VALU_DEP_2)
	v_cndmask_b32_e32 v3, 0x7f800001, v3, vcc_lo
	v_cmp_ne_u32_e32 vcc_lo, 0, v2
	v_cndmask_b32_e32 v40, 0x400000, v3, vcc_lo
	s_branch .LBB51_2204
.LBB51_2203:
	s_mov_b32 s0, -1
                                        ; implicit-def: $vgpr40
.LBB51_2204:
	s_mov_b32 s3, 0
.LBB51_2205:
	s_delay_alu instid0(SALU_CYCLE_1)
	s_and_b32 vcc_lo, exec_lo, s3
	s_cbranch_vccz .LBB51_2209
; %bb.2206:
	v_cmp_eq_u16_e32 vcc_lo, 29, v47
	s_cbranch_vccz .LBB51_2208
; %bb.2207:
	global_load_b64 v[2:3], v[0:1], off
	s_mov_b32 s0, 0
	s_mov_b32 s2, -1
	s_mov_b32 s3, 0
	s_waitcnt vmcnt(0)
	v_clz_i32_u32_e32 v4, v3
	s_delay_alu instid0(VALU_DEP_1) | instskip(NEXT) | instid1(VALU_DEP_1)
	v_min_u32_e32 v4, 32, v4
	v_lshlrev_b64 v[2:3], v4, v[2:3]
	s_delay_alu instid0(VALU_DEP_1) | instskip(NEXT) | instid1(VALU_DEP_1)
	v_min_u32_e32 v2, 1, v2
	v_or_b32_e32 v2, v3, v2
	v_sub_nc_u32_e32 v3, 32, v4
	s_delay_alu instid0(VALU_DEP_2) | instskip(NEXT) | instid1(VALU_DEP_1)
	v_cvt_f32_u32_e32 v2, v2
	v_ldexp_f32 v40, v2, v3
	s_branch .LBB51_2210
.LBB51_2208:
	s_mov_b32 s0, -1
                                        ; implicit-def: $vgpr40
.LBB51_2209:
	s_mov_b32 s3, 0
.LBB51_2210:
	s_delay_alu instid0(SALU_CYCLE_1)
	s_and_b32 vcc_lo, exec_lo, s3
	s_cbranch_vccz .LBB51_2228
; %bb.2211:
	v_cmp_gt_i16_e32 vcc_lo, 27, v47
	s_cbranch_vccnz .LBB51_2214
; %bb.2212:
	v_cmp_lt_i16_e32 vcc_lo, 27, v47
	s_cbranch_vccz .LBB51_2215
; %bb.2213:
	global_load_b32 v2, v[0:1], off
	s_mov_b32 s2, 0
	s_waitcnt vmcnt(0)
	v_cvt_f32_u32_e32 v40, v2
	s_branch .LBB51_2216
.LBB51_2214:
	s_mov_b32 s2, -1
                                        ; implicit-def: $vgpr40
	s_branch .LBB51_2219
.LBB51_2215:
	s_mov_b32 s2, -1
                                        ; implicit-def: $vgpr40
.LBB51_2216:
	s_delay_alu instid0(SALU_CYCLE_1)
	s_and_not1_b32 vcc_lo, exec_lo, s2
	s_cbranch_vccnz .LBB51_2218
; %bb.2217:
	global_load_u16 v2, v[0:1], off
	s_waitcnt vmcnt(0)
	v_cvt_f32_u32_e32 v40, v2
.LBB51_2218:
	s_mov_b32 s2, 0
.LBB51_2219:
	s_delay_alu instid0(SALU_CYCLE_1)
	s_and_not1_b32 vcc_lo, exec_lo, s2
	s_cbranch_vccnz .LBB51_2227
; %bb.2220:
	global_load_u8 v2, v[0:1], off
	s_mov_b32 s2, 0
	s_mov_b32 s4, exec_lo
                                        ; implicit-def: $sgpr3
	s_waitcnt vmcnt(0)
	v_cmpx_lt_i16_e32 0x7f, v2
	s_xor_b32 s4, exec_lo, s4
	s_cbranch_execz .LBB51_2241
; %bb.2221:
	s_mov_b32 s2, -1
	s_mov_b32 s5, exec_lo
                                        ; implicit-def: $sgpr3
	v_cmpx_eq_u16_e32 0x80, v2
; %bb.2222:
	s_mov_b32 s3, 0x7f800001
	s_xor_b32 s2, exec_lo, -1
; %bb.2223:
	s_or_b32 exec_lo, exec_lo, s5
	s_delay_alu instid0(SALU_CYCLE_1)
	s_and_b32 s2, s2, exec_lo
	s_or_saveexec_b32 s4, s4
	v_mov_b32_e32 v40, s3
	s_xor_b32 exec_lo, exec_lo, s4
	s_cbranch_execnz .LBB51_2242
.LBB51_2224:
	s_or_b32 exec_lo, exec_lo, s4
	s_and_saveexec_b32 s3, s2
	s_cbranch_execz .LBB51_2226
.LBB51_2225:
	v_and_b32_e32 v3, 0xffff, v2
	v_lshlrev_b32_e32 v2, 24, v2
	s_delay_alu instid0(VALU_DEP_2) | instskip(NEXT) | instid1(VALU_DEP_2)
	v_and_b32_e32 v4, 7, v3
	v_and_b32_e32 v2, 0x80000000, v2
	s_delay_alu instid0(VALU_DEP_2) | instskip(NEXT) | instid1(VALU_DEP_1)
	v_clz_i32_u32_e32 v5, v4
	v_min_u32_e32 v5, 32, v5
	s_delay_alu instid0(VALU_DEP_1) | instskip(SKIP_1) | instid1(VALU_DEP_2)
	v_subrev_nc_u32_e32 v6, 28, v5
	v_sub_nc_u32_e32 v5, 29, v5
	v_lshlrev_b32_e32 v6, v6, v3
	v_bfe_u32 v3, v3, 3, 4
	s_delay_alu instid0(VALU_DEP_2) | instskip(NEXT) | instid1(VALU_DEP_2)
	v_and_b32_e32 v6, 7, v6
	v_cmp_eq_u32_e32 vcc_lo, 0, v3
	s_delay_alu instid0(VALU_DEP_2) | instskip(NEXT) | instid1(VALU_DEP_1)
	v_dual_cndmask_b32 v3, v3, v5 :: v_dual_cndmask_b32 v4, v4, v6
	v_lshl_add_u32 v3, v3, 23, 0x3b800000
	s_delay_alu instid0(VALU_DEP_2) | instskip(NEXT) | instid1(VALU_DEP_1)
	v_lshlrev_b32_e32 v4, 20, v4
	v_or3_b32 v40, v2, v3, v4
.LBB51_2226:
	s_or_b32 exec_lo, exec_lo, s3
.LBB51_2227:
	s_mov_b32 s2, -1
.LBB51_2228:
	s_mov_b32 s3, 0
.LBB51_2229:
	s_delay_alu instid0(SALU_CYCLE_1)
	s_and_b32 vcc_lo, exec_lo, s3
	s_cbranch_vccz .LBB51_2262
; %bb.2230:
	v_cmp_lt_i16_e32 vcc_lo, 22, v47
	s_cbranch_vccz .LBB51_2240
; %bb.2231:
	v_cmp_gt_i16_e32 vcc_lo, 24, v47
	s_cbranch_vccnz .LBB51_2243
; %bb.2232:
	v_cmp_lt_i16_e32 vcc_lo, 24, v47
	s_cbranch_vccz .LBB51_2244
; %bb.2233:
	global_load_u8 v2, v[0:1], off
	s_mov_b32 s3, exec_lo
                                        ; implicit-def: $sgpr2
	s_waitcnt vmcnt(0)
	v_cmpx_lt_i16_e32 0x7f, v2
	s_xor_b32 s3, exec_lo, s3
	s_cbranch_execz .LBB51_2256
; %bb.2234:
	s_mov_b32 s1, -1
	s_mov_b32 s4, exec_lo
                                        ; implicit-def: $sgpr2
	v_cmpx_eq_u16_e32 0x80, v2
; %bb.2235:
	s_mov_b32 s2, 0x7f800001
	s_xor_b32 s1, exec_lo, -1
; %bb.2236:
	s_or_b32 exec_lo, exec_lo, s4
	s_delay_alu instid0(SALU_CYCLE_1)
	s_and_b32 s1, s1, exec_lo
	s_or_saveexec_b32 s3, s3
	v_mov_b32_e32 v40, s2
	s_xor_b32 exec_lo, exec_lo, s3
	s_cbranch_execnz .LBB51_2257
.LBB51_2237:
	s_or_b32 exec_lo, exec_lo, s3
	s_and_saveexec_b32 s2, s1
	s_cbranch_execz .LBB51_2239
.LBB51_2238:
	v_and_b32_e32 v3, 0xffff, v2
	v_lshlrev_b32_e32 v2, 24, v2
	s_delay_alu instid0(VALU_DEP_2) | instskip(NEXT) | instid1(VALU_DEP_2)
	v_and_b32_e32 v4, 3, v3
	v_and_b32_e32 v2, 0x80000000, v2
	s_delay_alu instid0(VALU_DEP_2) | instskip(NEXT) | instid1(VALU_DEP_1)
	v_clz_i32_u32_e32 v5, v4
	v_min_u32_e32 v5, 32, v5
	s_delay_alu instid0(VALU_DEP_1) | instskip(SKIP_1) | instid1(VALU_DEP_2)
	v_subrev_nc_u32_e32 v6, 29, v5
	v_sub_nc_u32_e32 v5, 30, v5
	v_lshlrev_b32_e32 v6, v6, v3
	v_bfe_u32 v3, v3, 2, 5
	s_delay_alu instid0(VALU_DEP_2) | instskip(NEXT) | instid1(VALU_DEP_2)
	v_and_b32_e32 v6, 3, v6
	v_cmp_eq_u32_e32 vcc_lo, 0, v3
	s_delay_alu instid0(VALU_DEP_2) | instskip(NEXT) | instid1(VALU_DEP_1)
	v_dual_cndmask_b32 v3, v3, v5 :: v_dual_cndmask_b32 v4, v4, v6
	v_lshl_add_u32 v3, v3, 23, 0x37800000
	s_delay_alu instid0(VALU_DEP_2) | instskip(NEXT) | instid1(VALU_DEP_1)
	v_lshlrev_b32_e32 v4, 21, v4
	v_or3_b32 v40, v2, v3, v4
.LBB51_2239:
	s_or_b32 exec_lo, exec_lo, s2
	s_mov_b32 s1, 0
	s_branch .LBB51_2245
.LBB51_2240:
	s_mov_b32 s1, -1
                                        ; implicit-def: $vgpr40
	s_branch .LBB51_2251
.LBB51_2241:
	s_or_saveexec_b32 s4, s4
	v_mov_b32_e32 v40, s3
	s_xor_b32 exec_lo, exec_lo, s4
	s_cbranch_execz .LBB51_2224
.LBB51_2242:
	v_cmp_ne_u16_e32 vcc_lo, 0, v2
	v_mov_b32_e32 v40, 0
	s_and_not1_b32 s2, s2, exec_lo
	s_and_b32 s3, vcc_lo, exec_lo
	s_delay_alu instid0(SALU_CYCLE_1)
	s_or_b32 s2, s2, s3
	s_or_b32 exec_lo, exec_lo, s4
	s_and_saveexec_b32 s3, s2
	s_cbranch_execnz .LBB51_2225
	s_branch .LBB51_2226
.LBB51_2243:
	s_mov_b32 s1, -1
                                        ; implicit-def: $vgpr40
	s_branch .LBB51_2248
.LBB51_2244:
	s_mov_b32 s1, -1
                                        ; implicit-def: $vgpr40
.LBB51_2245:
	s_delay_alu instid0(SALU_CYCLE_1)
	s_and_b32 vcc_lo, exec_lo, s1
	s_cbranch_vccz .LBB51_2247
; %bb.2246:
	global_load_u8 v2, v[0:1], off
	s_waitcnt vmcnt(0)
	v_lshlrev_b32_e32 v2, 24, v2
	s_delay_alu instid0(VALU_DEP_1) | instskip(NEXT) | instid1(VALU_DEP_1)
	v_and_b32_e32 v3, 0x7f000000, v2
	v_clz_i32_u32_e32 v4, v3
	v_add_nc_u32_e32 v6, 0x1000000, v3
	v_cmp_ne_u32_e32 vcc_lo, 0, v3
	s_delay_alu instid0(VALU_DEP_3) | instskip(NEXT) | instid1(VALU_DEP_1)
	v_min_u32_e32 v4, 32, v4
	v_sub_nc_u32_e64 v4, v4, 4 clamp
	s_delay_alu instid0(VALU_DEP_1) | instskip(SKIP_1) | instid1(VALU_DEP_2)
	v_lshlrev_b32_e32 v5, v4, v3
	v_lshlrev_b32_e32 v4, 23, v4
	v_lshrrev_b32_e32 v5, 4, v5
	s_delay_alu instid0(VALU_DEP_1) | instskip(SKIP_1) | instid1(VALU_DEP_2)
	v_sub_nc_u32_e32 v4, v5, v4
	v_ashrrev_i32_e32 v5, 8, v6
	v_add_nc_u32_e32 v4, 0x3c000000, v4
	s_delay_alu instid0(VALU_DEP_1) | instskip(NEXT) | instid1(VALU_DEP_1)
	v_and_or_b32 v4, 0x7f800000, v5, v4
	v_cndmask_b32_e32 v3, 0, v4, vcc_lo
	s_delay_alu instid0(VALU_DEP_1)
	v_and_or_b32 v40, 0x80000000, v2, v3
.LBB51_2247:
	s_mov_b32 s1, 0
.LBB51_2248:
	s_delay_alu instid0(SALU_CYCLE_1)
	s_and_not1_b32 vcc_lo, exec_lo, s1
	s_cbranch_vccnz .LBB51_2250
; %bb.2249:
	global_load_u8 v2, v[0:1], off
	s_waitcnt vmcnt(0)
	v_lshlrev_b32_e32 v3, 25, v2
	v_lshlrev_b16 v2, 8, v2
	s_delay_alu instid0(VALU_DEP_2) | instskip(NEXT) | instid1(VALU_DEP_2)
	v_lshrrev_b32_e32 v4, 4, v3
	v_and_or_b32 v5, 0x7f00, v2, 0.5
	v_bfe_i32 v2, v2, 0, 16
	s_delay_alu instid0(VALU_DEP_3) | instskip(NEXT) | instid1(VALU_DEP_1)
	v_or_b32_e32 v4, 0x70000000, v4
	v_dual_add_f32 v5, -0.5, v5 :: v_dual_mul_f32 v4, 0x7800000, v4
	v_cmp_gt_u32_e32 vcc_lo, 0x8000000, v3
	s_delay_alu instid0(VALU_DEP_2) | instskip(NEXT) | instid1(VALU_DEP_1)
	v_cndmask_b32_e32 v3, v4, v5, vcc_lo
	v_and_or_b32 v40, 0x80000000, v2, v3
.LBB51_2250:
	s_mov_b32 s1, 0
	s_mov_b32 s2, -1
.LBB51_2251:
	s_and_not1_b32 vcc_lo, exec_lo, s1
	s_mov_b32 s1, 0
	s_cbranch_vccnz .LBB51_2262
; %bb.2252:
	v_cmp_lt_i16_e32 vcc_lo, 14, v47
	s_cbranch_vccz .LBB51_2255
; %bb.2253:
	v_cmp_eq_u16_e32 vcc_lo, 15, v47
	s_cbranch_vccz .LBB51_2258
; %bb.2254:
	global_load_u16 v2, v[0:1], off
	s_mov_b32 s0, 0
	s_mov_b32 s2, -1
	s_waitcnt vmcnt(0)
	v_lshlrev_b32_e32 v40, 16, v2
	s_branch .LBB51_2260
.LBB51_2255:
	s_mov_b32 s1, -1
	s_branch .LBB51_2259
.LBB51_2256:
	s_or_saveexec_b32 s3, s3
	v_mov_b32_e32 v40, s2
	s_xor_b32 exec_lo, exec_lo, s3
	s_cbranch_execz .LBB51_2237
.LBB51_2257:
	v_cmp_ne_u16_e32 vcc_lo, 0, v2
	v_mov_b32_e32 v40, 0
	s_and_not1_b32 s1, s1, exec_lo
	s_and_b32 s2, vcc_lo, exec_lo
	s_delay_alu instid0(SALU_CYCLE_1)
	s_or_b32 s1, s1, s2
	s_or_b32 exec_lo, exec_lo, s3
	s_and_saveexec_b32 s2, s1
	s_cbranch_execnz .LBB51_2238
	s_branch .LBB51_2239
.LBB51_2258:
	s_mov_b32 s0, -1
.LBB51_2259:
                                        ; implicit-def: $vgpr40
.LBB51_2260:
	s_and_b32 vcc_lo, exec_lo, s1
	s_mov_b32 s1, 0
	s_cbranch_vccz .LBB51_2262
; %bb.2261:
	v_cmp_ne_u16_e64 s0, 11, v47
	s_mov_b32 s1, -1
                                        ; implicit-def: $vgpr40
.LBB51_2262:
	s_delay_alu instid0(VALU_DEP_1)
	s_and_b32 vcc_lo, exec_lo, s0
	s_cbranch_vccnz .LBB51_2327
; %bb.2263:
	s_and_not1_b32 vcc_lo, exec_lo, s1
	s_cbranch_vccnz .LBB51_2265
.LBB51_2264:
	global_load_u8 v2, v[0:1], off
	s_mov_b32 s2, -1
	s_waitcnt vmcnt(0)
	v_cmp_ne_u16_e32 vcc_lo, 0, v2
	v_cndmask_b32_e64 v40, 0, 1.0, vcc_lo
.LBB51_2265:
	s_mov_b32 s0, 0
.LBB51_2266:
	s_delay_alu instid0(SALU_CYCLE_1)
	s_and_b32 vcc_lo, exec_lo, s0
	s_cbranch_vccz .LBB51_2315
; %bb.2267:
	v_cmp_gt_i16_e32 vcc_lo, 5, v47
	s_cbranch_vccnz .LBB51_2272
; %bb.2268:
	v_cmp_gt_i16_e32 vcc_lo, 8, v47
	s_cbranch_vccnz .LBB51_2273
	;; [unrolled: 3-line block ×3, first 2 shown]
; %bb.2270:
	v_cmp_lt_i16_e32 vcc_lo, 9, v47
	s_cbranch_vccz .LBB51_2275
; %bb.2271:
	global_load_b64 v[2:3], v[0:1], off
	s_mov_b32 s0, 0
	s_waitcnt vmcnt(0)
	v_cvt_f32_f64_e32 v40, v[2:3]
	s_branch .LBB51_2276
.LBB51_2272:
	s_mov_b32 s0, -1
                                        ; implicit-def: $vgpr40
	s_branch .LBB51_2294
.LBB51_2273:
	s_mov_b32 s0, -1
                                        ; implicit-def: $vgpr40
	s_branch .LBB51_2282
.LBB51_2274:
	s_mov_b32 s0, -1
                                        ; implicit-def: $vgpr40
	s_branch .LBB51_2279
.LBB51_2275:
	s_mov_b32 s0, -1
                                        ; implicit-def: $vgpr40
.LBB51_2276:
	s_delay_alu instid0(SALU_CYCLE_1)
	s_and_not1_b32 vcc_lo, exec_lo, s0
	s_cbranch_vccnz .LBB51_2278
; %bb.2277:
	global_load_b32 v40, v[0:1], off
.LBB51_2278:
	s_mov_b32 s0, 0
.LBB51_2279:
	s_delay_alu instid0(SALU_CYCLE_1)
	s_and_not1_b32 vcc_lo, exec_lo, s0
	s_cbranch_vccnz .LBB51_2281
; %bb.2280:
	global_load_b32 v2, v[0:1], off
	s_waitcnt vmcnt(0)
	v_cvt_f32_f16_e32 v40, v2
.LBB51_2281:
	s_mov_b32 s0, 0
.LBB51_2282:
	s_delay_alu instid0(SALU_CYCLE_1)
	s_and_not1_b32 vcc_lo, exec_lo, s0
	s_cbranch_vccnz .LBB51_2293
; %bb.2283:
	v_cmp_gt_i16_e32 vcc_lo, 6, v47
	s_cbranch_vccnz .LBB51_2286
; %bb.2284:
	v_cmp_lt_i16_e32 vcc_lo, 6, v47
	s_cbranch_vccz .LBB51_2287
; %bb.2285:
	global_load_b64 v[2:3], v[0:1], off
	s_mov_b32 s0, 0
	s_waitcnt vmcnt(0)
	v_cvt_f32_f64_e32 v40, v[2:3]
	s_branch .LBB51_2288
.LBB51_2286:
	s_mov_b32 s0, -1
                                        ; implicit-def: $vgpr40
	s_branch .LBB51_2291
.LBB51_2287:
	s_mov_b32 s0, -1
                                        ; implicit-def: $vgpr40
.LBB51_2288:
	s_delay_alu instid0(SALU_CYCLE_1)
	s_and_not1_b32 vcc_lo, exec_lo, s0
	s_cbranch_vccnz .LBB51_2290
; %bb.2289:
	global_load_b32 v40, v[0:1], off
.LBB51_2290:
	s_mov_b32 s0, 0
.LBB51_2291:
	s_delay_alu instid0(SALU_CYCLE_1)
	s_and_not1_b32 vcc_lo, exec_lo, s0
	s_cbranch_vccnz .LBB51_2293
; %bb.2292:
	global_load_u16 v2, v[0:1], off
	s_waitcnt vmcnt(0)
	v_cvt_f32_f16_e32 v40, v2
.LBB51_2293:
	s_mov_b32 s0, 0
.LBB51_2294:
	s_delay_alu instid0(SALU_CYCLE_1)
	s_and_not1_b32 vcc_lo, exec_lo, s0
	s_cbranch_vccnz .LBB51_2314
; %bb.2295:
	v_cmp_gt_i16_e32 vcc_lo, 2, v47
	s_cbranch_vccnz .LBB51_2299
; %bb.2296:
	v_cmp_gt_i16_e32 vcc_lo, 3, v47
	s_cbranch_vccnz .LBB51_2300
; %bb.2297:
	v_cmp_lt_i16_e32 vcc_lo, 3, v47
	s_cbranch_vccz .LBB51_2301
; %bb.2298:
	global_load_b64 v[2:3], v[0:1], off
	s_mov_b32 s0, 0
	s_waitcnt vmcnt(0)
	v_xor_b32_e32 v4, v2, v3
	v_cls_i32_e32 v5, v3
	s_delay_alu instid0(VALU_DEP_2) | instskip(NEXT) | instid1(VALU_DEP_2)
	v_ashrrev_i32_e32 v4, 31, v4
	v_add_nc_u32_e32 v5, -1, v5
	s_delay_alu instid0(VALU_DEP_2) | instskip(NEXT) | instid1(VALU_DEP_1)
	v_add_nc_u32_e32 v4, 32, v4
	v_min_u32_e32 v4, v5, v4
	s_delay_alu instid0(VALU_DEP_1) | instskip(NEXT) | instid1(VALU_DEP_1)
	v_lshlrev_b64 v[2:3], v4, v[2:3]
	v_min_u32_e32 v2, 1, v2
	s_delay_alu instid0(VALU_DEP_1) | instskip(SKIP_1) | instid1(VALU_DEP_2)
	v_or_b32_e32 v2, v3, v2
	v_sub_nc_u32_e32 v3, 32, v4
	v_cvt_f32_i32_e32 v2, v2
	s_delay_alu instid0(VALU_DEP_1)
	v_ldexp_f32 v40, v2, v3
	s_branch .LBB51_2302
.LBB51_2299:
	s_mov_b32 s0, -1
                                        ; implicit-def: $vgpr40
	s_branch .LBB51_2308
.LBB51_2300:
	s_mov_b32 s0, -1
                                        ; implicit-def: $vgpr40
	s_branch .LBB51_2305
.LBB51_2301:
	s_mov_b32 s0, -1
                                        ; implicit-def: $vgpr40
.LBB51_2302:
	s_delay_alu instid0(SALU_CYCLE_1)
	s_and_not1_b32 vcc_lo, exec_lo, s0
	s_cbranch_vccnz .LBB51_2304
; %bb.2303:
	global_load_b32 v2, v[0:1], off
	s_waitcnt vmcnt(0)
	v_cvt_f32_i32_e32 v40, v2
.LBB51_2304:
	s_mov_b32 s0, 0
.LBB51_2305:
	s_delay_alu instid0(SALU_CYCLE_1)
	s_and_not1_b32 vcc_lo, exec_lo, s0
	s_cbranch_vccnz .LBB51_2307
; %bb.2306:
	global_load_i16 v2, v[0:1], off
	s_waitcnt vmcnt(0)
	v_cvt_f32_i32_e32 v40, v2
.LBB51_2307:
	s_mov_b32 s0, 0
.LBB51_2308:
	s_delay_alu instid0(SALU_CYCLE_1)
	s_and_not1_b32 vcc_lo, exec_lo, s0
	s_cbranch_vccnz .LBB51_2314
; %bb.2309:
	v_cmp_lt_i16_e32 vcc_lo, 0, v47
	s_mov_b32 s0, 0
	s_cbranch_vccz .LBB51_2311
; %bb.2310:
	global_load_i8 v2, v[0:1], off
	s_waitcnt vmcnt(0)
	v_cvt_f32_i32_e32 v40, v2
	s_branch .LBB51_2312
.LBB51_2311:
	s_mov_b32 s0, -1
                                        ; implicit-def: $vgpr40
.LBB51_2312:
	s_delay_alu instid0(SALU_CYCLE_1)
	s_and_not1_b32 vcc_lo, exec_lo, s0
	s_cbranch_vccnz .LBB51_2314
; %bb.2313:
	global_load_u8 v0, v[0:1], off
	s_waitcnt vmcnt(0)
	v_cvt_f32_ubyte0_e32 v40, v0
.LBB51_2314:
	s_mov_b32 s2, -1
.LBB51_2315:
	s_delay_alu instid0(SALU_CYCLE_1)
	s_and_not1_b32 vcc_lo, exec_lo, s2
	s_cbranch_vccnz .LBB51_2727
; %bb.2316:
	v_cmp_lt_i16_e64 s0, s46, 11
	v_add_co_u32 v0, s1, s40, v46
	s_delay_alu instid0(VALU_DEP_1) | instskip(NEXT) | instid1(VALU_DEP_3)
	v_add_co_ci_u32_e64 v1, null, s41, 0, s1
	s_and_b32 vcc_lo, exec_lo, s0
	s_mov_b32 s2, 0
	s_cbranch_vccnz .LBB51_2323
; %bb.2317:
	v_cmp_gt_i16_e64 s0, s46, 25
	s_mov_b32 s1, 0
	s_delay_alu instid0(VALU_DEP_1)
	s_and_b32 vcc_lo, exec_lo, s0
	s_cbranch_vccz .LBB51_2324
; %bb.2318:
	v_cmp_gt_i16_e64 s0, s46, 28
	s_delay_alu instid0(VALU_DEP_1)
	s_and_b32 vcc_lo, exec_lo, s0
	s_cbranch_vccz .LBB51_2325
; %bb.2319:
	v_cmp_gt_i16_e64 s0, s46, 43
	;; [unrolled: 5-line block ×3, first 2 shown]
	s_delay_alu instid0(VALU_DEP_1)
	s_and_b32 vcc_lo, exec_lo, s0
	s_cbranch_vccz .LBB51_2329
; %bb.2321:
	v_cmp_eq_u16_e64 s0, s46, 46
	s_mov_b32 s3, 0
	s_delay_alu instid0(VALU_DEP_1)
	s_and_b32 vcc_lo, exec_lo, s0
	s_cbranch_vccz .LBB51_2334
; %bb.2322:
	global_load_b32 v2, v[0:1], off
	s_mov_b32 s0, 0
	s_mov_b32 s2, -1
	s_waitcnt vmcnt(0)
	v_lshlrev_b32_e32 v43, 16, v2
	s_branch .LBB51_2336
.LBB51_2323:
	s_mov_b32 s0, -1
                                        ; implicit-def: $vgpr43
	s_branch .LBB51_2402
.LBB51_2324:
	s_mov_b32 s3, -1
	s_mov_b32 s0, 0
                                        ; implicit-def: $vgpr43
	s_branch .LBB51_2365
.LBB51_2325:
	s_mov_b32 s3, -1
	s_mov_b32 s0, 0
                                        ; implicit-def: $vgpr43
	s_branch .LBB51_2346
.LBB51_2326:
	s_mov_b32 s3, -1
	s_mov_b32 s0, 0
                                        ; implicit-def: $vgpr43
	s_branch .LBB51_2341
.LBB51_2327:
	s_cbranch_execnz .LBB51_2330
; %bb.2328:
	s_or_b32 s44, s44, exec_lo
                                        ; implicit-def: $vgpr40
	s_cbranch_execz .LBB51_2264
	s_branch .LBB51_2265
.LBB51_2329:
	s_mov_b32 s3, -1
	s_mov_b32 s0, 0
	s_branch .LBB51_2335
.LBB51_2330:
	s_trap 2
	s_sendmsg_rtn_b32 s0, sendmsg(MSG_RTN_GET_DOORBELL)
	s_mov_b32 ttmp2, m0
	s_waitcnt lgkmcnt(0)
	s_and_b32 s0, s0, 0x3ff
	s_delay_alu instid0(SALU_CYCLE_1) | instskip(NEXT) | instid1(SALU_CYCLE_1)
	s_bitset1_b32 s0, 10
	s_mov_b32 m0, s0
	s_sendmsg sendmsg(MSG_INTERRUPT)
	s_mov_b32 m0, ttmp2
.LBB51_2331:                            ; =>This Inner Loop Header: Depth=1
	s_sethalt 5
	s_branch .LBB51_2331
.LBB51_2332:
	s_or_saveexec_b32 s5, s5
                                        ; implicit-def: $sgpr6
	s_delay_alu instid0(SALU_CYCLE_1)
	s_xor_b32 exec_lo, exec_lo, s5
	s_cbranch_execz .LBB51_1188
.LBB51_2333:
	v_add_f32_e64 v1, 0x42800000, |v0|
	s_and_not1_b32 s4, s4, exec_lo
	s_mov_b32 s6, 0
	s_delay_alu instid0(VALU_DEP_1) | instskip(NEXT) | instid1(VALU_DEP_1)
	v_and_b32_e32 v1, 0xff, v1
	v_cmp_ne_u32_e32 vcc_lo, 0, v1
	s_and_b32 s7, vcc_lo, exec_lo
	s_delay_alu instid0(SALU_CYCLE_1)
	s_or_b32 s4, s4, s7
	s_or_b32 exec_lo, exec_lo, s5
	v_mov_b32_e32 v5, s6
	s_and_saveexec_b32 s5, s4
	s_cbranch_execnz .LBB51_1189
	s_branch .LBB51_1190
.LBB51_2334:
	s_mov_b32 s0, -1
.LBB51_2335:
                                        ; implicit-def: $vgpr43
.LBB51_2336:
	s_and_b32 vcc_lo, exec_lo, s3
	s_cbranch_vccz .LBB51_2340
; %bb.2337:
	v_cmp_eq_u16_e64 s0, s46, 44
	s_delay_alu instid0(VALU_DEP_1)
	s_and_b32 vcc_lo, exec_lo, s0
	s_cbranch_vccz .LBB51_2339
; %bb.2338:
	global_load_u8 v2, v[0:1], off
	s_mov_b32 s0, 0
	s_mov_b32 s2, -1
	s_waitcnt vmcnt(0)
	v_lshlrev_b32_e32 v3, 23, v2
	v_cmp_ne_u32_e32 vcc_lo, 0xff, v2
	s_delay_alu instid0(VALU_DEP_2) | instskip(SKIP_1) | instid1(VALU_DEP_2)
	v_cndmask_b32_e32 v3, 0x7f800001, v3, vcc_lo
	v_cmp_ne_u32_e32 vcc_lo, 0, v2
	v_cndmask_b32_e32 v43, 0x400000, v3, vcc_lo
	s_branch .LBB51_2340
.LBB51_2339:
	s_mov_b32 s0, -1
                                        ; implicit-def: $vgpr43
.LBB51_2340:
	s_mov_b32 s3, 0
.LBB51_2341:
	s_delay_alu instid0(SALU_CYCLE_1)
	s_and_b32 vcc_lo, exec_lo, s3
	s_cbranch_vccz .LBB51_2345
; %bb.2342:
	v_cmp_eq_u16_e64 s0, s46, 29
	s_delay_alu instid0(VALU_DEP_1)
	s_and_b32 vcc_lo, exec_lo, s0
	s_cbranch_vccz .LBB51_2344
; %bb.2343:
	global_load_b64 v[2:3], v[0:1], off
	s_mov_b32 s0, 0
	s_mov_b32 s2, -1
	s_mov_b32 s3, 0
	s_waitcnt vmcnt(0)
	v_clz_i32_u32_e32 v4, v3
	s_delay_alu instid0(VALU_DEP_1) | instskip(NEXT) | instid1(VALU_DEP_1)
	v_min_u32_e32 v4, 32, v4
	v_lshlrev_b64 v[2:3], v4, v[2:3]
	s_delay_alu instid0(VALU_DEP_1) | instskip(NEXT) | instid1(VALU_DEP_1)
	v_min_u32_e32 v2, 1, v2
	v_or_b32_e32 v2, v3, v2
	v_sub_nc_u32_e32 v3, 32, v4
	s_delay_alu instid0(VALU_DEP_2) | instskip(NEXT) | instid1(VALU_DEP_1)
	v_cvt_f32_u32_e32 v2, v2
	v_ldexp_f32 v43, v2, v3
	s_branch .LBB51_2346
.LBB51_2344:
	s_mov_b32 s0, -1
                                        ; implicit-def: $vgpr43
.LBB51_2345:
	s_mov_b32 s3, 0
.LBB51_2346:
	s_delay_alu instid0(SALU_CYCLE_1)
	s_and_b32 vcc_lo, exec_lo, s3
	s_cbranch_vccz .LBB51_2364
; %bb.2347:
	v_cmp_lt_i16_e64 s2, s46, 27
	s_delay_alu instid0(VALU_DEP_1)
	s_and_b32 vcc_lo, exec_lo, s2
	s_cbranch_vccnz .LBB51_2350
; %bb.2348:
	v_cmp_gt_i16_e64 s2, s46, 27
	s_delay_alu instid0(VALU_DEP_1)
	s_and_b32 vcc_lo, exec_lo, s2
	s_cbranch_vccz .LBB51_2351
; %bb.2349:
	global_load_b32 v2, v[0:1], off
	s_mov_b32 s2, 0
	s_waitcnt vmcnt(0)
	v_cvt_f32_u32_e32 v43, v2
	s_branch .LBB51_2352
.LBB51_2350:
	s_mov_b32 s2, -1
                                        ; implicit-def: $vgpr43
	s_branch .LBB51_2355
.LBB51_2351:
	s_mov_b32 s2, -1
                                        ; implicit-def: $vgpr43
.LBB51_2352:
	s_delay_alu instid0(SALU_CYCLE_1)
	s_and_not1_b32 vcc_lo, exec_lo, s2
	s_cbranch_vccnz .LBB51_2354
; %bb.2353:
	global_load_u16 v2, v[0:1], off
	s_waitcnt vmcnt(0)
	v_cvt_f32_u32_e32 v43, v2
.LBB51_2354:
	s_mov_b32 s2, 0
.LBB51_2355:
	s_delay_alu instid0(SALU_CYCLE_1)
	s_and_not1_b32 vcc_lo, exec_lo, s2
	s_cbranch_vccnz .LBB51_2363
; %bb.2356:
	global_load_u8 v2, v[0:1], off
	s_mov_b32 s2, 0
	s_mov_b32 s4, exec_lo
                                        ; implicit-def: $sgpr3
	s_waitcnt vmcnt(0)
	v_cmpx_lt_i16_e32 0x7f, v2
	s_xor_b32 s4, exec_lo, s4
	s_cbranch_execz .LBB51_2377
; %bb.2357:
	s_mov_b32 s2, -1
	s_mov_b32 s5, exec_lo
                                        ; implicit-def: $sgpr3
	v_cmpx_eq_u16_e32 0x80, v2
; %bb.2358:
	s_mov_b32 s3, 0x7f800001
	s_xor_b32 s2, exec_lo, -1
; %bb.2359:
	s_or_b32 exec_lo, exec_lo, s5
	s_delay_alu instid0(SALU_CYCLE_1)
	s_and_b32 s2, s2, exec_lo
	s_or_saveexec_b32 s4, s4
	v_mov_b32_e32 v43, s3
	s_xor_b32 exec_lo, exec_lo, s4
	s_cbranch_execnz .LBB51_2378
.LBB51_2360:
	s_or_b32 exec_lo, exec_lo, s4
	s_and_saveexec_b32 s3, s2
	s_cbranch_execz .LBB51_2362
.LBB51_2361:
	v_and_b32_e32 v3, 0xffff, v2
	v_lshlrev_b32_e32 v2, 24, v2
	s_delay_alu instid0(VALU_DEP_2) | instskip(NEXT) | instid1(VALU_DEP_2)
	v_and_b32_e32 v4, 7, v3
	v_and_b32_e32 v2, 0x80000000, v2
	s_delay_alu instid0(VALU_DEP_2) | instskip(NEXT) | instid1(VALU_DEP_1)
	v_clz_i32_u32_e32 v5, v4
	v_min_u32_e32 v5, 32, v5
	s_delay_alu instid0(VALU_DEP_1) | instskip(SKIP_1) | instid1(VALU_DEP_2)
	v_subrev_nc_u32_e32 v6, 28, v5
	v_sub_nc_u32_e32 v5, 29, v5
	v_lshlrev_b32_e32 v6, v6, v3
	v_bfe_u32 v3, v3, 3, 4
	s_delay_alu instid0(VALU_DEP_2) | instskip(NEXT) | instid1(VALU_DEP_2)
	v_and_b32_e32 v6, 7, v6
	v_cmp_eq_u32_e32 vcc_lo, 0, v3
	s_delay_alu instid0(VALU_DEP_2) | instskip(NEXT) | instid1(VALU_DEP_1)
	v_dual_cndmask_b32 v3, v3, v5 :: v_dual_cndmask_b32 v4, v4, v6
	v_lshl_add_u32 v3, v3, 23, 0x3b800000
	s_delay_alu instid0(VALU_DEP_2) | instskip(NEXT) | instid1(VALU_DEP_1)
	v_lshlrev_b32_e32 v4, 20, v4
	v_or3_b32 v43, v2, v3, v4
.LBB51_2362:
	s_or_b32 exec_lo, exec_lo, s3
.LBB51_2363:
	s_mov_b32 s2, -1
.LBB51_2364:
	s_mov_b32 s3, 0
.LBB51_2365:
	s_delay_alu instid0(SALU_CYCLE_1)
	s_and_b32 vcc_lo, exec_lo, s3
	s_cbranch_vccz .LBB51_2398
; %bb.2366:
	v_cmp_gt_i16_e64 s1, s46, 22
	s_delay_alu instid0(VALU_DEP_1)
	s_and_b32 vcc_lo, exec_lo, s1
	s_cbranch_vccz .LBB51_2376
; %bb.2367:
	v_cmp_lt_i16_e64 s1, s46, 24
	s_delay_alu instid0(VALU_DEP_1)
	s_and_b32 vcc_lo, exec_lo, s1
	s_cbranch_vccnz .LBB51_2379
; %bb.2368:
	v_cmp_gt_i16_e64 s1, s46, 24
	s_delay_alu instid0(VALU_DEP_1)
	s_and_b32 vcc_lo, exec_lo, s1
	s_cbranch_vccz .LBB51_2380
; %bb.2369:
	global_load_u8 v2, v[0:1], off
	s_mov_b32 s1, 0
	s_mov_b32 s3, exec_lo
                                        ; implicit-def: $sgpr2
	s_waitcnt vmcnt(0)
	v_cmpx_lt_i16_e32 0x7f, v2
	s_xor_b32 s3, exec_lo, s3
	s_cbranch_execz .LBB51_2392
; %bb.2370:
	s_mov_b32 s1, -1
	s_mov_b32 s4, exec_lo
                                        ; implicit-def: $sgpr2
	v_cmpx_eq_u16_e32 0x80, v2
; %bb.2371:
	s_mov_b32 s2, 0x7f800001
	s_xor_b32 s1, exec_lo, -1
; %bb.2372:
	s_or_b32 exec_lo, exec_lo, s4
	s_delay_alu instid0(SALU_CYCLE_1)
	s_and_b32 s1, s1, exec_lo
	s_or_saveexec_b32 s3, s3
	v_mov_b32_e32 v43, s2
	s_xor_b32 exec_lo, exec_lo, s3
	s_cbranch_execnz .LBB51_2393
.LBB51_2373:
	s_or_b32 exec_lo, exec_lo, s3
	s_and_saveexec_b32 s2, s1
	s_cbranch_execz .LBB51_2375
.LBB51_2374:
	v_and_b32_e32 v3, 0xffff, v2
	v_lshlrev_b32_e32 v2, 24, v2
	s_delay_alu instid0(VALU_DEP_2) | instskip(NEXT) | instid1(VALU_DEP_2)
	v_and_b32_e32 v4, 3, v3
	v_and_b32_e32 v2, 0x80000000, v2
	s_delay_alu instid0(VALU_DEP_2) | instskip(NEXT) | instid1(VALU_DEP_1)
	v_clz_i32_u32_e32 v5, v4
	v_min_u32_e32 v5, 32, v5
	s_delay_alu instid0(VALU_DEP_1) | instskip(SKIP_1) | instid1(VALU_DEP_2)
	v_subrev_nc_u32_e32 v6, 29, v5
	v_sub_nc_u32_e32 v5, 30, v5
	v_lshlrev_b32_e32 v6, v6, v3
	v_bfe_u32 v3, v3, 2, 5
	s_delay_alu instid0(VALU_DEP_2) | instskip(NEXT) | instid1(VALU_DEP_2)
	v_and_b32_e32 v6, 3, v6
	v_cmp_eq_u32_e32 vcc_lo, 0, v3
	s_delay_alu instid0(VALU_DEP_2) | instskip(NEXT) | instid1(VALU_DEP_1)
	v_dual_cndmask_b32 v3, v3, v5 :: v_dual_cndmask_b32 v4, v4, v6
	v_lshl_add_u32 v3, v3, 23, 0x37800000
	s_delay_alu instid0(VALU_DEP_2) | instskip(NEXT) | instid1(VALU_DEP_1)
	v_lshlrev_b32_e32 v4, 21, v4
	v_or3_b32 v43, v2, v3, v4
.LBB51_2375:
	s_or_b32 exec_lo, exec_lo, s2
	s_mov_b32 s1, 0
	s_branch .LBB51_2381
.LBB51_2376:
	s_mov_b32 s1, -1
                                        ; implicit-def: $vgpr43
	s_branch .LBB51_2387
.LBB51_2377:
	s_or_saveexec_b32 s4, s4
	v_mov_b32_e32 v43, s3
	s_xor_b32 exec_lo, exec_lo, s4
	s_cbranch_execz .LBB51_2360
.LBB51_2378:
	v_cmp_ne_u16_e32 vcc_lo, 0, v2
	v_mov_b32_e32 v43, 0
	s_and_not1_b32 s2, s2, exec_lo
	s_and_b32 s3, vcc_lo, exec_lo
	s_delay_alu instid0(SALU_CYCLE_1)
	s_or_b32 s2, s2, s3
	s_or_b32 exec_lo, exec_lo, s4
	s_and_saveexec_b32 s3, s2
	s_cbranch_execnz .LBB51_2361
	s_branch .LBB51_2362
.LBB51_2379:
	s_mov_b32 s1, -1
                                        ; implicit-def: $vgpr43
	s_branch .LBB51_2384
.LBB51_2380:
	s_mov_b32 s1, -1
                                        ; implicit-def: $vgpr43
.LBB51_2381:
	s_delay_alu instid0(SALU_CYCLE_1)
	s_and_b32 vcc_lo, exec_lo, s1
	s_cbranch_vccz .LBB51_2383
; %bb.2382:
	global_load_u8 v2, v[0:1], off
	s_waitcnt vmcnt(0)
	v_lshlrev_b32_e32 v2, 24, v2
	s_delay_alu instid0(VALU_DEP_1) | instskip(NEXT) | instid1(VALU_DEP_1)
	v_and_b32_e32 v3, 0x7f000000, v2
	v_clz_i32_u32_e32 v4, v3
	v_add_nc_u32_e32 v6, 0x1000000, v3
	v_cmp_ne_u32_e32 vcc_lo, 0, v3
	s_delay_alu instid0(VALU_DEP_3) | instskip(NEXT) | instid1(VALU_DEP_1)
	v_min_u32_e32 v4, 32, v4
	v_sub_nc_u32_e64 v4, v4, 4 clamp
	s_delay_alu instid0(VALU_DEP_1) | instskip(SKIP_1) | instid1(VALU_DEP_2)
	v_lshlrev_b32_e32 v5, v4, v3
	v_lshlrev_b32_e32 v4, 23, v4
	v_lshrrev_b32_e32 v5, 4, v5
	s_delay_alu instid0(VALU_DEP_1) | instskip(SKIP_1) | instid1(VALU_DEP_2)
	v_sub_nc_u32_e32 v4, v5, v4
	v_ashrrev_i32_e32 v5, 8, v6
	v_add_nc_u32_e32 v4, 0x3c000000, v4
	s_delay_alu instid0(VALU_DEP_1) | instskip(NEXT) | instid1(VALU_DEP_1)
	v_and_or_b32 v4, 0x7f800000, v5, v4
	v_cndmask_b32_e32 v3, 0, v4, vcc_lo
	s_delay_alu instid0(VALU_DEP_1)
	v_and_or_b32 v43, 0x80000000, v2, v3
.LBB51_2383:
	s_mov_b32 s1, 0
.LBB51_2384:
	s_delay_alu instid0(SALU_CYCLE_1)
	s_and_not1_b32 vcc_lo, exec_lo, s1
	s_cbranch_vccnz .LBB51_2386
; %bb.2385:
	global_load_u8 v2, v[0:1], off
	s_waitcnt vmcnt(0)
	v_lshlrev_b32_e32 v3, 25, v2
	v_lshlrev_b16 v2, 8, v2
	s_delay_alu instid0(VALU_DEP_2) | instskip(NEXT) | instid1(VALU_DEP_2)
	v_lshrrev_b32_e32 v4, 4, v3
	v_and_or_b32 v5, 0x7f00, v2, 0.5
	v_bfe_i32 v2, v2, 0, 16
	s_delay_alu instid0(VALU_DEP_3) | instskip(NEXT) | instid1(VALU_DEP_1)
	v_or_b32_e32 v4, 0x70000000, v4
	v_dual_add_f32 v5, -0.5, v5 :: v_dual_mul_f32 v4, 0x7800000, v4
	v_cmp_gt_u32_e32 vcc_lo, 0x8000000, v3
	s_delay_alu instid0(VALU_DEP_2) | instskip(NEXT) | instid1(VALU_DEP_1)
	v_cndmask_b32_e32 v3, v4, v5, vcc_lo
	v_and_or_b32 v43, 0x80000000, v2, v3
.LBB51_2386:
	s_mov_b32 s1, 0
	s_mov_b32 s2, -1
.LBB51_2387:
	s_and_not1_b32 vcc_lo, exec_lo, s1
	s_mov_b32 s1, 0
	s_cbranch_vccnz .LBB51_2398
; %bb.2388:
	v_cmp_gt_i16_e64 s1, s46, 14
	s_delay_alu instid0(VALU_DEP_1)
	s_and_b32 vcc_lo, exec_lo, s1
	s_cbranch_vccz .LBB51_2391
; %bb.2389:
	v_cmp_eq_u16_e64 s0, s46, 15
	s_delay_alu instid0(VALU_DEP_1)
	s_and_b32 vcc_lo, exec_lo, s0
	s_cbranch_vccz .LBB51_2394
; %bb.2390:
	global_load_u16 v2, v[0:1], off
	s_mov_b32 s0, 0
	s_mov_b32 s2, -1
	s_waitcnt vmcnt(0)
	v_lshlrev_b32_e32 v43, 16, v2
	s_branch .LBB51_2395
.LBB51_2391:
	s_mov_b32 s1, -1
                                        ; implicit-def: $vgpr43
	s_branch .LBB51_2396
.LBB51_2392:
	s_or_saveexec_b32 s3, s3
	v_mov_b32_e32 v43, s2
	s_xor_b32 exec_lo, exec_lo, s3
	s_cbranch_execz .LBB51_2373
.LBB51_2393:
	v_cmp_ne_u16_e32 vcc_lo, 0, v2
	v_mov_b32_e32 v43, 0
	s_and_not1_b32 s1, s1, exec_lo
	s_and_b32 s2, vcc_lo, exec_lo
	s_delay_alu instid0(SALU_CYCLE_1)
	s_or_b32 s1, s1, s2
	s_or_b32 exec_lo, exec_lo, s3
	s_and_saveexec_b32 s2, s1
	s_cbranch_execnz .LBB51_2374
	s_branch .LBB51_2375
.LBB51_2394:
	s_mov_b32 s0, -1
                                        ; implicit-def: $vgpr43
.LBB51_2395:
	s_mov_b32 s1, 0
.LBB51_2396:
	s_delay_alu instid0(SALU_CYCLE_1)
	s_and_b32 vcc_lo, exec_lo, s1
	s_mov_b32 s1, 0
	s_cbranch_vccz .LBB51_2398
; %bb.2397:
	v_cmp_ne_u16_e64 s0, s46, 11
	s_mov_b32 s1, -1
                                        ; implicit-def: $vgpr43
.LBB51_2398:
	s_delay_alu instid0(VALU_DEP_1)
	s_and_b32 vcc_lo, exec_lo, s0
	s_cbranch_vccnz .LBB51_2468
; %bb.2399:
	s_and_not1_b32 vcc_lo, exec_lo, s1
	s_cbranch_vccnz .LBB51_2401
.LBB51_2400:
	global_load_u8 v2, v[0:1], off
	s_mov_b32 s2, -1
	s_waitcnt vmcnt(0)
	v_cmp_ne_u16_e32 vcc_lo, 0, v2
	v_cndmask_b32_e64 v43, 0, 1.0, vcc_lo
.LBB51_2401:
	s_mov_b32 s0, 0
.LBB51_2402:
	s_delay_alu instid0(SALU_CYCLE_1)
	s_and_b32 vcc_lo, exec_lo, s0
	s_cbranch_vccz .LBB51_2451
; %bb.2403:
	v_cmp_lt_i16_e64 s0, s46, 5
	s_delay_alu instid0(VALU_DEP_1)
	s_and_b32 vcc_lo, exec_lo, s0
	s_cbranch_vccnz .LBB51_2408
; %bb.2404:
	v_cmp_lt_i16_e64 s0, s46, 8
	s_delay_alu instid0(VALU_DEP_1)
	s_and_b32 vcc_lo, exec_lo, s0
	s_cbranch_vccnz .LBB51_2409
	;; [unrolled: 5-line block ×3, first 2 shown]
; %bb.2406:
	v_cmp_gt_i16_e64 s0, s46, 9
	s_delay_alu instid0(VALU_DEP_1)
	s_and_b32 vcc_lo, exec_lo, s0
	s_cbranch_vccz .LBB51_2411
; %bb.2407:
	global_load_b64 v[2:3], v[0:1], off
	s_mov_b32 s0, 0
	s_waitcnt vmcnt(0)
	v_cvt_f32_f64_e32 v43, v[2:3]
	s_branch .LBB51_2412
.LBB51_2408:
	s_mov_b32 s0, -1
                                        ; implicit-def: $vgpr43
	s_branch .LBB51_2430
.LBB51_2409:
	s_mov_b32 s0, -1
                                        ; implicit-def: $vgpr43
	s_branch .LBB51_2418
.LBB51_2410:
	s_mov_b32 s0, -1
                                        ; implicit-def: $vgpr43
	s_branch .LBB51_2415
.LBB51_2411:
	s_mov_b32 s0, -1
                                        ; implicit-def: $vgpr43
.LBB51_2412:
	s_delay_alu instid0(SALU_CYCLE_1)
	s_and_not1_b32 vcc_lo, exec_lo, s0
	s_cbranch_vccnz .LBB51_2414
; %bb.2413:
	global_load_b32 v43, v[0:1], off
.LBB51_2414:
	s_mov_b32 s0, 0
.LBB51_2415:
	s_delay_alu instid0(SALU_CYCLE_1)
	s_and_not1_b32 vcc_lo, exec_lo, s0
	s_cbranch_vccnz .LBB51_2417
; %bb.2416:
	global_load_b32 v2, v[0:1], off
	s_waitcnt vmcnt(0)
	v_cvt_f32_f16_e32 v43, v2
.LBB51_2417:
	s_mov_b32 s0, 0
.LBB51_2418:
	s_delay_alu instid0(SALU_CYCLE_1)
	s_and_not1_b32 vcc_lo, exec_lo, s0
	s_cbranch_vccnz .LBB51_2429
; %bb.2419:
	v_cmp_lt_i16_e64 s0, s46, 6
	s_delay_alu instid0(VALU_DEP_1)
	s_and_b32 vcc_lo, exec_lo, s0
	s_cbranch_vccnz .LBB51_2422
; %bb.2420:
	v_cmp_gt_i16_e64 s0, s46, 6
	s_delay_alu instid0(VALU_DEP_1)
	s_and_b32 vcc_lo, exec_lo, s0
	s_cbranch_vccz .LBB51_2423
; %bb.2421:
	global_load_b64 v[2:3], v[0:1], off
	s_mov_b32 s0, 0
	s_waitcnt vmcnt(0)
	v_cvt_f32_f64_e32 v43, v[2:3]
	s_branch .LBB51_2424
.LBB51_2422:
	s_mov_b32 s0, -1
                                        ; implicit-def: $vgpr43
	s_branch .LBB51_2427
.LBB51_2423:
	s_mov_b32 s0, -1
                                        ; implicit-def: $vgpr43
.LBB51_2424:
	s_delay_alu instid0(SALU_CYCLE_1)
	s_and_not1_b32 vcc_lo, exec_lo, s0
	s_cbranch_vccnz .LBB51_2426
; %bb.2425:
	global_load_b32 v43, v[0:1], off
.LBB51_2426:
	s_mov_b32 s0, 0
.LBB51_2427:
	s_delay_alu instid0(SALU_CYCLE_1)
	s_and_not1_b32 vcc_lo, exec_lo, s0
	s_cbranch_vccnz .LBB51_2429
; %bb.2428:
	global_load_u16 v2, v[0:1], off
	s_waitcnt vmcnt(0)
	v_cvt_f32_f16_e32 v43, v2
.LBB51_2429:
	s_mov_b32 s0, 0
.LBB51_2430:
	s_delay_alu instid0(SALU_CYCLE_1)
	s_and_not1_b32 vcc_lo, exec_lo, s0
	s_cbranch_vccnz .LBB51_2450
; %bb.2431:
	v_cmp_lt_i16_e64 s0, s46, 2
	s_delay_alu instid0(VALU_DEP_1)
	s_and_b32 vcc_lo, exec_lo, s0
	s_cbranch_vccnz .LBB51_2435
; %bb.2432:
	v_cmp_lt_i16_e64 s0, s46, 3
	s_delay_alu instid0(VALU_DEP_1)
	s_and_b32 vcc_lo, exec_lo, s0
	s_cbranch_vccnz .LBB51_2436
; %bb.2433:
	v_cmp_gt_i16_e64 s0, s46, 3
	s_delay_alu instid0(VALU_DEP_1)
	s_and_b32 vcc_lo, exec_lo, s0
	s_cbranch_vccz .LBB51_2437
; %bb.2434:
	global_load_b64 v[2:3], v[0:1], off
	s_mov_b32 s0, 0
	s_waitcnt vmcnt(0)
	v_xor_b32_e32 v4, v2, v3
	v_cls_i32_e32 v5, v3
	s_delay_alu instid0(VALU_DEP_2) | instskip(NEXT) | instid1(VALU_DEP_2)
	v_ashrrev_i32_e32 v4, 31, v4
	v_add_nc_u32_e32 v5, -1, v5
	s_delay_alu instid0(VALU_DEP_2) | instskip(NEXT) | instid1(VALU_DEP_1)
	v_add_nc_u32_e32 v4, 32, v4
	v_min_u32_e32 v4, v5, v4
	s_delay_alu instid0(VALU_DEP_1) | instskip(NEXT) | instid1(VALU_DEP_1)
	v_lshlrev_b64 v[2:3], v4, v[2:3]
	v_min_u32_e32 v2, 1, v2
	s_delay_alu instid0(VALU_DEP_1) | instskip(SKIP_1) | instid1(VALU_DEP_2)
	v_or_b32_e32 v2, v3, v2
	v_sub_nc_u32_e32 v3, 32, v4
	v_cvt_f32_i32_e32 v2, v2
	s_delay_alu instid0(VALU_DEP_1)
	v_ldexp_f32 v43, v2, v3
	s_branch .LBB51_2438
.LBB51_2435:
	s_mov_b32 s0, -1
                                        ; implicit-def: $vgpr43
	s_branch .LBB51_2444
.LBB51_2436:
	s_mov_b32 s0, -1
                                        ; implicit-def: $vgpr43
	s_branch .LBB51_2441
.LBB51_2437:
	s_mov_b32 s0, -1
                                        ; implicit-def: $vgpr43
.LBB51_2438:
	s_delay_alu instid0(SALU_CYCLE_1)
	s_and_not1_b32 vcc_lo, exec_lo, s0
	s_cbranch_vccnz .LBB51_2440
; %bb.2439:
	global_load_b32 v2, v[0:1], off
	s_waitcnt vmcnt(0)
	v_cvt_f32_i32_e32 v43, v2
.LBB51_2440:
	s_mov_b32 s0, 0
.LBB51_2441:
	s_delay_alu instid0(SALU_CYCLE_1)
	s_and_not1_b32 vcc_lo, exec_lo, s0
	s_cbranch_vccnz .LBB51_2443
; %bb.2442:
	global_load_i16 v2, v[0:1], off
	s_waitcnt vmcnt(0)
	v_cvt_f32_i32_e32 v43, v2
.LBB51_2443:
	s_mov_b32 s0, 0
.LBB51_2444:
	s_delay_alu instid0(SALU_CYCLE_1)
	s_and_not1_b32 vcc_lo, exec_lo, s0
	s_cbranch_vccnz .LBB51_2450
; %bb.2445:
	v_cmp_gt_i16_e64 s0, s46, 0
	s_delay_alu instid0(VALU_DEP_1)
	s_and_b32 vcc_lo, exec_lo, s0
	s_mov_b32 s0, 0
	s_cbranch_vccz .LBB51_2447
; %bb.2446:
	global_load_i8 v2, v[0:1], off
	s_waitcnt vmcnt(0)
	v_cvt_f32_i32_e32 v43, v2
	s_branch .LBB51_2448
.LBB51_2447:
	s_mov_b32 s0, -1
                                        ; implicit-def: $vgpr43
.LBB51_2448:
	s_delay_alu instid0(SALU_CYCLE_1)
	s_and_not1_b32 vcc_lo, exec_lo, s0
	s_cbranch_vccnz .LBB51_2450
; %bb.2449:
	global_load_u8 v0, v[0:1], off
	s_waitcnt vmcnt(0)
	v_cvt_f32_ubyte0_e32 v43, v0
.LBB51_2450:
	s_mov_b32 s2, -1
.LBB51_2451:
	s_delay_alu instid0(SALU_CYCLE_1)
	s_and_not1_b32 vcc_lo, exec_lo, s2
	s_cbranch_vccnz .LBB51_2727
; %bb.2452:
	s_and_b32 vcc_lo, exec_lo, s47
	s_cbranch_vccz .LBB51_2454
; %bb.2453:
	s_waitcnt vmcnt(0)
	s_delay_alu instid0(VALU_DEP_1) | instskip(SKIP_3) | instid1(SALU_CYCLE_1)
	v_dual_mov_b32 v0, v40 :: v_dual_mov_b32 v1, v43
	s_getpc_b64 s[0:1]
	s_add_u32 s0, s0, _ZN12_GLOBAL__N_111calc_igammaIfEET_S1_S1_@rel32@lo+4
	s_addc_u32 s1, s1, _ZN12_GLOBAL__N_111calc_igammaIfEET_S1_S1_@rel32@hi+12
	s_swappc_b64 s[30:31], s[0:1]
	v_mov_b32_e32 v46, v0
	s_mov_b32 s0, 0
	s_branch .LBB51_2455
.LBB51_2454:
	s_mov_b32 s0, -1
                                        ; implicit-def: $vgpr46
.LBB51_2455:
	s_delay_alu instid0(SALU_CYCLE_1)
	s_and_not1_b32 vcc_lo, exec_lo, s0
	s_cbranch_vccnz .LBB51_2457
; %bb.2456:
	s_waitcnt vmcnt(0)
	s_delay_alu instid0(VALU_DEP_1) | instskip(SKIP_3) | instid1(SALU_CYCLE_1)
	v_dual_mov_b32 v0, v40 :: v_dual_mov_b32 v1, v43
	s_getpc_b64 s[0:1]
	s_add_u32 s0, s0, _ZN12_GLOBAL__N_112calc_igammacIfEET_S1_S1_@rel32@lo+4
	s_addc_u32 s1, s1, _ZN12_GLOBAL__N_112calc_igammacIfEET_S1_S1_@rel32@hi+12
	s_swappc_b64 s[30:31], s[0:1]
	v_mov_b32_e32 v46, v0
.LBB51_2457:
	v_cmp_gt_i16_e32 vcc_lo, 11, v47
	v_add_co_u32 v0, s0, s38, v60
	s_delay_alu instid0(VALU_DEP_1)
	v_add_co_ci_u32_e64 v1, null, s39, 0, s0
	s_mov_b32 s2, 0
	s_cbranch_vccnz .LBB51_2464
; %bb.2458:
	v_cmp_lt_i16_e32 vcc_lo, 25, v47
	s_mov_b32 s1, 0
	s_cbranch_vccz .LBB51_2465
; %bb.2459:
	v_cmp_lt_i16_e32 vcc_lo, 28, v47
	s_cbranch_vccz .LBB51_2466
; %bb.2460:
	v_cmp_lt_i16_e32 vcc_lo, 43, v47
	s_cbranch_vccz .LBB51_2467
; %bb.2461:
	v_cmp_lt_i16_e32 vcc_lo, 45, v47
	s_cbranch_vccz .LBB51_2470
; %bb.2462:
	v_cmp_eq_u16_e32 vcc_lo, 46, v47
	s_mov_b32 s3, 0
	s_cbranch_vccz .LBB51_2473
; %bb.2463:
	global_load_b32 v2, v[0:1], off
	s_mov_b32 s0, 0
	s_mov_b32 s2, -1
	s_waitcnt vmcnt(0)
	v_lshlrev_b32_e32 v40, 16, v2
	s_branch .LBB51_2475
.LBB51_2464:
	s_mov_b32 s0, -1
                                        ; implicit-def: $vgpr40
	s_branch .LBB51_2541
.LBB51_2465:
	s_mov_b32 s3, -1
	s_mov_b32 s0, 0
                                        ; implicit-def: $vgpr40
	s_branch .LBB51_2504
.LBB51_2466:
	s_mov_b32 s3, -1
	s_mov_b32 s0, 0
                                        ; implicit-def: $vgpr40
	s_branch .LBB51_2485
.LBB51_2467:
	s_mov_b32 s3, -1
	s_mov_b32 s0, 0
                                        ; implicit-def: $vgpr40
	s_branch .LBB51_2480
.LBB51_2468:
	s_cbranch_execnz .LBB51_2471
; %bb.2469:
	s_or_b32 s44, s44, exec_lo
                                        ; implicit-def: $vgpr43
	s_cbranch_execz .LBB51_2400
	s_branch .LBB51_2401
.LBB51_2470:
	s_mov_b32 s3, -1
	s_mov_b32 s0, 0
	s_branch .LBB51_2474
.LBB51_2471:
	s_trap 2
	s_sendmsg_rtn_b32 s0, sendmsg(MSG_RTN_GET_DOORBELL)
	s_mov_b32 ttmp2, m0
	s_waitcnt lgkmcnt(0)
	s_and_b32 s0, s0, 0x3ff
	s_delay_alu instid0(SALU_CYCLE_1) | instskip(NEXT) | instid1(SALU_CYCLE_1)
	s_bitset1_b32 s0, 10
	s_mov_b32 m0, s0
	s_sendmsg sendmsg(MSG_INTERRUPT)
	s_mov_b32 m0, ttmp2
.LBB51_2472:                            ; =>This Inner Loop Header: Depth=1
	s_sethalt 5
	s_branch .LBB51_2472
.LBB51_2473:
	s_mov_b32 s0, -1
.LBB51_2474:
                                        ; implicit-def: $vgpr40
.LBB51_2475:
	s_and_b32 vcc_lo, exec_lo, s3
	s_cbranch_vccz .LBB51_2479
; %bb.2476:
	v_cmp_eq_u16_e32 vcc_lo, 44, v47
	s_cbranch_vccz .LBB51_2478
; %bb.2477:
	global_load_u8 v2, v[0:1], off
	s_mov_b32 s0, 0
	s_mov_b32 s2, -1
	s_waitcnt vmcnt(0)
	v_lshlrev_b32_e32 v3, 23, v2
	v_cmp_ne_u32_e32 vcc_lo, 0xff, v2
	s_delay_alu instid0(VALU_DEP_2) | instskip(SKIP_1) | instid1(VALU_DEP_2)
	v_cndmask_b32_e32 v3, 0x7f800001, v3, vcc_lo
	v_cmp_ne_u32_e32 vcc_lo, 0, v2
	v_cndmask_b32_e32 v40, 0x400000, v3, vcc_lo
	s_branch .LBB51_2479
.LBB51_2478:
	s_mov_b32 s0, -1
                                        ; implicit-def: $vgpr40
.LBB51_2479:
	s_mov_b32 s3, 0
.LBB51_2480:
	s_delay_alu instid0(SALU_CYCLE_1)
	s_and_b32 vcc_lo, exec_lo, s3
	s_cbranch_vccz .LBB51_2484
; %bb.2481:
	v_cmp_eq_u16_e32 vcc_lo, 29, v47
	s_cbranch_vccz .LBB51_2483
; %bb.2482:
	global_load_b64 v[2:3], v[0:1], off
	s_mov_b32 s0, 0
	s_mov_b32 s2, -1
	s_mov_b32 s3, 0
	s_waitcnt vmcnt(0)
	v_clz_i32_u32_e32 v4, v3
	s_delay_alu instid0(VALU_DEP_1) | instskip(NEXT) | instid1(VALU_DEP_1)
	v_min_u32_e32 v4, 32, v4
	v_lshlrev_b64 v[2:3], v4, v[2:3]
	s_delay_alu instid0(VALU_DEP_1) | instskip(NEXT) | instid1(VALU_DEP_1)
	v_min_u32_e32 v2, 1, v2
	v_or_b32_e32 v2, v3, v2
	v_sub_nc_u32_e32 v3, 32, v4
	s_delay_alu instid0(VALU_DEP_2) | instskip(NEXT) | instid1(VALU_DEP_1)
	v_cvt_f32_u32_e32 v2, v2
	v_ldexp_f32 v40, v2, v3
	s_branch .LBB51_2485
.LBB51_2483:
	s_mov_b32 s0, -1
                                        ; implicit-def: $vgpr40
.LBB51_2484:
	s_mov_b32 s3, 0
.LBB51_2485:
	s_delay_alu instid0(SALU_CYCLE_1)
	s_and_b32 vcc_lo, exec_lo, s3
	s_cbranch_vccz .LBB51_2503
; %bb.2486:
	v_cmp_gt_i16_e32 vcc_lo, 27, v47
	s_cbranch_vccnz .LBB51_2489
; %bb.2487:
	v_cmp_lt_i16_e32 vcc_lo, 27, v47
	s_cbranch_vccz .LBB51_2490
; %bb.2488:
	global_load_b32 v2, v[0:1], off
	s_mov_b32 s2, 0
	s_waitcnt vmcnt(0)
	v_cvt_f32_u32_e32 v40, v2
	s_branch .LBB51_2491
.LBB51_2489:
	s_mov_b32 s2, -1
                                        ; implicit-def: $vgpr40
	s_branch .LBB51_2494
.LBB51_2490:
	s_mov_b32 s2, -1
                                        ; implicit-def: $vgpr40
.LBB51_2491:
	s_delay_alu instid0(SALU_CYCLE_1)
	s_and_not1_b32 vcc_lo, exec_lo, s2
	s_cbranch_vccnz .LBB51_2493
; %bb.2492:
	global_load_u16 v2, v[0:1], off
	s_waitcnt vmcnt(0)
	v_cvt_f32_u32_e32 v40, v2
.LBB51_2493:
	s_mov_b32 s2, 0
.LBB51_2494:
	s_delay_alu instid0(SALU_CYCLE_1)
	s_and_not1_b32 vcc_lo, exec_lo, s2
	s_cbranch_vccnz .LBB51_2502
; %bb.2495:
	global_load_u8 v2, v[0:1], off
	s_mov_b32 s2, 0
	s_mov_b32 s4, exec_lo
                                        ; implicit-def: $sgpr3
	s_waitcnt vmcnt(0)
	v_cmpx_lt_i16_e32 0x7f, v2
	s_xor_b32 s4, exec_lo, s4
	s_cbranch_execz .LBB51_2516
; %bb.2496:
	s_mov_b32 s2, -1
	s_mov_b32 s5, exec_lo
                                        ; implicit-def: $sgpr3
	v_cmpx_eq_u16_e32 0x80, v2
; %bb.2497:
	s_mov_b32 s3, 0x7f800001
	s_xor_b32 s2, exec_lo, -1
; %bb.2498:
	s_or_b32 exec_lo, exec_lo, s5
	s_delay_alu instid0(SALU_CYCLE_1)
	s_and_b32 s2, s2, exec_lo
	s_or_saveexec_b32 s4, s4
	v_mov_b32_e32 v40, s3
	s_xor_b32 exec_lo, exec_lo, s4
	s_cbranch_execnz .LBB51_2517
.LBB51_2499:
	s_or_b32 exec_lo, exec_lo, s4
	s_and_saveexec_b32 s3, s2
	s_cbranch_execz .LBB51_2501
.LBB51_2500:
	v_and_b32_e32 v3, 0xffff, v2
	v_lshlrev_b32_e32 v2, 24, v2
	s_delay_alu instid0(VALU_DEP_2) | instskip(NEXT) | instid1(VALU_DEP_2)
	v_and_b32_e32 v4, 7, v3
	v_and_b32_e32 v2, 0x80000000, v2
	s_delay_alu instid0(VALU_DEP_2) | instskip(NEXT) | instid1(VALU_DEP_1)
	v_clz_i32_u32_e32 v5, v4
	v_min_u32_e32 v5, 32, v5
	s_delay_alu instid0(VALU_DEP_1) | instskip(SKIP_1) | instid1(VALU_DEP_2)
	v_subrev_nc_u32_e32 v6, 28, v5
	v_sub_nc_u32_e32 v5, 29, v5
	v_lshlrev_b32_e32 v6, v6, v3
	v_bfe_u32 v3, v3, 3, 4
	s_delay_alu instid0(VALU_DEP_2) | instskip(NEXT) | instid1(VALU_DEP_2)
	v_and_b32_e32 v6, 7, v6
	v_cmp_eq_u32_e32 vcc_lo, 0, v3
	s_delay_alu instid0(VALU_DEP_2) | instskip(NEXT) | instid1(VALU_DEP_1)
	v_dual_cndmask_b32 v3, v3, v5 :: v_dual_cndmask_b32 v4, v4, v6
	v_lshl_add_u32 v3, v3, 23, 0x3b800000
	s_delay_alu instid0(VALU_DEP_2) | instskip(NEXT) | instid1(VALU_DEP_1)
	v_lshlrev_b32_e32 v4, 20, v4
	v_or3_b32 v40, v2, v3, v4
.LBB51_2501:
	s_or_b32 exec_lo, exec_lo, s3
.LBB51_2502:
	s_mov_b32 s2, -1
.LBB51_2503:
	s_mov_b32 s3, 0
.LBB51_2504:
	s_delay_alu instid0(SALU_CYCLE_1)
	s_and_b32 vcc_lo, exec_lo, s3
	s_cbranch_vccz .LBB51_2537
; %bb.2505:
	v_cmp_lt_i16_e32 vcc_lo, 22, v47
	s_cbranch_vccz .LBB51_2515
; %bb.2506:
	v_cmp_gt_i16_e32 vcc_lo, 24, v47
	s_cbranch_vccnz .LBB51_2518
; %bb.2507:
	v_cmp_lt_i16_e32 vcc_lo, 24, v47
	s_cbranch_vccz .LBB51_2519
; %bb.2508:
	global_load_u8 v2, v[0:1], off
	s_mov_b32 s3, exec_lo
                                        ; implicit-def: $sgpr2
	s_waitcnt vmcnt(0)
	v_cmpx_lt_i16_e32 0x7f, v2
	s_xor_b32 s3, exec_lo, s3
	s_cbranch_execz .LBB51_2531
; %bb.2509:
	s_mov_b32 s1, -1
	s_mov_b32 s4, exec_lo
                                        ; implicit-def: $sgpr2
	v_cmpx_eq_u16_e32 0x80, v2
; %bb.2510:
	s_mov_b32 s2, 0x7f800001
	s_xor_b32 s1, exec_lo, -1
; %bb.2511:
	s_or_b32 exec_lo, exec_lo, s4
	s_delay_alu instid0(SALU_CYCLE_1)
	s_and_b32 s1, s1, exec_lo
	s_or_saveexec_b32 s3, s3
	v_mov_b32_e32 v40, s2
	s_xor_b32 exec_lo, exec_lo, s3
	s_cbranch_execnz .LBB51_2532
.LBB51_2512:
	s_or_b32 exec_lo, exec_lo, s3
	s_and_saveexec_b32 s2, s1
	s_cbranch_execz .LBB51_2514
.LBB51_2513:
	v_and_b32_e32 v3, 0xffff, v2
	v_lshlrev_b32_e32 v2, 24, v2
	s_delay_alu instid0(VALU_DEP_2) | instskip(NEXT) | instid1(VALU_DEP_2)
	v_and_b32_e32 v4, 3, v3
	v_and_b32_e32 v2, 0x80000000, v2
	s_delay_alu instid0(VALU_DEP_2) | instskip(NEXT) | instid1(VALU_DEP_1)
	v_clz_i32_u32_e32 v5, v4
	v_min_u32_e32 v5, 32, v5
	s_delay_alu instid0(VALU_DEP_1) | instskip(SKIP_1) | instid1(VALU_DEP_2)
	v_subrev_nc_u32_e32 v6, 29, v5
	v_sub_nc_u32_e32 v5, 30, v5
	v_lshlrev_b32_e32 v6, v6, v3
	v_bfe_u32 v3, v3, 2, 5
	s_delay_alu instid0(VALU_DEP_2) | instskip(NEXT) | instid1(VALU_DEP_2)
	v_and_b32_e32 v6, 3, v6
	v_cmp_eq_u32_e32 vcc_lo, 0, v3
	s_delay_alu instid0(VALU_DEP_2) | instskip(NEXT) | instid1(VALU_DEP_1)
	v_dual_cndmask_b32 v3, v3, v5 :: v_dual_cndmask_b32 v4, v4, v6
	v_lshl_add_u32 v3, v3, 23, 0x37800000
	s_delay_alu instid0(VALU_DEP_2) | instskip(NEXT) | instid1(VALU_DEP_1)
	v_lshlrev_b32_e32 v4, 21, v4
	v_or3_b32 v40, v2, v3, v4
.LBB51_2514:
	s_or_b32 exec_lo, exec_lo, s2
	s_mov_b32 s1, 0
	s_branch .LBB51_2520
.LBB51_2515:
	s_mov_b32 s1, -1
                                        ; implicit-def: $vgpr40
	s_branch .LBB51_2526
.LBB51_2516:
	s_or_saveexec_b32 s4, s4
	v_mov_b32_e32 v40, s3
	s_xor_b32 exec_lo, exec_lo, s4
	s_cbranch_execz .LBB51_2499
.LBB51_2517:
	v_cmp_ne_u16_e32 vcc_lo, 0, v2
	v_mov_b32_e32 v40, 0
	s_and_not1_b32 s2, s2, exec_lo
	s_and_b32 s3, vcc_lo, exec_lo
	s_delay_alu instid0(SALU_CYCLE_1)
	s_or_b32 s2, s2, s3
	s_or_b32 exec_lo, exec_lo, s4
	s_and_saveexec_b32 s3, s2
	s_cbranch_execnz .LBB51_2500
	s_branch .LBB51_2501
.LBB51_2518:
	s_mov_b32 s1, -1
                                        ; implicit-def: $vgpr40
	s_branch .LBB51_2523
.LBB51_2519:
	s_mov_b32 s1, -1
                                        ; implicit-def: $vgpr40
.LBB51_2520:
	s_delay_alu instid0(SALU_CYCLE_1)
	s_and_b32 vcc_lo, exec_lo, s1
	s_cbranch_vccz .LBB51_2522
; %bb.2521:
	global_load_u8 v2, v[0:1], off
	s_waitcnt vmcnt(0)
	v_lshlrev_b32_e32 v2, 24, v2
	s_delay_alu instid0(VALU_DEP_1) | instskip(NEXT) | instid1(VALU_DEP_1)
	v_and_b32_e32 v3, 0x7f000000, v2
	v_clz_i32_u32_e32 v4, v3
	v_add_nc_u32_e32 v6, 0x1000000, v3
	v_cmp_ne_u32_e32 vcc_lo, 0, v3
	s_delay_alu instid0(VALU_DEP_3) | instskip(NEXT) | instid1(VALU_DEP_1)
	v_min_u32_e32 v4, 32, v4
	v_sub_nc_u32_e64 v4, v4, 4 clamp
	s_delay_alu instid0(VALU_DEP_1) | instskip(SKIP_1) | instid1(VALU_DEP_2)
	v_lshlrev_b32_e32 v5, v4, v3
	v_lshlrev_b32_e32 v4, 23, v4
	v_lshrrev_b32_e32 v5, 4, v5
	s_delay_alu instid0(VALU_DEP_1) | instskip(SKIP_1) | instid1(VALU_DEP_2)
	v_sub_nc_u32_e32 v4, v5, v4
	v_ashrrev_i32_e32 v5, 8, v6
	v_add_nc_u32_e32 v4, 0x3c000000, v4
	s_delay_alu instid0(VALU_DEP_1) | instskip(NEXT) | instid1(VALU_DEP_1)
	v_and_or_b32 v4, 0x7f800000, v5, v4
	v_cndmask_b32_e32 v3, 0, v4, vcc_lo
	s_delay_alu instid0(VALU_DEP_1)
	v_and_or_b32 v40, 0x80000000, v2, v3
.LBB51_2522:
	s_mov_b32 s1, 0
.LBB51_2523:
	s_delay_alu instid0(SALU_CYCLE_1)
	s_and_not1_b32 vcc_lo, exec_lo, s1
	s_cbranch_vccnz .LBB51_2525
; %bb.2524:
	global_load_u8 v2, v[0:1], off
	s_waitcnt vmcnt(0)
	v_lshlrev_b32_e32 v3, 25, v2
	v_lshlrev_b16 v2, 8, v2
	s_delay_alu instid0(VALU_DEP_2) | instskip(NEXT) | instid1(VALU_DEP_2)
	v_lshrrev_b32_e32 v4, 4, v3
	v_and_or_b32 v5, 0x7f00, v2, 0.5
	v_bfe_i32 v2, v2, 0, 16
	s_delay_alu instid0(VALU_DEP_3) | instskip(NEXT) | instid1(VALU_DEP_1)
	v_or_b32_e32 v4, 0x70000000, v4
	v_dual_add_f32 v5, -0.5, v5 :: v_dual_mul_f32 v4, 0x7800000, v4
	v_cmp_gt_u32_e32 vcc_lo, 0x8000000, v3
	s_delay_alu instid0(VALU_DEP_2) | instskip(NEXT) | instid1(VALU_DEP_1)
	v_cndmask_b32_e32 v3, v4, v5, vcc_lo
	v_and_or_b32 v40, 0x80000000, v2, v3
.LBB51_2525:
	s_mov_b32 s1, 0
	s_mov_b32 s2, -1
.LBB51_2526:
	s_and_not1_b32 vcc_lo, exec_lo, s1
	s_mov_b32 s1, 0
	s_cbranch_vccnz .LBB51_2537
; %bb.2527:
	v_cmp_lt_i16_e32 vcc_lo, 14, v47
	s_cbranch_vccz .LBB51_2530
; %bb.2528:
	v_cmp_eq_u16_e32 vcc_lo, 15, v47
	s_cbranch_vccz .LBB51_2533
; %bb.2529:
	global_load_u16 v2, v[0:1], off
	s_mov_b32 s0, 0
	s_mov_b32 s2, -1
	s_waitcnt vmcnt(0)
	v_lshlrev_b32_e32 v40, 16, v2
	s_branch .LBB51_2535
.LBB51_2530:
	s_mov_b32 s1, -1
	s_branch .LBB51_2534
.LBB51_2531:
	s_or_saveexec_b32 s3, s3
	v_mov_b32_e32 v40, s2
	s_xor_b32 exec_lo, exec_lo, s3
	s_cbranch_execz .LBB51_2512
.LBB51_2532:
	v_cmp_ne_u16_e32 vcc_lo, 0, v2
	v_mov_b32_e32 v40, 0
	s_and_not1_b32 s1, s1, exec_lo
	s_and_b32 s2, vcc_lo, exec_lo
	s_delay_alu instid0(SALU_CYCLE_1)
	s_or_b32 s1, s1, s2
	s_or_b32 exec_lo, exec_lo, s3
	s_and_saveexec_b32 s2, s1
	s_cbranch_execnz .LBB51_2513
	s_branch .LBB51_2514
.LBB51_2533:
	s_mov_b32 s0, -1
.LBB51_2534:
                                        ; implicit-def: $vgpr40
.LBB51_2535:
	s_and_b32 vcc_lo, exec_lo, s1
	s_mov_b32 s1, 0
	s_cbranch_vccz .LBB51_2537
; %bb.2536:
	v_cmp_ne_u16_e64 s0, 11, v47
	s_mov_b32 s1, -1
                                        ; implicit-def: $vgpr40
.LBB51_2537:
	s_delay_alu instid0(VALU_DEP_1)
	s_and_b32 vcc_lo, exec_lo, s0
	s_cbranch_vccnz .LBB51_2602
; %bb.2538:
	s_and_not1_b32 vcc_lo, exec_lo, s1
	s_cbranch_vccnz .LBB51_2540
.LBB51_2539:
	global_load_u8 v2, v[0:1], off
	s_mov_b32 s2, -1
	s_waitcnt vmcnt(0)
	v_cmp_ne_u16_e32 vcc_lo, 0, v2
	v_cndmask_b32_e64 v40, 0, 1.0, vcc_lo
.LBB51_2540:
	s_mov_b32 s0, 0
.LBB51_2541:
	s_delay_alu instid0(SALU_CYCLE_1)
	s_and_b32 vcc_lo, exec_lo, s0
	s_cbranch_vccz .LBB51_2590
; %bb.2542:
	v_cmp_gt_i16_e32 vcc_lo, 5, v47
	s_cbranch_vccnz .LBB51_2547
; %bb.2543:
	v_cmp_gt_i16_e32 vcc_lo, 8, v47
	s_cbranch_vccnz .LBB51_2548
	;; [unrolled: 3-line block ×3, first 2 shown]
; %bb.2545:
	v_cmp_lt_i16_e32 vcc_lo, 9, v47
	s_cbranch_vccz .LBB51_2550
; %bb.2546:
	global_load_b64 v[2:3], v[0:1], off
	s_mov_b32 s0, 0
	s_waitcnt vmcnt(0)
	v_cvt_f32_f64_e32 v40, v[2:3]
	s_branch .LBB51_2551
.LBB51_2547:
	s_mov_b32 s0, -1
                                        ; implicit-def: $vgpr40
	s_branch .LBB51_2569
.LBB51_2548:
	s_mov_b32 s0, -1
                                        ; implicit-def: $vgpr40
	s_branch .LBB51_2557
.LBB51_2549:
	s_mov_b32 s0, -1
                                        ; implicit-def: $vgpr40
	s_branch .LBB51_2554
.LBB51_2550:
	s_mov_b32 s0, -1
                                        ; implicit-def: $vgpr40
.LBB51_2551:
	s_delay_alu instid0(SALU_CYCLE_1)
	s_and_not1_b32 vcc_lo, exec_lo, s0
	s_cbranch_vccnz .LBB51_2553
; %bb.2552:
	global_load_b32 v40, v[0:1], off
.LBB51_2553:
	s_mov_b32 s0, 0
.LBB51_2554:
	s_delay_alu instid0(SALU_CYCLE_1)
	s_and_not1_b32 vcc_lo, exec_lo, s0
	s_cbranch_vccnz .LBB51_2556
; %bb.2555:
	global_load_b32 v2, v[0:1], off
	s_waitcnt vmcnt(0)
	v_cvt_f32_f16_e32 v40, v2
.LBB51_2556:
	s_mov_b32 s0, 0
.LBB51_2557:
	s_delay_alu instid0(SALU_CYCLE_1)
	s_and_not1_b32 vcc_lo, exec_lo, s0
	s_cbranch_vccnz .LBB51_2568
; %bb.2558:
	v_cmp_gt_i16_e32 vcc_lo, 6, v47
	s_cbranch_vccnz .LBB51_2561
; %bb.2559:
	v_cmp_lt_i16_e32 vcc_lo, 6, v47
	s_cbranch_vccz .LBB51_2562
; %bb.2560:
	global_load_b64 v[2:3], v[0:1], off
	s_mov_b32 s0, 0
	s_waitcnt vmcnt(0)
	v_cvt_f32_f64_e32 v40, v[2:3]
	s_branch .LBB51_2563
.LBB51_2561:
	s_mov_b32 s0, -1
                                        ; implicit-def: $vgpr40
	s_branch .LBB51_2566
.LBB51_2562:
	s_mov_b32 s0, -1
                                        ; implicit-def: $vgpr40
.LBB51_2563:
	s_delay_alu instid0(SALU_CYCLE_1)
	s_and_not1_b32 vcc_lo, exec_lo, s0
	s_cbranch_vccnz .LBB51_2565
; %bb.2564:
	global_load_b32 v40, v[0:1], off
.LBB51_2565:
	s_mov_b32 s0, 0
.LBB51_2566:
	s_delay_alu instid0(SALU_CYCLE_1)
	s_and_not1_b32 vcc_lo, exec_lo, s0
	s_cbranch_vccnz .LBB51_2568
; %bb.2567:
	global_load_u16 v2, v[0:1], off
	s_waitcnt vmcnt(0)
	v_cvt_f32_f16_e32 v40, v2
.LBB51_2568:
	s_mov_b32 s0, 0
.LBB51_2569:
	s_delay_alu instid0(SALU_CYCLE_1)
	s_and_not1_b32 vcc_lo, exec_lo, s0
	s_cbranch_vccnz .LBB51_2589
; %bb.2570:
	v_cmp_gt_i16_e32 vcc_lo, 2, v47
	s_cbranch_vccnz .LBB51_2574
; %bb.2571:
	v_cmp_gt_i16_e32 vcc_lo, 3, v47
	s_cbranch_vccnz .LBB51_2575
; %bb.2572:
	v_cmp_lt_i16_e32 vcc_lo, 3, v47
	s_cbranch_vccz .LBB51_2576
; %bb.2573:
	global_load_b64 v[2:3], v[0:1], off
	s_mov_b32 s0, 0
	s_waitcnt vmcnt(0)
	v_xor_b32_e32 v4, v2, v3
	v_cls_i32_e32 v5, v3
	s_delay_alu instid0(VALU_DEP_2) | instskip(NEXT) | instid1(VALU_DEP_2)
	v_ashrrev_i32_e32 v4, 31, v4
	v_add_nc_u32_e32 v5, -1, v5
	s_delay_alu instid0(VALU_DEP_2) | instskip(NEXT) | instid1(VALU_DEP_1)
	v_add_nc_u32_e32 v4, 32, v4
	v_min_u32_e32 v4, v5, v4
	s_delay_alu instid0(VALU_DEP_1) | instskip(NEXT) | instid1(VALU_DEP_1)
	v_lshlrev_b64 v[2:3], v4, v[2:3]
	v_min_u32_e32 v2, 1, v2
	s_delay_alu instid0(VALU_DEP_1) | instskip(SKIP_1) | instid1(VALU_DEP_2)
	v_or_b32_e32 v2, v3, v2
	v_sub_nc_u32_e32 v3, 32, v4
	v_cvt_f32_i32_e32 v2, v2
	s_delay_alu instid0(VALU_DEP_1)
	v_ldexp_f32 v40, v2, v3
	s_branch .LBB51_2577
.LBB51_2574:
	s_mov_b32 s0, -1
                                        ; implicit-def: $vgpr40
	s_branch .LBB51_2583
.LBB51_2575:
	s_mov_b32 s0, -1
                                        ; implicit-def: $vgpr40
	s_branch .LBB51_2580
.LBB51_2576:
	s_mov_b32 s0, -1
                                        ; implicit-def: $vgpr40
.LBB51_2577:
	s_delay_alu instid0(SALU_CYCLE_1)
	s_and_not1_b32 vcc_lo, exec_lo, s0
	s_cbranch_vccnz .LBB51_2579
; %bb.2578:
	global_load_b32 v2, v[0:1], off
	s_waitcnt vmcnt(0)
	v_cvt_f32_i32_e32 v40, v2
.LBB51_2579:
	s_mov_b32 s0, 0
.LBB51_2580:
	s_delay_alu instid0(SALU_CYCLE_1)
	s_and_not1_b32 vcc_lo, exec_lo, s0
	s_cbranch_vccnz .LBB51_2582
; %bb.2581:
	global_load_i16 v2, v[0:1], off
	s_waitcnt vmcnt(0)
	v_cvt_f32_i32_e32 v40, v2
.LBB51_2582:
	s_mov_b32 s0, 0
.LBB51_2583:
	s_delay_alu instid0(SALU_CYCLE_1)
	s_and_not1_b32 vcc_lo, exec_lo, s0
	s_cbranch_vccnz .LBB51_2589
; %bb.2584:
	v_cmp_lt_i16_e32 vcc_lo, 0, v47
	s_mov_b32 s0, 0
	s_cbranch_vccz .LBB51_2586
; %bb.2585:
	global_load_i8 v2, v[0:1], off
	s_waitcnt vmcnt(0)
	v_cvt_f32_i32_e32 v40, v2
	s_branch .LBB51_2587
.LBB51_2586:
	s_mov_b32 s0, -1
                                        ; implicit-def: $vgpr40
.LBB51_2587:
	s_delay_alu instid0(SALU_CYCLE_1)
	s_and_not1_b32 vcc_lo, exec_lo, s0
	s_cbranch_vccnz .LBB51_2589
; %bb.2588:
	global_load_u8 v0, v[0:1], off
	s_waitcnt vmcnt(0)
	v_cvt_f32_ubyte0_e32 v40, v0
.LBB51_2589:
	s_mov_b32 s2, -1
.LBB51_2590:
	s_delay_alu instid0(SALU_CYCLE_1)
	s_and_not1_b32 vcc_lo, exec_lo, s2
	s_cbranch_vccnz .LBB51_2727
; %bb.2591:
	v_cmp_lt_i16_e64 s0, s46, 11
	v_add_co_u32 v0, s1, s40, v59
	s_delay_alu instid0(VALU_DEP_1) | instskip(NEXT) | instid1(VALU_DEP_3)
	v_add_co_ci_u32_e64 v1, null, s41, 0, s1
	s_and_b32 vcc_lo, exec_lo, s0
	s_mov_b32 s2, 0
	s_cbranch_vccnz .LBB51_2598
; %bb.2592:
	v_cmp_gt_i16_e64 s0, s46, 25
	s_mov_b32 s1, 0
	s_delay_alu instid0(VALU_DEP_1)
	s_and_b32 vcc_lo, exec_lo, s0
	s_cbranch_vccz .LBB51_2599
; %bb.2593:
	v_cmp_gt_i16_e64 s0, s46, 28
	s_delay_alu instid0(VALU_DEP_1)
	s_and_b32 vcc_lo, exec_lo, s0
	s_cbranch_vccz .LBB51_2600
; %bb.2594:
	v_cmp_gt_i16_e64 s0, s46, 43
	;; [unrolled: 5-line block ×3, first 2 shown]
	s_delay_alu instid0(VALU_DEP_1)
	s_and_b32 vcc_lo, exec_lo, s0
	s_cbranch_vccz .LBB51_2604
; %bb.2596:
	v_cmp_eq_u16_e64 s0, s46, 46
	s_mov_b32 s3, 0
	s_delay_alu instid0(VALU_DEP_1)
	s_and_b32 vcc_lo, exec_lo, s0
	s_cbranch_vccz .LBB51_2607
; %bb.2597:
	global_load_b32 v2, v[0:1], off
	s_mov_b32 s0, 0
	s_mov_b32 s2, -1
	s_waitcnt vmcnt(0)
	v_lshlrev_b32_e32 v43, 16, v2
	s_branch .LBB51_2609
.LBB51_2598:
	s_mov_b32 s0, -1
                                        ; implicit-def: $vgpr43
	s_branch .LBB51_2675
.LBB51_2599:
	s_mov_b32 s3, -1
	s_mov_b32 s0, 0
                                        ; implicit-def: $vgpr43
	s_branch .LBB51_2638
.LBB51_2600:
	s_mov_b32 s3, -1
	s_mov_b32 s0, 0
                                        ; implicit-def: $vgpr43
	s_branch .LBB51_2619
.LBB51_2601:
	s_mov_b32 s3, -1
	s_mov_b32 s0, 0
                                        ; implicit-def: $vgpr43
	s_branch .LBB51_2614
.LBB51_2602:
	s_cbranch_execnz .LBB51_2605
; %bb.2603:
	s_or_b32 s44, s44, exec_lo
                                        ; implicit-def: $vgpr40
	s_cbranch_execz .LBB51_2539
	s_branch .LBB51_2540
.LBB51_2604:
	s_mov_b32 s3, -1
	s_mov_b32 s0, 0
	s_branch .LBB51_2608
.LBB51_2605:
	s_trap 2
	s_sendmsg_rtn_b32 s0, sendmsg(MSG_RTN_GET_DOORBELL)
	s_mov_b32 ttmp2, m0
	s_waitcnt lgkmcnt(0)
	s_and_b32 s0, s0, 0x3ff
	s_delay_alu instid0(SALU_CYCLE_1) | instskip(NEXT) | instid1(SALU_CYCLE_1)
	s_bitset1_b32 s0, 10
	s_mov_b32 m0, s0
	s_sendmsg sendmsg(MSG_INTERRUPT)
	s_mov_b32 m0, ttmp2
.LBB51_2606:                            ; =>This Inner Loop Header: Depth=1
	s_sethalt 5
	s_branch .LBB51_2606
.LBB51_2607:
	s_mov_b32 s0, -1
.LBB51_2608:
                                        ; implicit-def: $vgpr43
.LBB51_2609:
	s_and_b32 vcc_lo, exec_lo, s3
	s_cbranch_vccz .LBB51_2613
; %bb.2610:
	v_cmp_eq_u16_e64 s0, s46, 44
	s_delay_alu instid0(VALU_DEP_1)
	s_and_b32 vcc_lo, exec_lo, s0
	s_cbranch_vccz .LBB51_2612
; %bb.2611:
	global_load_u8 v2, v[0:1], off
	s_mov_b32 s0, 0
	s_mov_b32 s2, -1
	s_waitcnt vmcnt(0)
	v_lshlrev_b32_e32 v3, 23, v2
	v_cmp_ne_u32_e32 vcc_lo, 0xff, v2
	s_delay_alu instid0(VALU_DEP_2) | instskip(SKIP_1) | instid1(VALU_DEP_2)
	v_cndmask_b32_e32 v3, 0x7f800001, v3, vcc_lo
	v_cmp_ne_u32_e32 vcc_lo, 0, v2
	v_cndmask_b32_e32 v43, 0x400000, v3, vcc_lo
	s_branch .LBB51_2613
.LBB51_2612:
	s_mov_b32 s0, -1
                                        ; implicit-def: $vgpr43
.LBB51_2613:
	s_mov_b32 s3, 0
.LBB51_2614:
	s_delay_alu instid0(SALU_CYCLE_1)
	s_and_b32 vcc_lo, exec_lo, s3
	s_cbranch_vccz .LBB51_2618
; %bb.2615:
	v_cmp_eq_u16_e64 s0, s46, 29
	s_delay_alu instid0(VALU_DEP_1)
	s_and_b32 vcc_lo, exec_lo, s0
	s_cbranch_vccz .LBB51_2617
; %bb.2616:
	global_load_b64 v[2:3], v[0:1], off
	s_mov_b32 s0, 0
	s_mov_b32 s2, -1
	s_mov_b32 s3, 0
	s_waitcnt vmcnt(0)
	v_clz_i32_u32_e32 v4, v3
	s_delay_alu instid0(VALU_DEP_1) | instskip(NEXT) | instid1(VALU_DEP_1)
	v_min_u32_e32 v4, 32, v4
	v_lshlrev_b64 v[2:3], v4, v[2:3]
	s_delay_alu instid0(VALU_DEP_1) | instskip(NEXT) | instid1(VALU_DEP_1)
	v_min_u32_e32 v2, 1, v2
	v_or_b32_e32 v2, v3, v2
	v_sub_nc_u32_e32 v3, 32, v4
	s_delay_alu instid0(VALU_DEP_2) | instskip(NEXT) | instid1(VALU_DEP_1)
	v_cvt_f32_u32_e32 v2, v2
	v_ldexp_f32 v43, v2, v3
	s_branch .LBB51_2619
.LBB51_2617:
	s_mov_b32 s0, -1
                                        ; implicit-def: $vgpr43
.LBB51_2618:
	s_mov_b32 s3, 0
.LBB51_2619:
	s_delay_alu instid0(SALU_CYCLE_1)
	s_and_b32 vcc_lo, exec_lo, s3
	s_cbranch_vccz .LBB51_2637
; %bb.2620:
	v_cmp_lt_i16_e64 s2, s46, 27
	s_delay_alu instid0(VALU_DEP_1)
	s_and_b32 vcc_lo, exec_lo, s2
	s_cbranch_vccnz .LBB51_2623
; %bb.2621:
	v_cmp_gt_i16_e64 s2, s46, 27
	s_delay_alu instid0(VALU_DEP_1)
	s_and_b32 vcc_lo, exec_lo, s2
	s_cbranch_vccz .LBB51_2624
; %bb.2622:
	global_load_b32 v2, v[0:1], off
	s_mov_b32 s2, 0
	s_waitcnt vmcnt(0)
	v_cvt_f32_u32_e32 v43, v2
	s_branch .LBB51_2625
.LBB51_2623:
	s_mov_b32 s2, -1
                                        ; implicit-def: $vgpr43
	s_branch .LBB51_2628
.LBB51_2624:
	s_mov_b32 s2, -1
                                        ; implicit-def: $vgpr43
.LBB51_2625:
	s_delay_alu instid0(SALU_CYCLE_1)
	s_and_not1_b32 vcc_lo, exec_lo, s2
	s_cbranch_vccnz .LBB51_2627
; %bb.2626:
	global_load_u16 v2, v[0:1], off
	s_waitcnt vmcnt(0)
	v_cvt_f32_u32_e32 v43, v2
.LBB51_2627:
	s_mov_b32 s2, 0
.LBB51_2628:
	s_delay_alu instid0(SALU_CYCLE_1)
	s_and_not1_b32 vcc_lo, exec_lo, s2
	s_cbranch_vccnz .LBB51_2636
; %bb.2629:
	global_load_u8 v2, v[0:1], off
	s_mov_b32 s2, 0
	s_mov_b32 s4, exec_lo
                                        ; implicit-def: $sgpr3
	s_waitcnt vmcnt(0)
	v_cmpx_lt_i16_e32 0x7f, v2
	s_xor_b32 s4, exec_lo, s4
	s_cbranch_execz .LBB51_2650
; %bb.2630:
	s_mov_b32 s2, -1
	s_mov_b32 s5, exec_lo
                                        ; implicit-def: $sgpr3
	v_cmpx_eq_u16_e32 0x80, v2
; %bb.2631:
	s_mov_b32 s3, 0x7f800001
	s_xor_b32 s2, exec_lo, -1
; %bb.2632:
	s_or_b32 exec_lo, exec_lo, s5
	s_delay_alu instid0(SALU_CYCLE_1)
	s_and_b32 s2, s2, exec_lo
	s_or_saveexec_b32 s4, s4
	v_mov_b32_e32 v43, s3
	s_xor_b32 exec_lo, exec_lo, s4
	s_cbranch_execnz .LBB51_2651
.LBB51_2633:
	s_or_b32 exec_lo, exec_lo, s4
	s_and_saveexec_b32 s3, s2
	s_cbranch_execz .LBB51_2635
.LBB51_2634:
	v_and_b32_e32 v3, 0xffff, v2
	v_lshlrev_b32_e32 v2, 24, v2
	s_delay_alu instid0(VALU_DEP_2) | instskip(NEXT) | instid1(VALU_DEP_2)
	v_and_b32_e32 v4, 7, v3
	v_and_b32_e32 v2, 0x80000000, v2
	s_delay_alu instid0(VALU_DEP_2) | instskip(NEXT) | instid1(VALU_DEP_1)
	v_clz_i32_u32_e32 v5, v4
	v_min_u32_e32 v5, 32, v5
	s_delay_alu instid0(VALU_DEP_1) | instskip(SKIP_1) | instid1(VALU_DEP_2)
	v_subrev_nc_u32_e32 v6, 28, v5
	v_sub_nc_u32_e32 v5, 29, v5
	v_lshlrev_b32_e32 v6, v6, v3
	v_bfe_u32 v3, v3, 3, 4
	s_delay_alu instid0(VALU_DEP_2) | instskip(NEXT) | instid1(VALU_DEP_2)
	v_and_b32_e32 v6, 7, v6
	v_cmp_eq_u32_e32 vcc_lo, 0, v3
	s_delay_alu instid0(VALU_DEP_2) | instskip(NEXT) | instid1(VALU_DEP_1)
	v_dual_cndmask_b32 v3, v3, v5 :: v_dual_cndmask_b32 v4, v4, v6
	v_lshl_add_u32 v3, v3, 23, 0x3b800000
	s_delay_alu instid0(VALU_DEP_2) | instskip(NEXT) | instid1(VALU_DEP_1)
	v_lshlrev_b32_e32 v4, 20, v4
	v_or3_b32 v43, v2, v3, v4
.LBB51_2635:
	s_or_b32 exec_lo, exec_lo, s3
.LBB51_2636:
	s_mov_b32 s2, -1
.LBB51_2637:
	s_mov_b32 s3, 0
.LBB51_2638:
	s_delay_alu instid0(SALU_CYCLE_1)
	s_and_b32 vcc_lo, exec_lo, s3
	s_cbranch_vccz .LBB51_2671
; %bb.2639:
	v_cmp_gt_i16_e64 s1, s46, 22
	s_delay_alu instid0(VALU_DEP_1)
	s_and_b32 vcc_lo, exec_lo, s1
	s_cbranch_vccz .LBB51_2649
; %bb.2640:
	v_cmp_lt_i16_e64 s1, s46, 24
	s_delay_alu instid0(VALU_DEP_1)
	s_and_b32 vcc_lo, exec_lo, s1
	s_cbranch_vccnz .LBB51_2652
; %bb.2641:
	v_cmp_gt_i16_e64 s1, s46, 24
	s_delay_alu instid0(VALU_DEP_1)
	s_and_b32 vcc_lo, exec_lo, s1
	s_cbranch_vccz .LBB51_2653
; %bb.2642:
	global_load_u8 v2, v[0:1], off
	s_mov_b32 s1, 0
	s_mov_b32 s3, exec_lo
                                        ; implicit-def: $sgpr2
	s_waitcnt vmcnt(0)
	v_cmpx_lt_i16_e32 0x7f, v2
	s_xor_b32 s3, exec_lo, s3
	s_cbranch_execz .LBB51_2665
; %bb.2643:
	s_mov_b32 s1, -1
	s_mov_b32 s4, exec_lo
                                        ; implicit-def: $sgpr2
	v_cmpx_eq_u16_e32 0x80, v2
; %bb.2644:
	s_mov_b32 s2, 0x7f800001
	s_xor_b32 s1, exec_lo, -1
; %bb.2645:
	s_or_b32 exec_lo, exec_lo, s4
	s_delay_alu instid0(SALU_CYCLE_1)
	s_and_b32 s1, s1, exec_lo
	s_or_saveexec_b32 s3, s3
	v_mov_b32_e32 v43, s2
	s_xor_b32 exec_lo, exec_lo, s3
	s_cbranch_execnz .LBB51_2666
.LBB51_2646:
	s_or_b32 exec_lo, exec_lo, s3
	s_and_saveexec_b32 s2, s1
	s_cbranch_execz .LBB51_2648
.LBB51_2647:
	v_and_b32_e32 v3, 0xffff, v2
	v_lshlrev_b32_e32 v2, 24, v2
	s_delay_alu instid0(VALU_DEP_2) | instskip(NEXT) | instid1(VALU_DEP_2)
	v_and_b32_e32 v4, 3, v3
	v_and_b32_e32 v2, 0x80000000, v2
	s_delay_alu instid0(VALU_DEP_2) | instskip(NEXT) | instid1(VALU_DEP_1)
	v_clz_i32_u32_e32 v5, v4
	v_min_u32_e32 v5, 32, v5
	s_delay_alu instid0(VALU_DEP_1) | instskip(SKIP_1) | instid1(VALU_DEP_2)
	v_subrev_nc_u32_e32 v6, 29, v5
	v_sub_nc_u32_e32 v5, 30, v5
	v_lshlrev_b32_e32 v6, v6, v3
	v_bfe_u32 v3, v3, 2, 5
	s_delay_alu instid0(VALU_DEP_2) | instskip(NEXT) | instid1(VALU_DEP_2)
	v_and_b32_e32 v6, 3, v6
	v_cmp_eq_u32_e32 vcc_lo, 0, v3
	s_delay_alu instid0(VALU_DEP_2) | instskip(NEXT) | instid1(VALU_DEP_1)
	v_dual_cndmask_b32 v3, v3, v5 :: v_dual_cndmask_b32 v4, v4, v6
	v_lshl_add_u32 v3, v3, 23, 0x37800000
	s_delay_alu instid0(VALU_DEP_2) | instskip(NEXT) | instid1(VALU_DEP_1)
	v_lshlrev_b32_e32 v4, 21, v4
	v_or3_b32 v43, v2, v3, v4
.LBB51_2648:
	s_or_b32 exec_lo, exec_lo, s2
	s_mov_b32 s1, 0
	s_branch .LBB51_2654
.LBB51_2649:
	s_mov_b32 s1, -1
                                        ; implicit-def: $vgpr43
	s_branch .LBB51_2660
.LBB51_2650:
	s_or_saveexec_b32 s4, s4
	v_mov_b32_e32 v43, s3
	s_xor_b32 exec_lo, exec_lo, s4
	s_cbranch_execz .LBB51_2633
.LBB51_2651:
	v_cmp_ne_u16_e32 vcc_lo, 0, v2
	v_mov_b32_e32 v43, 0
	s_and_not1_b32 s2, s2, exec_lo
	s_and_b32 s3, vcc_lo, exec_lo
	s_delay_alu instid0(SALU_CYCLE_1)
	s_or_b32 s2, s2, s3
	s_or_b32 exec_lo, exec_lo, s4
	s_and_saveexec_b32 s3, s2
	s_cbranch_execnz .LBB51_2634
	s_branch .LBB51_2635
.LBB51_2652:
	s_mov_b32 s1, -1
                                        ; implicit-def: $vgpr43
	s_branch .LBB51_2657
.LBB51_2653:
	s_mov_b32 s1, -1
                                        ; implicit-def: $vgpr43
.LBB51_2654:
	s_delay_alu instid0(SALU_CYCLE_1)
	s_and_b32 vcc_lo, exec_lo, s1
	s_cbranch_vccz .LBB51_2656
; %bb.2655:
	global_load_u8 v2, v[0:1], off
	s_waitcnt vmcnt(0)
	v_lshlrev_b32_e32 v2, 24, v2
	s_delay_alu instid0(VALU_DEP_1) | instskip(NEXT) | instid1(VALU_DEP_1)
	v_and_b32_e32 v3, 0x7f000000, v2
	v_clz_i32_u32_e32 v4, v3
	v_add_nc_u32_e32 v6, 0x1000000, v3
	v_cmp_ne_u32_e32 vcc_lo, 0, v3
	s_delay_alu instid0(VALU_DEP_3) | instskip(NEXT) | instid1(VALU_DEP_1)
	v_min_u32_e32 v4, 32, v4
	v_sub_nc_u32_e64 v4, v4, 4 clamp
	s_delay_alu instid0(VALU_DEP_1) | instskip(SKIP_1) | instid1(VALU_DEP_2)
	v_lshlrev_b32_e32 v5, v4, v3
	v_lshlrev_b32_e32 v4, 23, v4
	v_lshrrev_b32_e32 v5, 4, v5
	s_delay_alu instid0(VALU_DEP_1) | instskip(SKIP_1) | instid1(VALU_DEP_2)
	v_sub_nc_u32_e32 v4, v5, v4
	v_ashrrev_i32_e32 v5, 8, v6
	v_add_nc_u32_e32 v4, 0x3c000000, v4
	s_delay_alu instid0(VALU_DEP_1) | instskip(NEXT) | instid1(VALU_DEP_1)
	v_and_or_b32 v4, 0x7f800000, v5, v4
	v_cndmask_b32_e32 v3, 0, v4, vcc_lo
	s_delay_alu instid0(VALU_DEP_1)
	v_and_or_b32 v43, 0x80000000, v2, v3
.LBB51_2656:
	s_mov_b32 s1, 0
.LBB51_2657:
	s_delay_alu instid0(SALU_CYCLE_1)
	s_and_not1_b32 vcc_lo, exec_lo, s1
	s_cbranch_vccnz .LBB51_2659
; %bb.2658:
	global_load_u8 v2, v[0:1], off
	s_waitcnt vmcnt(0)
	v_lshlrev_b32_e32 v3, 25, v2
	v_lshlrev_b16 v2, 8, v2
	s_delay_alu instid0(VALU_DEP_2) | instskip(NEXT) | instid1(VALU_DEP_2)
	v_lshrrev_b32_e32 v4, 4, v3
	v_and_or_b32 v5, 0x7f00, v2, 0.5
	v_bfe_i32 v2, v2, 0, 16
	s_delay_alu instid0(VALU_DEP_3) | instskip(NEXT) | instid1(VALU_DEP_1)
	v_or_b32_e32 v4, 0x70000000, v4
	v_dual_add_f32 v5, -0.5, v5 :: v_dual_mul_f32 v4, 0x7800000, v4
	v_cmp_gt_u32_e32 vcc_lo, 0x8000000, v3
	s_delay_alu instid0(VALU_DEP_2) | instskip(NEXT) | instid1(VALU_DEP_1)
	v_cndmask_b32_e32 v3, v4, v5, vcc_lo
	v_and_or_b32 v43, 0x80000000, v2, v3
.LBB51_2659:
	s_mov_b32 s1, 0
	s_mov_b32 s2, -1
.LBB51_2660:
	s_and_not1_b32 vcc_lo, exec_lo, s1
	s_mov_b32 s1, 0
	s_cbranch_vccnz .LBB51_2671
; %bb.2661:
	v_cmp_gt_i16_e64 s1, s46, 14
	s_delay_alu instid0(VALU_DEP_1)
	s_and_b32 vcc_lo, exec_lo, s1
	s_cbranch_vccz .LBB51_2664
; %bb.2662:
	v_cmp_eq_u16_e64 s0, s46, 15
	s_delay_alu instid0(VALU_DEP_1)
	s_and_b32 vcc_lo, exec_lo, s0
	s_cbranch_vccz .LBB51_2667
; %bb.2663:
	global_load_u16 v2, v[0:1], off
	s_mov_b32 s0, 0
	s_mov_b32 s2, -1
	s_waitcnt vmcnt(0)
	v_lshlrev_b32_e32 v43, 16, v2
	s_branch .LBB51_2668
.LBB51_2664:
	s_mov_b32 s1, -1
                                        ; implicit-def: $vgpr43
	s_branch .LBB51_2669
.LBB51_2665:
	s_or_saveexec_b32 s3, s3
	v_mov_b32_e32 v43, s2
	s_xor_b32 exec_lo, exec_lo, s3
	s_cbranch_execz .LBB51_2646
.LBB51_2666:
	v_cmp_ne_u16_e32 vcc_lo, 0, v2
	v_mov_b32_e32 v43, 0
	s_and_not1_b32 s1, s1, exec_lo
	s_and_b32 s2, vcc_lo, exec_lo
	s_delay_alu instid0(SALU_CYCLE_1)
	s_or_b32 s1, s1, s2
	s_or_b32 exec_lo, exec_lo, s3
	s_and_saveexec_b32 s2, s1
	s_cbranch_execnz .LBB51_2647
	s_branch .LBB51_2648
.LBB51_2667:
	s_mov_b32 s0, -1
                                        ; implicit-def: $vgpr43
.LBB51_2668:
	s_mov_b32 s1, 0
.LBB51_2669:
	s_delay_alu instid0(SALU_CYCLE_1)
	s_and_b32 vcc_lo, exec_lo, s1
	s_mov_b32 s1, 0
	s_cbranch_vccz .LBB51_2671
; %bb.2670:
	v_cmp_ne_u16_e64 s0, s46, 11
	s_mov_b32 s1, -1
                                        ; implicit-def: $vgpr43
.LBB51_2671:
	s_delay_alu instid0(VALU_DEP_1)
	s_and_b32 vcc_lo, exec_lo, s0
	s_cbranch_vccnz .LBB51_3206
; %bb.2672:
	s_and_not1_b32 vcc_lo, exec_lo, s1
	s_cbranch_vccnz .LBB51_2674
.LBB51_2673:
	global_load_u8 v2, v[0:1], off
	s_mov_b32 s2, -1
	s_waitcnt vmcnt(0)
	v_cmp_ne_u16_e32 vcc_lo, 0, v2
	v_cndmask_b32_e64 v43, 0, 1.0, vcc_lo
.LBB51_2674:
	s_mov_b32 s0, 0
.LBB51_2675:
	s_delay_alu instid0(SALU_CYCLE_1)
	s_and_b32 vcc_lo, exec_lo, s0
	s_cbranch_vccz .LBB51_2724
; %bb.2676:
	v_cmp_lt_i16_e64 s0, s46, 5
	s_delay_alu instid0(VALU_DEP_1)
	s_and_b32 vcc_lo, exec_lo, s0
	s_cbranch_vccnz .LBB51_2681
; %bb.2677:
	v_cmp_lt_i16_e64 s0, s46, 8
	s_delay_alu instid0(VALU_DEP_1)
	s_and_b32 vcc_lo, exec_lo, s0
	s_cbranch_vccnz .LBB51_2682
	;; [unrolled: 5-line block ×3, first 2 shown]
; %bb.2679:
	v_cmp_gt_i16_e64 s0, s46, 9
	s_delay_alu instid0(VALU_DEP_1)
	s_and_b32 vcc_lo, exec_lo, s0
	s_cbranch_vccz .LBB51_2684
; %bb.2680:
	global_load_b64 v[2:3], v[0:1], off
	s_mov_b32 s0, 0
	s_waitcnt vmcnt(0)
	v_cvt_f32_f64_e32 v43, v[2:3]
	s_branch .LBB51_2685
.LBB51_2681:
	s_mov_b32 s0, -1
                                        ; implicit-def: $vgpr43
	s_branch .LBB51_2703
.LBB51_2682:
	s_mov_b32 s0, -1
                                        ; implicit-def: $vgpr43
	s_branch .LBB51_2691
.LBB51_2683:
	s_mov_b32 s0, -1
                                        ; implicit-def: $vgpr43
	s_branch .LBB51_2688
.LBB51_2684:
	s_mov_b32 s0, -1
                                        ; implicit-def: $vgpr43
.LBB51_2685:
	s_delay_alu instid0(SALU_CYCLE_1)
	s_and_not1_b32 vcc_lo, exec_lo, s0
	s_cbranch_vccnz .LBB51_2687
; %bb.2686:
	global_load_b32 v43, v[0:1], off
.LBB51_2687:
	s_mov_b32 s0, 0
.LBB51_2688:
	s_delay_alu instid0(SALU_CYCLE_1)
	s_and_not1_b32 vcc_lo, exec_lo, s0
	s_cbranch_vccnz .LBB51_2690
; %bb.2689:
	global_load_b32 v2, v[0:1], off
	s_waitcnt vmcnt(0)
	v_cvt_f32_f16_e32 v43, v2
.LBB51_2690:
	s_mov_b32 s0, 0
.LBB51_2691:
	s_delay_alu instid0(SALU_CYCLE_1)
	s_and_not1_b32 vcc_lo, exec_lo, s0
	s_cbranch_vccnz .LBB51_2702
; %bb.2692:
	v_cmp_lt_i16_e64 s0, s46, 6
	s_delay_alu instid0(VALU_DEP_1)
	s_and_b32 vcc_lo, exec_lo, s0
	s_cbranch_vccnz .LBB51_2695
; %bb.2693:
	v_cmp_gt_i16_e64 s0, s46, 6
	s_delay_alu instid0(VALU_DEP_1)
	s_and_b32 vcc_lo, exec_lo, s0
	s_cbranch_vccz .LBB51_2696
; %bb.2694:
	global_load_b64 v[2:3], v[0:1], off
	s_mov_b32 s0, 0
	s_waitcnt vmcnt(0)
	v_cvt_f32_f64_e32 v43, v[2:3]
	s_branch .LBB51_2697
.LBB51_2695:
	s_mov_b32 s0, -1
                                        ; implicit-def: $vgpr43
	s_branch .LBB51_2700
.LBB51_2696:
	s_mov_b32 s0, -1
                                        ; implicit-def: $vgpr43
.LBB51_2697:
	s_delay_alu instid0(SALU_CYCLE_1)
	s_and_not1_b32 vcc_lo, exec_lo, s0
	s_cbranch_vccnz .LBB51_2699
; %bb.2698:
	global_load_b32 v43, v[0:1], off
.LBB51_2699:
	s_mov_b32 s0, 0
.LBB51_2700:
	s_delay_alu instid0(SALU_CYCLE_1)
	s_and_not1_b32 vcc_lo, exec_lo, s0
	s_cbranch_vccnz .LBB51_2702
; %bb.2701:
	global_load_u16 v2, v[0:1], off
	s_waitcnt vmcnt(0)
	v_cvt_f32_f16_e32 v43, v2
.LBB51_2702:
	s_mov_b32 s0, 0
.LBB51_2703:
	s_delay_alu instid0(SALU_CYCLE_1)
	s_and_not1_b32 vcc_lo, exec_lo, s0
	s_cbranch_vccnz .LBB51_2723
; %bb.2704:
	v_cmp_lt_i16_e64 s0, s46, 2
	s_delay_alu instid0(VALU_DEP_1)
	s_and_b32 vcc_lo, exec_lo, s0
	s_cbranch_vccnz .LBB51_2708
; %bb.2705:
	v_cmp_lt_i16_e64 s0, s46, 3
	s_delay_alu instid0(VALU_DEP_1)
	s_and_b32 vcc_lo, exec_lo, s0
	s_cbranch_vccnz .LBB51_2709
; %bb.2706:
	v_cmp_gt_i16_e64 s0, s46, 3
	s_delay_alu instid0(VALU_DEP_1)
	s_and_b32 vcc_lo, exec_lo, s0
	s_cbranch_vccz .LBB51_2710
; %bb.2707:
	global_load_b64 v[2:3], v[0:1], off
	s_mov_b32 s0, 0
	s_waitcnt vmcnt(0)
	v_xor_b32_e32 v4, v2, v3
	v_cls_i32_e32 v5, v3
	s_delay_alu instid0(VALU_DEP_2) | instskip(NEXT) | instid1(VALU_DEP_2)
	v_ashrrev_i32_e32 v4, 31, v4
	v_add_nc_u32_e32 v5, -1, v5
	s_delay_alu instid0(VALU_DEP_2) | instskip(NEXT) | instid1(VALU_DEP_1)
	v_add_nc_u32_e32 v4, 32, v4
	v_min_u32_e32 v4, v5, v4
	s_delay_alu instid0(VALU_DEP_1) | instskip(NEXT) | instid1(VALU_DEP_1)
	v_lshlrev_b64 v[2:3], v4, v[2:3]
	v_min_u32_e32 v2, 1, v2
	s_delay_alu instid0(VALU_DEP_1) | instskip(SKIP_1) | instid1(VALU_DEP_2)
	v_or_b32_e32 v2, v3, v2
	v_sub_nc_u32_e32 v3, 32, v4
	v_cvt_f32_i32_e32 v2, v2
	s_delay_alu instid0(VALU_DEP_1)
	v_ldexp_f32 v43, v2, v3
	s_branch .LBB51_2711
.LBB51_2708:
	s_mov_b32 s0, -1
                                        ; implicit-def: $vgpr43
	s_branch .LBB51_2717
.LBB51_2709:
	s_mov_b32 s0, -1
                                        ; implicit-def: $vgpr43
	s_branch .LBB51_2714
.LBB51_2710:
	s_mov_b32 s0, -1
                                        ; implicit-def: $vgpr43
.LBB51_2711:
	s_delay_alu instid0(SALU_CYCLE_1)
	s_and_not1_b32 vcc_lo, exec_lo, s0
	s_cbranch_vccnz .LBB51_2713
; %bb.2712:
	global_load_b32 v2, v[0:1], off
	s_waitcnt vmcnt(0)
	v_cvt_f32_i32_e32 v43, v2
.LBB51_2713:
	s_mov_b32 s0, 0
.LBB51_2714:
	s_delay_alu instid0(SALU_CYCLE_1)
	s_and_not1_b32 vcc_lo, exec_lo, s0
	s_cbranch_vccnz .LBB51_2716
; %bb.2715:
	global_load_i16 v2, v[0:1], off
	s_waitcnt vmcnt(0)
	v_cvt_f32_i32_e32 v43, v2
.LBB51_2716:
	s_mov_b32 s0, 0
.LBB51_2717:
	s_delay_alu instid0(SALU_CYCLE_1)
	s_and_not1_b32 vcc_lo, exec_lo, s0
	s_cbranch_vccnz .LBB51_2723
; %bb.2718:
	v_cmp_gt_i16_e64 s0, s46, 0
	s_delay_alu instid0(VALU_DEP_1)
	s_and_b32 vcc_lo, exec_lo, s0
	s_mov_b32 s0, 0
	s_cbranch_vccz .LBB51_2720
; %bb.2719:
	global_load_i8 v2, v[0:1], off
	s_waitcnt vmcnt(0)
	v_cvt_f32_i32_e32 v43, v2
	s_branch .LBB51_2721
.LBB51_2720:
	s_mov_b32 s0, -1
                                        ; implicit-def: $vgpr43
.LBB51_2721:
	s_delay_alu instid0(SALU_CYCLE_1)
	s_and_not1_b32 vcc_lo, exec_lo, s0
	s_cbranch_vccnz .LBB51_2723
; %bb.2722:
	global_load_u8 v0, v[0:1], off
	s_waitcnt vmcnt(0)
	v_cvt_f32_ubyte0_e32 v43, v0
.LBB51_2723:
	s_mov_b32 s2, -1
.LBB51_2724:
	s_delay_alu instid0(SALU_CYCLE_1)
	s_and_not1_b32 vcc_lo, exec_lo, s2
	s_cbranch_vccnz .LBB51_2727
; %bb.2725:
	s_and_b32 vcc_lo, exec_lo, s47
	s_cbranch_vccz .LBB51_2772
; %bb.2726:
	s_waitcnt vmcnt(0)
	s_delay_alu instid0(VALU_DEP_1) | instskip(SKIP_3) | instid1(SALU_CYCLE_1)
	v_dual_mov_b32 v0, v40 :: v_dual_mov_b32 v1, v43
	s_getpc_b64 s[0:1]
	s_add_u32 s0, s0, _ZN12_GLOBAL__N_111calc_igammaIfEET_S1_S1_@rel32@lo+4
	s_addc_u32 s1, s1, _ZN12_GLOBAL__N_111calc_igammaIfEET_S1_S1_@rel32@hi+12
	s_swappc_b64 s[30:31], s[0:1]
	s_mov_b32 s0, 0
	s_branch .LBB51_2773
.LBB51_2727:
	s_mov_b32 s0, 0
	s_mov_b32 s1, 0
                                        ; implicit-def: $vgpr2_vgpr3
                                        ; implicit-def: $vgpr4
                                        ; implicit-def: $vgpr0
.LBB51_2728:
	s_and_b32 s2, s0, exec_lo
	s_and_not1_b32 s0, s42, exec_lo
	s_and_b32 s3, s44, exec_lo
	s_and_b32 s60, s1, exec_lo
	s_or_b32 s42, s0, s3
.LBB51_2729:
	s_or_b32 exec_lo, exec_lo, s43
	s_and_saveexec_b32 s0, s42
	s_cbranch_execz .LBB51_2732
; %bb.2730:
	; divergent unreachable
	s_or_b32 exec_lo, exec_lo, s0
	s_and_saveexec_b32 s0, s60
	s_delay_alu instid0(SALU_CYCLE_1)
	s_xor_b32 s0, exec_lo, s0
	s_cbranch_execnz .LBB51_2733
.LBB51_2731:
	s_or_b32 exec_lo, exec_lo, s0
	s_and_saveexec_b32 s0, s2
	s_cbranch_execnz .LBB51_2734
	s_branch .LBB51_2771
.LBB51_2732:
	s_or_b32 exec_lo, exec_lo, s0
	s_and_saveexec_b32 s0, s60
	s_delay_alu instid0(SALU_CYCLE_1)
	s_xor_b32 s0, exec_lo, s0
	s_cbranch_execz .LBB51_2731
.LBB51_2733:
	v_cmp_neq_f32_e32 vcc_lo, 0, v0
	v_cndmask_b32_e64 v1, 0, 1, vcc_lo
	global_store_b8 v[2:3], v1, off
	s_or_b32 exec_lo, exec_lo, s0
	s_and_saveexec_b32 s0, s2
	s_cbranch_execz .LBB51_2771
.LBB51_2734:
	v_cmp_gt_i16_e32 vcc_lo, 5, v4
	s_mov_b32 s0, -1
	s_cbranch_vccnz .LBB51_2755
; %bb.2735:
	v_cmp_gt_i16_e32 vcc_lo, 8, v4
	s_cbranch_vccnz .LBB51_2745
; %bb.2736:
	v_cmp_gt_i16_e32 vcc_lo, 9, v4
	s_cbranch_vccnz .LBB51_2742
; %bb.2737:
	v_cmp_lt_i16_e32 vcc_lo, 9, v4
	s_cbranch_vccz .LBB51_2739
; %bb.2738:
	v_cvt_f64_f32_e32 v[5:6], v0
	v_mov_b32_e32 v7, 0
	s_mov_b32 s0, 0
	s_delay_alu instid0(VALU_DEP_1)
	v_mov_b32_e32 v8, v7
	global_store_b128 v[2:3], v[5:8], off
.LBB51_2739:
	s_and_not1_b32 vcc_lo, exec_lo, s0
	s_cbranch_vccnz .LBB51_2741
; %bb.2740:
	v_mov_b32_e32 v1, 0
	global_store_b64 v[2:3], v[0:1], off
.LBB51_2741:
	s_mov_b32 s0, 0
.LBB51_2742:
	s_delay_alu instid0(SALU_CYCLE_1)
	s_and_not1_b32 vcc_lo, exec_lo, s0
	s_cbranch_vccnz .LBB51_2744
; %bb.2743:
	v_cvt_f16_f32_e32 v1, v0
	s_delay_alu instid0(VALU_DEP_1)
	v_and_b32_e32 v1, 0xffff, v1
	global_store_b32 v[2:3], v1, off
.LBB51_2744:
	s_mov_b32 s0, 0
.LBB51_2745:
	s_delay_alu instid0(SALU_CYCLE_1)
	s_and_not1_b32 vcc_lo, exec_lo, s0
	s_cbranch_vccnz .LBB51_2754
; %bb.2746:
	v_cmp_gt_i16_e32 vcc_lo, 6, v4
	s_mov_b32 s0, -1
	s_cbranch_vccnz .LBB51_2752
; %bb.2747:
	v_cmp_lt_i16_e32 vcc_lo, 6, v4
	s_cbranch_vccz .LBB51_2749
; %bb.2748:
	v_cvt_f64_f32_e32 v[5:6], v0
	s_mov_b32 s0, 0
	global_store_b64 v[2:3], v[5:6], off
.LBB51_2749:
	s_and_not1_b32 vcc_lo, exec_lo, s0
	s_cbranch_vccnz .LBB51_2751
; %bb.2750:
	global_store_b32 v[2:3], v0, off
.LBB51_2751:
	s_mov_b32 s0, 0
.LBB51_2752:
	s_delay_alu instid0(SALU_CYCLE_1)
	s_and_not1_b32 vcc_lo, exec_lo, s0
	s_cbranch_vccnz .LBB51_2754
; %bb.2753:
	v_cvt_f16_f32_e32 v1, v0
	global_store_b16 v[2:3], v1, off
.LBB51_2754:
	s_mov_b32 s0, 0
.LBB51_2755:
	s_delay_alu instid0(SALU_CYCLE_1)
	s_and_not1_b32 vcc_lo, exec_lo, s0
	s_cbranch_vccnz .LBB51_2771
; %bb.2756:
	v_cmp_gt_i16_e32 vcc_lo, 2, v4
	s_mov_b32 s0, -1
	s_cbranch_vccnz .LBB51_2766
; %bb.2757:
	v_cmp_gt_i16_e32 vcc_lo, 3, v4
	s_cbranch_vccnz .LBB51_2763
; %bb.2758:
	v_cmp_lt_i16_e32 vcc_lo, 3, v4
	s_cbranch_vccz .LBB51_2760
; %bb.2759:
	v_trunc_f32_e32 v1, v0
	s_mov_b32 s0, 0
	s_delay_alu instid0(VALU_DEP_1) | instskip(NEXT) | instid1(VALU_DEP_1)
	v_mul_f32_e64 v5, 0x2f800000, |v1|
	v_floor_f32_e32 v5, v5
	s_delay_alu instid0(VALU_DEP_1) | instskip(SKIP_2) | instid1(VALU_DEP_3)
	v_fma_f32 v6, 0xcf800000, v5, |v1|
	v_ashrrev_i32_e32 v1, 31, v1
	v_cvt_u32_f32_e32 v5, v5
	v_cvt_u32_f32_e32 v6, v6
	s_delay_alu instid0(VALU_DEP_2) | instskip(NEXT) | instid1(VALU_DEP_2)
	v_xor_b32_e32 v7, v5, v1
	v_xor_b32_e32 v6, v6, v1
	s_delay_alu instid0(VALU_DEP_1) | instskip(NEXT) | instid1(VALU_DEP_3)
	v_sub_co_u32 v5, vcc_lo, v6, v1
	v_sub_co_ci_u32_e32 v6, vcc_lo, v7, v1, vcc_lo
	global_store_b64 v[2:3], v[5:6], off
.LBB51_2760:
	s_and_not1_b32 vcc_lo, exec_lo, s0
	s_cbranch_vccnz .LBB51_2762
; %bb.2761:
	v_cvt_i32_f32_e32 v1, v0
	global_store_b32 v[2:3], v1, off
.LBB51_2762:
	s_mov_b32 s0, 0
.LBB51_2763:
	s_delay_alu instid0(SALU_CYCLE_1)
	s_and_not1_b32 vcc_lo, exec_lo, s0
	s_cbranch_vccnz .LBB51_2765
; %bb.2764:
	v_cvt_i32_f32_e32 v1, v0
	global_store_b16 v[2:3], v1, off
.LBB51_2765:
	s_mov_b32 s0, 0
.LBB51_2766:
	s_delay_alu instid0(SALU_CYCLE_1)
	s_and_not1_b32 vcc_lo, exec_lo, s0
	s_cbranch_vccnz .LBB51_2771
; %bb.2767:
	v_cmp_lt_i16_e32 vcc_lo, 0, v4
	s_mov_b32 s0, -1
	s_cbranch_vccz .LBB51_2769
; %bb.2768:
	v_cvt_i32_f32_e32 v1, v0
	s_mov_b32 s0, 0
	global_store_b8 v[2:3], v1, off
.LBB51_2769:
	s_and_not1_b32 vcc_lo, exec_lo, s0
	s_cbranch_vccnz .LBB51_2771
; %bb.2770:
	v_trunc_f32_e32 v0, v0
	s_delay_alu instid0(VALU_DEP_1) | instskip(NEXT) | instid1(VALU_DEP_1)
	v_mul_f32_e64 v1, 0x2f800000, |v0|
	v_floor_f32_e32 v1, v1
	s_delay_alu instid0(VALU_DEP_1) | instskip(SKIP_1) | instid1(VALU_DEP_2)
	v_fma_f32 v1, 0xcf800000, v1, |v0|
	v_ashrrev_i32_e32 v0, 31, v0
	v_cvt_u32_f32_e32 v1, v1
	s_delay_alu instid0(VALU_DEP_1) | instskip(NEXT) | instid1(VALU_DEP_1)
	v_xor_b32_e32 v1, v1, v0
	v_sub_nc_u32_e32 v0, v1, v0
	global_store_b8 v[2:3], v0, off
	s_endpgm
.LBB51_2771:
	s_endpgm
.LBB51_2772:
	s_mov_b32 s0, -1
                                        ; implicit-def: $vgpr0
.LBB51_2773:
	s_delay_alu instid0(SALU_CYCLE_1)
	s_and_not1_b32 vcc_lo, exec_lo, s0
	s_cbranch_vccnz .LBB51_2775
; %bb.2774:
	s_waitcnt vmcnt(0)
	s_delay_alu instid0(VALU_DEP_1) | instskip(SKIP_3) | instid1(SALU_CYCLE_1)
	v_dual_mov_b32 v0, v40 :: v_dual_mov_b32 v1, v43
	s_getpc_b64 s[0:1]
	s_add_u32 s0, s0, _ZN12_GLOBAL__N_112calc_igammacIfEET_S1_S1_@rel32@lo+4
	s_addc_u32 s1, s1, _ZN12_GLOBAL__N_112calc_igammacIfEET_S1_S1_@rel32@hi+12
	s_swappc_b64 s[30:31], s[0:1]
.LBB51_2775:
	s_lshr_b32 s0, s45, 8
	s_mov_b32 s2, 0
	v_and_b32_e64 v4, 0xff, s0
	v_add_co_u32 v1, s0, s36, v58
	s_delay_alu instid0(VALU_DEP_1) | instskip(NEXT) | instid1(VALU_DEP_3)
	v_add_co_ci_u32_e64 v2, null, s37, 0, s0
	v_cmp_gt_i16_e32 vcc_lo, 11, v4
	s_mov_b32 s0, -1
	s_cbranch_vccnz .LBB51_2853
; %bb.2776:
	v_cmp_lt_i16_e32 vcc_lo, 25, v4
	s_mov_b32 s3, -1
	s_mov_b32 s1, 0
	s_mov_b32 s0, 0
	s_cbranch_vccz .LBB51_2809
; %bb.2777:
	v_cmp_lt_i16_e32 vcc_lo, 28, v4
	s_cbranch_vccz .LBB51_2792
; %bb.2778:
	v_cmp_lt_i16_e32 vcc_lo, 43, v4
	;; [unrolled: 3-line block ×3, first 2 shown]
	s_cbranch_vccz .LBB51_2782
; %bb.2780:
	v_cmp_eq_u16_e32 vcc_lo, 46, v4
	s_mov_b32 s0, -1
	s_mov_b32 s3, 0
	s_cbranch_vccz .LBB51_2782
; %bb.2781:
	s_waitcnt vmcnt(0)
	v_bfe_u32 v3, v42, 16, 1
	v_cmp_o_f32_e32 vcc_lo, v42, v42
	s_mov_b32 s0, 0
	s_mov_b32 s2, -1
	s_delay_alu instid0(VALU_DEP_2) | instskip(NEXT) | instid1(VALU_DEP_1)
	v_add3_u32 v3, v42, v3, 0x7fff
	v_lshrrev_b32_e32 v3, 16, v3
	s_delay_alu instid0(VALU_DEP_1)
	v_cndmask_b32_e32 v3, 0x7fc0, v3, vcc_lo
	global_store_b32 v[1:2], v3, off
.LBB51_2782:
	s_and_b32 vcc_lo, exec_lo, s3
	s_cbranch_vccz .LBB51_2787
; %bb.2783:
	v_cmp_eq_u16_e32 vcc_lo, 44, v4
	s_mov_b32 s0, -1
	s_cbranch_vccz .LBB51_2787
; %bb.2784:
	s_waitcnt vmcnt(0)
	v_bfe_u32 v5, v42, 23, 8
	v_mov_b32_e32 v3, 0xff
	s_mov_b32 s2, exec_lo
	s_delay_alu instid0(VALU_DEP_2)
	v_cmpx_ne_u32_e32 0xff, v5
; %bb.2785:
	v_and_b32_e32 v3, 0x400000, v42
	v_and_or_b32 v5, 0x3fffff, v42, v5
	s_delay_alu instid0(VALU_DEP_2) | instskip(NEXT) | instid1(VALU_DEP_2)
	v_cmp_ne_u32_e32 vcc_lo, 0, v3
	v_cmp_ne_u32_e64 s0, 0, v5
	v_lshrrev_b32_e32 v3, 23, v42
	s_delay_alu instid0(VALU_DEP_2) | instskip(NEXT) | instid1(SALU_CYCLE_1)
	s_and_b32 s0, vcc_lo, s0
	v_cndmask_b32_e64 v5, 0, 1, s0
	s_delay_alu instid0(VALU_DEP_1)
	v_add_nc_u32_e32 v3, v3, v5
; %bb.2786:
	s_or_b32 exec_lo, exec_lo, s2
	s_mov_b32 s0, 0
	s_mov_b32 s2, -1
	global_store_b8 v[1:2], v3, off
.LBB51_2787:
	s_mov_b32 s3, 0
.LBB51_2788:
	s_delay_alu instid0(SALU_CYCLE_1)
	s_and_b32 vcc_lo, exec_lo, s3
	s_cbranch_vccz .LBB51_2791
; %bb.2789:
	v_cmp_eq_u16_e32 vcc_lo, 29, v4
	s_mov_b32 s0, -1
	s_cbranch_vccz .LBB51_2791
; %bb.2790:
	s_waitcnt vmcnt(0)
	v_trunc_f32_e32 v3, v42
	s_mov_b32 s0, 0
	s_mov_b32 s2, -1
	s_delay_alu instid0(VALU_DEP_1) | instskip(NEXT) | instid1(VALU_DEP_1)
	v_mul_f32_e32 v5, 0x2f800000, v3
	v_floor_f32_e32 v5, v5
	s_delay_alu instid0(VALU_DEP_1) | instskip(SKIP_1) | instid1(VALU_DEP_2)
	v_fmamk_f32 v3, v5, 0xcf800000, v3
	v_cvt_u32_f32_e32 v6, v5
	v_cvt_u32_f32_e32 v5, v3
	global_store_b64 v[1:2], v[5:6], off
.LBB51_2791:
	s_mov_b32 s3, 0
.LBB51_2792:
	s_delay_alu instid0(SALU_CYCLE_1)
	s_and_b32 vcc_lo, exec_lo, s3
	s_cbranch_vccz .LBB51_2808
; %bb.2793:
	v_cmp_gt_i16_e32 vcc_lo, 27, v4
	s_mov_b32 s2, -1
	s_cbranch_vccnz .LBB51_2799
; %bb.2794:
	v_cmp_lt_i16_e32 vcc_lo, 27, v4
	s_waitcnt vmcnt(0)
	v_cvt_u32_f32_e32 v3, v42
	s_cbranch_vccz .LBB51_2796
; %bb.2795:
	s_mov_b32 s2, 0
	global_store_b32 v[1:2], v3, off
.LBB51_2796:
	s_and_not1_b32 vcc_lo, exec_lo, s2
	s_cbranch_vccnz .LBB51_2798
; %bb.2797:
	global_store_b16 v[1:2], v3, off
.LBB51_2798:
	s_mov_b32 s2, 0
.LBB51_2799:
	s_delay_alu instid0(SALU_CYCLE_1)
	s_and_not1_b32 vcc_lo, exec_lo, s2
	s_cbranch_vccnz .LBB51_2807
; %bb.2800:
	s_waitcnt vmcnt(0)
	v_and_b32_e32 v3, 0x7fffffff, v42
	v_mov_b32_e32 v5, 0x80
	s_mov_b32 s2, exec_lo
	s_delay_alu instid0(VALU_DEP_2)
	v_cmpx_gt_u32_e32 0x43800000, v3
	s_cbranch_execz .LBB51_2806
; %bb.2801:
	v_cmp_lt_u32_e32 vcc_lo, 0x3bffffff, v3
	s_mov_b32 s3, 0
                                        ; implicit-def: $vgpr3
	s_and_saveexec_b32 s4, vcc_lo
	s_delay_alu instid0(SALU_CYCLE_1)
	s_xor_b32 s4, exec_lo, s4
	s_cbranch_execz .LBB51_3208
; %bb.2802:
	v_bfe_u32 v3, v42, 20, 1
	s_mov_b32 s3, exec_lo
	s_delay_alu instid0(VALU_DEP_1) | instskip(NEXT) | instid1(VALU_DEP_1)
	v_add3_u32 v3, v42, v3, 0x487ffff
	v_lshrrev_b32_e32 v3, 20, v3
	s_or_saveexec_b32 s4, s4
                                        ; implicit-def: $sgpr5
	s_delay_alu instid0(SALU_CYCLE_1)
	s_xor_b32 exec_lo, exec_lo, s4
	s_cbranch_execnz .LBB51_3209
.LBB51_2803:
	s_or_b32 exec_lo, exec_lo, s4
	v_mov_b32_e32 v5, s5
	s_and_saveexec_b32 s4, s3
.LBB51_2804:
	v_lshrrev_b32_e32 v5, 24, v42
	s_delay_alu instid0(VALU_DEP_1)
	v_and_or_b32 v5, 0x80, v5, v3
.LBB51_2805:
	s_or_b32 exec_lo, exec_lo, s4
.LBB51_2806:
	s_delay_alu instid0(SALU_CYCLE_1)
	s_or_b32 exec_lo, exec_lo, s2
	global_store_b8 v[1:2], v5, off
.LBB51_2807:
	s_mov_b32 s2, -1
.LBB51_2808:
	s_mov_b32 s3, 0
.LBB51_2809:
	s_delay_alu instid0(SALU_CYCLE_1)
	s_and_b32 vcc_lo, exec_lo, s3
	s_cbranch_vccz .LBB51_2849
; %bb.2810:
	v_cmp_lt_i16_e32 vcc_lo, 22, v4
	s_mov_b32 s1, -1
	s_cbranch_vccz .LBB51_2842
; %bb.2811:
	v_cmp_gt_i16_e32 vcc_lo, 24, v4
	s_cbranch_vccnz .LBB51_2831
; %bb.2812:
	v_cmp_lt_i16_e32 vcc_lo, 24, v4
	s_cbranch_vccz .LBB51_2820
; %bb.2813:
	s_waitcnt vmcnt(0)
	v_and_b32_e32 v3, 0x7fffffff, v42
	v_mov_b32_e32 v5, 0x80
	s_mov_b32 s1, exec_lo
	s_delay_alu instid0(VALU_DEP_2)
	v_cmpx_gt_u32_e32 0x47800000, v3
	s_cbranch_execz .LBB51_2819
; %bb.2814:
	v_cmp_lt_u32_e32 vcc_lo, 0x37ffffff, v3
	s_mov_b32 s2, 0
                                        ; implicit-def: $vgpr3
	s_and_saveexec_b32 s3, vcc_lo
	s_delay_alu instid0(SALU_CYCLE_1)
	s_xor_b32 s3, exec_lo, s3
	s_cbranch_execz .LBB51_3214
; %bb.2815:
	v_bfe_u32 v3, v42, 21, 1
	s_mov_b32 s2, exec_lo
	s_delay_alu instid0(VALU_DEP_1) | instskip(NEXT) | instid1(VALU_DEP_1)
	v_add3_u32 v3, v42, v3, 0x88fffff
	v_lshrrev_b32_e32 v3, 21, v3
	s_or_saveexec_b32 s3, s3
                                        ; implicit-def: $sgpr4
	s_delay_alu instid0(SALU_CYCLE_1)
	s_xor_b32 exec_lo, exec_lo, s3
	s_cbranch_execnz .LBB51_3215
.LBB51_2816:
	s_or_b32 exec_lo, exec_lo, s3
	v_mov_b32_e32 v5, s4
	s_and_saveexec_b32 s3, s2
.LBB51_2817:
	v_lshrrev_b32_e32 v5, 24, v42
	s_delay_alu instid0(VALU_DEP_1)
	v_and_or_b32 v5, 0x80, v5, v3
.LBB51_2818:
	s_or_b32 exec_lo, exec_lo, s3
.LBB51_2819:
	s_delay_alu instid0(SALU_CYCLE_1)
	s_or_b32 exec_lo, exec_lo, s1
	s_mov_b32 s1, 0
	global_store_b8 v[1:2], v5, off
.LBB51_2820:
	s_and_b32 vcc_lo, exec_lo, s1
	s_cbranch_vccz .LBB51_2830
; %bb.2821:
	s_waitcnt vmcnt(0)
	v_and_b32_e32 v5, 0x7fffffff, v42
	s_mov_b32 s1, exec_lo
                                        ; implicit-def: $vgpr3
	s_delay_alu instid0(VALU_DEP_1)
	v_cmpx_gt_u32_e32 0x43f00000, v5
	s_xor_b32 s1, exec_lo, s1
	s_cbranch_execz .LBB51_2827
; %bb.2822:
	s_mov_b32 s2, exec_lo
                                        ; implicit-def: $vgpr3
	v_cmpx_lt_u32_e32 0x3c7fffff, v5
	s_xor_b32 s2, exec_lo, s2
; %bb.2823:
	v_bfe_u32 v3, v42, 20, 1
	s_delay_alu instid0(VALU_DEP_1) | instskip(NEXT) | instid1(VALU_DEP_1)
	v_add3_u32 v3, v42, v3, 0x407ffff
	v_and_b32_e32 v5, 0xff00000, v3
	v_lshrrev_b32_e32 v3, 20, v3
	s_delay_alu instid0(VALU_DEP_2) | instskip(NEXT) | instid1(VALU_DEP_2)
	v_cmp_ne_u32_e32 vcc_lo, 0x7f00000, v5
	v_cndmask_b32_e32 v3, 0x7e, v3, vcc_lo
; %bb.2824:
	s_and_not1_saveexec_b32 s2, s2
; %bb.2825:
	v_add_f32_e64 v3, 0x46800000, |v42|
; %bb.2826:
	s_or_b32 exec_lo, exec_lo, s2
                                        ; implicit-def: $vgpr5
.LBB51_2827:
	s_and_not1_saveexec_b32 s1, s1
; %bb.2828:
	v_mov_b32_e32 v3, 0x7f
	v_cmp_lt_u32_e32 vcc_lo, 0x7f800000, v5
	s_delay_alu instid0(VALU_DEP_2)
	v_cndmask_b32_e32 v3, 0x7e, v3, vcc_lo
; %bb.2829:
	s_or_b32 exec_lo, exec_lo, s1
	v_lshrrev_b32_e32 v5, 24, v42
	s_delay_alu instid0(VALU_DEP_1)
	v_and_or_b32 v3, 0x80, v5, v3
	global_store_b8 v[1:2], v3, off
.LBB51_2830:
	s_mov_b32 s1, 0
.LBB51_2831:
	s_delay_alu instid0(SALU_CYCLE_1)
	s_and_not1_b32 vcc_lo, exec_lo, s1
	s_cbranch_vccnz .LBB51_2841
; %bb.2832:
	s_waitcnt vmcnt(0)
	v_and_b32_e32 v5, 0x7fffffff, v42
	s_mov_b32 s1, exec_lo
                                        ; implicit-def: $vgpr3
	s_delay_alu instid0(VALU_DEP_1)
	v_cmpx_gt_u32_e32 0x47800000, v5
	s_xor_b32 s1, exec_lo, s1
	s_cbranch_execz .LBB51_2838
; %bb.2833:
	s_mov_b32 s2, exec_lo
                                        ; implicit-def: $vgpr3
	v_cmpx_lt_u32_e32 0x387fffff, v5
	s_xor_b32 s2, exec_lo, s2
; %bb.2834:
	v_bfe_u32 v3, v42, 21, 1
	s_delay_alu instid0(VALU_DEP_1) | instskip(NEXT) | instid1(VALU_DEP_1)
	v_add3_u32 v3, v42, v3, 0x80fffff
	v_lshrrev_b32_e32 v3, 21, v3
; %bb.2835:
	s_and_not1_saveexec_b32 s2, s2
; %bb.2836:
	v_add_f32_e64 v3, 0x43000000, |v42|
; %bb.2837:
	s_or_b32 exec_lo, exec_lo, s2
                                        ; implicit-def: $vgpr5
.LBB51_2838:
	s_and_not1_saveexec_b32 s1, s1
; %bb.2839:
	v_mov_b32_e32 v3, 0x7f
	v_cmp_lt_u32_e32 vcc_lo, 0x7f800000, v5
	s_delay_alu instid0(VALU_DEP_2)
	v_cndmask_b32_e32 v3, 0x7c, v3, vcc_lo
; %bb.2840:
	s_or_b32 exec_lo, exec_lo, s1
	v_lshrrev_b32_e32 v5, 24, v42
	s_delay_alu instid0(VALU_DEP_1)
	v_and_or_b32 v3, 0x80, v5, v3
	global_store_b8 v[1:2], v3, off
.LBB51_2841:
	s_mov_b32 s1, 0
	s_mov_b32 s2, -1
.LBB51_2842:
	s_and_not1_b32 vcc_lo, exec_lo, s1
	s_mov_b32 s1, 0
	s_cbranch_vccnz .LBB51_2849
; %bb.2843:
	v_cmp_lt_i16_e32 vcc_lo, 14, v4
	s_mov_b32 s1, -1
	s_cbranch_vccz .LBB51_2847
; %bb.2844:
	v_cmp_eq_u16_e32 vcc_lo, 15, v4
	s_mov_b32 s0, -1
	s_cbranch_vccz .LBB51_2846
; %bb.2845:
	s_waitcnt vmcnt(0)
	v_bfe_u32 v3, v42, 16, 1
	v_cmp_o_f32_e32 vcc_lo, v42, v42
	s_mov_b32 s0, 0
	s_mov_b32 s2, -1
	s_delay_alu instid0(VALU_DEP_2) | instskip(NEXT) | instid1(VALU_DEP_1)
	v_add3_u32 v3, v42, v3, 0x7fff
	v_lshrrev_b32_e32 v3, 16, v3
	s_delay_alu instid0(VALU_DEP_1)
	v_cndmask_b32_e32 v3, 0x7fc0, v3, vcc_lo
	global_store_b16 v[1:2], v3, off
.LBB51_2846:
	s_mov_b32 s1, 0
.LBB51_2847:
	s_delay_alu instid0(SALU_CYCLE_1)
	s_and_b32 vcc_lo, exec_lo, s1
	s_mov_b32 s1, 0
	s_cbranch_vccz .LBB51_2849
; %bb.2848:
	v_cmp_ne_u16_e64 s0, 11, v4
	s_mov_b32 s1, -1
.LBB51_2849:
	s_delay_alu instid0(VALU_DEP_1)
	s_and_b32 vcc_lo, exec_lo, s0
	s_cbranch_vccnz .LBB51_3212
; %bb.2850:
	s_and_not1_b32 vcc_lo, exec_lo, s1
	s_cbranch_vccnz .LBB51_2852
.LBB51_2851:
	s_waitcnt vmcnt(0)
	v_cmp_neq_f32_e32 vcc_lo, 0, v42
	s_mov_b32 s2, -1
	v_cndmask_b32_e64 v3, 0, 1, vcc_lo
	global_store_b8 v[1:2], v3, off
.LBB51_2852:
	s_mov_b32 s0, 0
.LBB51_2853:
	s_delay_alu instid0(SALU_CYCLE_1)
	s_and_b32 vcc_lo, exec_lo, s0
	s_cbranch_vccz .LBB51_2892
; %bb.2854:
	v_cmp_gt_i16_e32 vcc_lo, 5, v4
	s_mov_b32 s0, -1
	s_cbranch_vccnz .LBB51_2875
; %bb.2855:
	v_cmp_gt_i16_e32 vcc_lo, 8, v4
	s_cbranch_vccnz .LBB51_2865
; %bb.2856:
	v_cmp_gt_i16_e32 vcc_lo, 9, v4
	s_cbranch_vccnz .LBB51_2862
; %bb.2857:
	v_cmp_lt_i16_e32 vcc_lo, 9, v4
	s_cbranch_vccz .LBB51_2859
; %bb.2858:
	s_waitcnt vmcnt(0)
	v_cvt_f64_f32_e32 v[5:6], v42
	v_mov_b32_e32 v7, 0
	s_mov_b32 s0, 0
	s_delay_alu instid0(VALU_DEP_1)
	v_mov_b32_e32 v8, v7
	global_store_b128 v[1:2], v[5:8], off
.LBB51_2859:
	s_and_not1_b32 vcc_lo, exec_lo, s0
	s_cbranch_vccnz .LBB51_2861
; %bb.2860:
	s_waitcnt vmcnt(0)
	v_mov_b32_e32 v43, 0
	global_store_b64 v[1:2], v[42:43], off
.LBB51_2861:
	s_mov_b32 s0, 0
.LBB51_2862:
	s_delay_alu instid0(SALU_CYCLE_1)
	s_and_not1_b32 vcc_lo, exec_lo, s0
	s_cbranch_vccnz .LBB51_2864
; %bb.2863:
	s_waitcnt vmcnt(0)
	v_cvt_f16_f32_e32 v3, v42
	s_delay_alu instid0(VALU_DEP_1)
	v_and_b32_e32 v3, 0xffff, v3
	global_store_b32 v[1:2], v3, off
.LBB51_2864:
	s_mov_b32 s0, 0
.LBB51_2865:
	s_delay_alu instid0(SALU_CYCLE_1)
	s_and_not1_b32 vcc_lo, exec_lo, s0
	s_cbranch_vccnz .LBB51_2874
; %bb.2866:
	v_cmp_gt_i16_e32 vcc_lo, 6, v4
	s_mov_b32 s0, -1
	s_cbranch_vccnz .LBB51_2872
; %bb.2867:
	v_cmp_lt_i16_e32 vcc_lo, 6, v4
	s_cbranch_vccz .LBB51_2869
; %bb.2868:
	s_waitcnt vmcnt(0)
	v_cvt_f64_f32_e32 v[5:6], v42
	s_mov_b32 s0, 0
	global_store_b64 v[1:2], v[5:6], off
.LBB51_2869:
	s_and_not1_b32 vcc_lo, exec_lo, s0
	s_cbranch_vccnz .LBB51_2871
; %bb.2870:
	s_waitcnt vmcnt(0)
	global_store_b32 v[1:2], v42, off
.LBB51_2871:
	s_mov_b32 s0, 0
.LBB51_2872:
	s_delay_alu instid0(SALU_CYCLE_1)
	s_and_not1_b32 vcc_lo, exec_lo, s0
	s_cbranch_vccnz .LBB51_2874
; %bb.2873:
	s_waitcnt vmcnt(0)
	v_cvt_f16_f32_e32 v3, v42
	global_store_b16 v[1:2], v3, off
.LBB51_2874:
	s_mov_b32 s0, 0
.LBB51_2875:
	s_delay_alu instid0(SALU_CYCLE_1)
	s_and_not1_b32 vcc_lo, exec_lo, s0
	s_cbranch_vccnz .LBB51_2891
; %bb.2876:
	v_cmp_gt_i16_e32 vcc_lo, 2, v4
	s_mov_b32 s0, -1
	s_cbranch_vccnz .LBB51_2886
; %bb.2877:
	v_cmp_gt_i16_e32 vcc_lo, 3, v4
	s_cbranch_vccnz .LBB51_2883
; %bb.2878:
	v_cmp_lt_i16_e32 vcc_lo, 3, v4
	s_cbranch_vccz .LBB51_2880
; %bb.2879:
	s_waitcnt vmcnt(0)
	v_trunc_f32_e32 v3, v42
	s_mov_b32 s0, 0
	s_delay_alu instid0(VALU_DEP_1) | instskip(NEXT) | instid1(VALU_DEP_1)
	v_mul_f32_e64 v5, 0x2f800000, |v3|
	v_floor_f32_e32 v5, v5
	s_delay_alu instid0(VALU_DEP_1) | instskip(SKIP_2) | instid1(VALU_DEP_3)
	v_fma_f32 v6, 0xcf800000, v5, |v3|
	v_ashrrev_i32_e32 v3, 31, v3
	v_cvt_u32_f32_e32 v5, v5
	v_cvt_u32_f32_e32 v6, v6
	s_delay_alu instid0(VALU_DEP_2) | instskip(NEXT) | instid1(VALU_DEP_2)
	v_xor_b32_e32 v7, v5, v3
	v_xor_b32_e32 v6, v6, v3
	s_delay_alu instid0(VALU_DEP_1) | instskip(NEXT) | instid1(VALU_DEP_3)
	v_sub_co_u32 v5, vcc_lo, v6, v3
	v_sub_co_ci_u32_e32 v6, vcc_lo, v7, v3, vcc_lo
	global_store_b64 v[1:2], v[5:6], off
.LBB51_2880:
	s_and_not1_b32 vcc_lo, exec_lo, s0
	s_cbranch_vccnz .LBB51_2882
; %bb.2881:
	s_waitcnt vmcnt(0)
	v_cvt_i32_f32_e32 v3, v42
	global_store_b32 v[1:2], v3, off
.LBB51_2882:
	s_mov_b32 s0, 0
.LBB51_2883:
	s_delay_alu instid0(SALU_CYCLE_1)
	s_and_not1_b32 vcc_lo, exec_lo, s0
	s_cbranch_vccnz .LBB51_2885
; %bb.2884:
	s_waitcnt vmcnt(0)
	v_cvt_i32_f32_e32 v3, v42
	global_store_b16 v[1:2], v3, off
.LBB51_2885:
	s_mov_b32 s0, 0
.LBB51_2886:
	s_delay_alu instid0(SALU_CYCLE_1)
	s_and_not1_b32 vcc_lo, exec_lo, s0
	s_cbranch_vccnz .LBB51_2891
; %bb.2887:
	v_cmp_lt_i16_e32 vcc_lo, 0, v4
	s_mov_b32 s0, -1
	s_cbranch_vccz .LBB51_2889
; %bb.2888:
	s_waitcnt vmcnt(0)
	v_cvt_i32_f32_e32 v3, v42
	s_mov_b32 s0, 0
	global_store_b8 v[1:2], v3, off
.LBB51_2889:
	s_and_not1_b32 vcc_lo, exec_lo, s0
	s_cbranch_vccnz .LBB51_2891
; %bb.2890:
	s_waitcnt vmcnt(0)
	v_trunc_f32_e32 v3, v42
	s_delay_alu instid0(VALU_DEP_1) | instskip(NEXT) | instid1(VALU_DEP_1)
	v_mul_f32_e64 v5, 0x2f800000, |v3|
	v_floor_f32_e32 v5, v5
	s_delay_alu instid0(VALU_DEP_1) | instskip(SKIP_1) | instid1(VALU_DEP_2)
	v_fma_f32 v5, 0xcf800000, v5, |v3|
	v_ashrrev_i32_e32 v3, 31, v3
	v_cvt_u32_f32_e32 v5, v5
	s_delay_alu instid0(VALU_DEP_1) | instskip(NEXT) | instid1(VALU_DEP_1)
	v_xor_b32_e32 v5, v5, v3
	v_sub_nc_u32_e32 v3, v5, v3
	global_store_b8 v[1:2], v3, off
.LBB51_2891:
	s_mov_b32 s2, -1
.LBB51_2892:
	s_delay_alu instid0(SALU_CYCLE_1)
	s_and_not1_b32 vcc_lo, exec_lo, s2
	s_cbranch_vccnz .LBB51_3205
; %bb.2893:
	v_cmp_gt_i16_e32 vcc_lo, 11, v4
	v_add_co_u32 v1, s0, s36, v45
	s_delay_alu instid0(VALU_DEP_1)
	v_add_co_ci_u32_e64 v2, null, s37, 0, s0
	s_mov_b32 s2, 0
	s_mov_b32 s0, -1
	s_cbranch_vccnz .LBB51_2971
; %bb.2894:
	v_cmp_lt_i16_e32 vcc_lo, 25, v4
	s_mov_b32 s3, -1
	s_mov_b32 s1, 0
	s_mov_b32 s0, 0
	s_cbranch_vccz .LBB51_2927
; %bb.2895:
	v_cmp_lt_i16_e32 vcc_lo, 28, v4
	s_cbranch_vccz .LBB51_2910
; %bb.2896:
	v_cmp_lt_i16_e32 vcc_lo, 43, v4
	;; [unrolled: 3-line block ×3, first 2 shown]
	s_cbranch_vccz .LBB51_2900
; %bb.2898:
	v_cmp_eq_u16_e32 vcc_lo, 46, v4
	s_mov_b32 s0, -1
	s_mov_b32 s3, 0
	s_cbranch_vccz .LBB51_2900
; %bb.2899:
	v_bfe_u32 v3, v44, 16, 1
	v_cmp_o_f32_e32 vcc_lo, v44, v44
	s_mov_b32 s0, 0
	s_mov_b32 s2, -1
	s_delay_alu instid0(VALU_DEP_2) | instskip(NEXT) | instid1(VALU_DEP_1)
	v_add3_u32 v3, v44, v3, 0x7fff
	v_lshrrev_b32_e32 v3, 16, v3
	s_delay_alu instid0(VALU_DEP_1)
	v_cndmask_b32_e32 v3, 0x7fc0, v3, vcc_lo
	global_store_b32 v[1:2], v3, off
.LBB51_2900:
	s_and_b32 vcc_lo, exec_lo, s3
	s_cbranch_vccz .LBB51_2905
; %bb.2901:
	v_cmp_eq_u16_e32 vcc_lo, 44, v4
	s_mov_b32 s0, -1
	s_cbranch_vccz .LBB51_2905
; %bb.2902:
	v_bfe_u32 v5, v44, 23, 8
	v_mov_b32_e32 v3, 0xff
	s_mov_b32 s2, exec_lo
	s_delay_alu instid0(VALU_DEP_2)
	v_cmpx_ne_u32_e32 0xff, v5
; %bb.2903:
	v_and_b32_e32 v3, 0x400000, v44
	v_and_or_b32 v5, 0x3fffff, v44, v5
	s_delay_alu instid0(VALU_DEP_2) | instskip(NEXT) | instid1(VALU_DEP_2)
	v_cmp_ne_u32_e32 vcc_lo, 0, v3
	v_cmp_ne_u32_e64 s0, 0, v5
	v_lshrrev_b32_e32 v3, 23, v44
	s_delay_alu instid0(VALU_DEP_2) | instskip(NEXT) | instid1(SALU_CYCLE_1)
	s_and_b32 s0, vcc_lo, s0
	v_cndmask_b32_e64 v5, 0, 1, s0
	s_delay_alu instid0(VALU_DEP_1)
	v_add_nc_u32_e32 v3, v3, v5
; %bb.2904:
	s_or_b32 exec_lo, exec_lo, s2
	s_mov_b32 s0, 0
	s_mov_b32 s2, -1
	global_store_b8 v[1:2], v3, off
.LBB51_2905:
	s_mov_b32 s3, 0
.LBB51_2906:
	s_delay_alu instid0(SALU_CYCLE_1)
	s_and_b32 vcc_lo, exec_lo, s3
	s_cbranch_vccz .LBB51_2909
; %bb.2907:
	v_cmp_eq_u16_e32 vcc_lo, 29, v4
	s_mov_b32 s0, -1
	s_cbranch_vccz .LBB51_2909
; %bb.2908:
	v_trunc_f32_e32 v3, v44
	s_mov_b32 s0, 0
	s_mov_b32 s2, -1
	s_delay_alu instid0(VALU_DEP_1) | instskip(NEXT) | instid1(VALU_DEP_1)
	v_mul_f32_e32 v5, 0x2f800000, v3
	v_floor_f32_e32 v5, v5
	s_delay_alu instid0(VALU_DEP_1) | instskip(SKIP_1) | instid1(VALU_DEP_2)
	v_fmamk_f32 v3, v5, 0xcf800000, v3
	v_cvt_u32_f32_e32 v6, v5
	v_cvt_u32_f32_e32 v5, v3
	global_store_b64 v[1:2], v[5:6], off
.LBB51_2909:
	s_mov_b32 s3, 0
.LBB51_2910:
	s_delay_alu instid0(SALU_CYCLE_1)
	s_and_b32 vcc_lo, exec_lo, s3
	s_cbranch_vccz .LBB51_2926
; %bb.2911:
	v_cmp_gt_i16_e32 vcc_lo, 27, v4
	s_mov_b32 s2, -1
	s_cbranch_vccnz .LBB51_2917
; %bb.2912:
	v_cmp_lt_i16_e32 vcc_lo, 27, v4
	v_cvt_u32_f32_e32 v3, v44
	s_cbranch_vccz .LBB51_2914
; %bb.2913:
	s_mov_b32 s2, 0
	global_store_b32 v[1:2], v3, off
.LBB51_2914:
	s_and_not1_b32 vcc_lo, exec_lo, s2
	s_cbranch_vccnz .LBB51_2916
; %bb.2915:
	global_store_b16 v[1:2], v3, off
.LBB51_2916:
	s_mov_b32 s2, 0
.LBB51_2917:
	s_delay_alu instid0(SALU_CYCLE_1)
	s_and_not1_b32 vcc_lo, exec_lo, s2
	s_cbranch_vccnz .LBB51_2925
; %bb.2918:
	v_and_b32_e32 v3, 0x7fffffff, v44
	v_mov_b32_e32 v5, 0x80
	s_mov_b32 s2, exec_lo
	s_delay_alu instid0(VALU_DEP_2)
	v_cmpx_gt_u32_e32 0x43800000, v3
	s_cbranch_execz .LBB51_2924
; %bb.2919:
	v_cmp_lt_u32_e32 vcc_lo, 0x3bffffff, v3
	s_mov_b32 s3, 0
                                        ; implicit-def: $vgpr3
	s_and_saveexec_b32 s4, vcc_lo
	s_delay_alu instid0(SALU_CYCLE_1)
	s_xor_b32 s4, exec_lo, s4
	s_cbranch_execz .LBB51_3216
; %bb.2920:
	v_bfe_u32 v3, v44, 20, 1
	s_mov_b32 s3, exec_lo
	s_delay_alu instid0(VALU_DEP_1) | instskip(NEXT) | instid1(VALU_DEP_1)
	v_add3_u32 v3, v44, v3, 0x487ffff
	v_lshrrev_b32_e32 v3, 20, v3
	s_or_saveexec_b32 s4, s4
                                        ; implicit-def: $sgpr5
	s_delay_alu instid0(SALU_CYCLE_1)
	s_xor_b32 exec_lo, exec_lo, s4
	s_cbranch_execnz .LBB51_3217
.LBB51_2921:
	s_or_b32 exec_lo, exec_lo, s4
	v_mov_b32_e32 v5, s5
	s_and_saveexec_b32 s4, s3
.LBB51_2922:
	v_lshrrev_b32_e32 v5, 24, v44
	s_delay_alu instid0(VALU_DEP_1)
	v_and_or_b32 v5, 0x80, v5, v3
.LBB51_2923:
	s_or_b32 exec_lo, exec_lo, s4
.LBB51_2924:
	s_delay_alu instid0(SALU_CYCLE_1)
	s_or_b32 exec_lo, exec_lo, s2
	global_store_b8 v[1:2], v5, off
.LBB51_2925:
	s_mov_b32 s2, -1
.LBB51_2926:
	s_mov_b32 s3, 0
.LBB51_2927:
	s_delay_alu instid0(SALU_CYCLE_1)
	s_and_b32 vcc_lo, exec_lo, s3
	s_cbranch_vccz .LBB51_2967
; %bb.2928:
	v_cmp_lt_i16_e32 vcc_lo, 22, v4
	s_mov_b32 s1, -1
	s_cbranch_vccz .LBB51_2960
; %bb.2929:
	v_cmp_gt_i16_e32 vcc_lo, 24, v4
	s_cbranch_vccnz .LBB51_2949
; %bb.2930:
	v_cmp_lt_i16_e32 vcc_lo, 24, v4
	s_cbranch_vccz .LBB51_2938
; %bb.2931:
	v_and_b32_e32 v3, 0x7fffffff, v44
	v_mov_b32_e32 v5, 0x80
	s_mov_b32 s1, exec_lo
	s_delay_alu instid0(VALU_DEP_2)
	v_cmpx_gt_u32_e32 0x47800000, v3
	s_cbranch_execz .LBB51_2937
; %bb.2932:
	v_cmp_lt_u32_e32 vcc_lo, 0x37ffffff, v3
	s_mov_b32 s2, 0
                                        ; implicit-def: $vgpr3
	s_and_saveexec_b32 s3, vcc_lo
	s_delay_alu instid0(SALU_CYCLE_1)
	s_xor_b32 s3, exec_lo, s3
	s_cbranch_execz .LBB51_3222
; %bb.2933:
	v_bfe_u32 v3, v44, 21, 1
	s_mov_b32 s2, exec_lo
	s_delay_alu instid0(VALU_DEP_1) | instskip(NEXT) | instid1(VALU_DEP_1)
	v_add3_u32 v3, v44, v3, 0x88fffff
	v_lshrrev_b32_e32 v3, 21, v3
	s_or_saveexec_b32 s3, s3
                                        ; implicit-def: $sgpr4
	s_delay_alu instid0(SALU_CYCLE_1)
	s_xor_b32 exec_lo, exec_lo, s3
	s_cbranch_execnz .LBB51_3223
.LBB51_2934:
	s_or_b32 exec_lo, exec_lo, s3
	v_mov_b32_e32 v5, s4
	s_and_saveexec_b32 s3, s2
.LBB51_2935:
	v_lshrrev_b32_e32 v5, 24, v44
	s_delay_alu instid0(VALU_DEP_1)
	v_and_or_b32 v5, 0x80, v5, v3
.LBB51_2936:
	s_or_b32 exec_lo, exec_lo, s3
.LBB51_2937:
	s_delay_alu instid0(SALU_CYCLE_1)
	s_or_b32 exec_lo, exec_lo, s1
	s_mov_b32 s1, 0
	global_store_b8 v[1:2], v5, off
.LBB51_2938:
	s_and_b32 vcc_lo, exec_lo, s1
	s_cbranch_vccz .LBB51_2948
; %bb.2939:
	v_and_b32_e32 v5, 0x7fffffff, v44
	s_mov_b32 s1, exec_lo
                                        ; implicit-def: $vgpr3
	s_delay_alu instid0(VALU_DEP_1)
	v_cmpx_gt_u32_e32 0x43f00000, v5
	s_xor_b32 s1, exec_lo, s1
	s_cbranch_execz .LBB51_2945
; %bb.2940:
	s_mov_b32 s2, exec_lo
                                        ; implicit-def: $vgpr3
	v_cmpx_lt_u32_e32 0x3c7fffff, v5
	s_xor_b32 s2, exec_lo, s2
; %bb.2941:
	v_bfe_u32 v3, v44, 20, 1
	s_delay_alu instid0(VALU_DEP_1) | instskip(NEXT) | instid1(VALU_DEP_1)
	v_add3_u32 v3, v44, v3, 0x407ffff
	v_and_b32_e32 v5, 0xff00000, v3
	v_lshrrev_b32_e32 v3, 20, v3
	s_delay_alu instid0(VALU_DEP_2) | instskip(NEXT) | instid1(VALU_DEP_2)
	v_cmp_ne_u32_e32 vcc_lo, 0x7f00000, v5
	v_cndmask_b32_e32 v3, 0x7e, v3, vcc_lo
; %bb.2942:
	s_and_not1_saveexec_b32 s2, s2
; %bb.2943:
	v_add_f32_e64 v3, 0x46800000, |v44|
; %bb.2944:
	s_or_b32 exec_lo, exec_lo, s2
                                        ; implicit-def: $vgpr5
.LBB51_2945:
	s_and_not1_saveexec_b32 s1, s1
; %bb.2946:
	v_mov_b32_e32 v3, 0x7f
	v_cmp_lt_u32_e32 vcc_lo, 0x7f800000, v5
	s_delay_alu instid0(VALU_DEP_2)
	v_cndmask_b32_e32 v3, 0x7e, v3, vcc_lo
; %bb.2947:
	s_or_b32 exec_lo, exec_lo, s1
	v_lshrrev_b32_e32 v5, 24, v44
	s_delay_alu instid0(VALU_DEP_1)
	v_and_or_b32 v3, 0x80, v5, v3
	global_store_b8 v[1:2], v3, off
.LBB51_2948:
	s_mov_b32 s1, 0
.LBB51_2949:
	s_delay_alu instid0(SALU_CYCLE_1)
	s_and_not1_b32 vcc_lo, exec_lo, s1
	s_cbranch_vccnz .LBB51_2959
; %bb.2950:
	v_and_b32_e32 v5, 0x7fffffff, v44
	s_mov_b32 s1, exec_lo
                                        ; implicit-def: $vgpr3
	s_delay_alu instid0(VALU_DEP_1)
	v_cmpx_gt_u32_e32 0x47800000, v5
	s_xor_b32 s1, exec_lo, s1
	s_cbranch_execz .LBB51_2956
; %bb.2951:
	s_mov_b32 s2, exec_lo
                                        ; implicit-def: $vgpr3
	v_cmpx_lt_u32_e32 0x387fffff, v5
	s_xor_b32 s2, exec_lo, s2
; %bb.2952:
	v_bfe_u32 v3, v44, 21, 1
	s_delay_alu instid0(VALU_DEP_1) | instskip(NEXT) | instid1(VALU_DEP_1)
	v_add3_u32 v3, v44, v3, 0x80fffff
	v_lshrrev_b32_e32 v3, 21, v3
; %bb.2953:
	s_and_not1_saveexec_b32 s2, s2
; %bb.2954:
	v_add_f32_e64 v3, 0x43000000, |v44|
; %bb.2955:
	s_or_b32 exec_lo, exec_lo, s2
                                        ; implicit-def: $vgpr5
.LBB51_2956:
	s_and_not1_saveexec_b32 s1, s1
; %bb.2957:
	v_mov_b32_e32 v3, 0x7f
	v_cmp_lt_u32_e32 vcc_lo, 0x7f800000, v5
	s_delay_alu instid0(VALU_DEP_2)
	v_cndmask_b32_e32 v3, 0x7c, v3, vcc_lo
; %bb.2958:
	s_or_b32 exec_lo, exec_lo, s1
	v_lshrrev_b32_e32 v5, 24, v44
	s_delay_alu instid0(VALU_DEP_1)
	v_and_or_b32 v3, 0x80, v5, v3
	global_store_b8 v[1:2], v3, off
.LBB51_2959:
	s_mov_b32 s1, 0
	s_mov_b32 s2, -1
.LBB51_2960:
	s_and_not1_b32 vcc_lo, exec_lo, s1
	s_mov_b32 s1, 0
	s_cbranch_vccnz .LBB51_2967
; %bb.2961:
	v_cmp_lt_i16_e32 vcc_lo, 14, v4
	s_mov_b32 s1, -1
	s_cbranch_vccz .LBB51_2965
; %bb.2962:
	v_cmp_eq_u16_e32 vcc_lo, 15, v4
	s_mov_b32 s0, -1
	s_cbranch_vccz .LBB51_2964
; %bb.2963:
	v_bfe_u32 v3, v44, 16, 1
	v_cmp_o_f32_e32 vcc_lo, v44, v44
	s_mov_b32 s0, 0
	s_mov_b32 s2, -1
	s_delay_alu instid0(VALU_DEP_2) | instskip(NEXT) | instid1(VALU_DEP_1)
	v_add3_u32 v3, v44, v3, 0x7fff
	v_lshrrev_b32_e32 v3, 16, v3
	s_delay_alu instid0(VALU_DEP_1)
	v_cndmask_b32_e32 v3, 0x7fc0, v3, vcc_lo
	global_store_b16 v[1:2], v3, off
.LBB51_2964:
	s_mov_b32 s1, 0
.LBB51_2965:
	s_delay_alu instid0(SALU_CYCLE_1)
	s_and_b32 vcc_lo, exec_lo, s1
	s_mov_b32 s1, 0
	s_cbranch_vccz .LBB51_2967
; %bb.2966:
	v_cmp_ne_u16_e64 s0, 11, v4
	s_mov_b32 s1, -1
.LBB51_2967:
	s_delay_alu instid0(VALU_DEP_1)
	s_and_b32 vcc_lo, exec_lo, s0
	s_cbranch_vccnz .LBB51_3220
; %bb.2968:
	s_and_not1_b32 vcc_lo, exec_lo, s1
	s_cbranch_vccnz .LBB51_2970
.LBB51_2969:
	v_cmp_neq_f32_e32 vcc_lo, 0, v44
	s_mov_b32 s2, -1
	v_cndmask_b32_e64 v3, 0, 1, vcc_lo
	global_store_b8 v[1:2], v3, off
.LBB51_2970:
	s_mov_b32 s0, 0
.LBB51_2971:
	s_delay_alu instid0(SALU_CYCLE_1)
	s_and_b32 vcc_lo, exec_lo, s0
	s_cbranch_vccz .LBB51_3010
; %bb.2972:
	v_cmp_gt_i16_e32 vcc_lo, 5, v4
	s_mov_b32 s0, -1
	s_cbranch_vccnz .LBB51_2993
; %bb.2973:
	v_cmp_gt_i16_e32 vcc_lo, 8, v4
	s_cbranch_vccnz .LBB51_2983
; %bb.2974:
	v_cmp_gt_i16_e32 vcc_lo, 9, v4
	s_cbranch_vccnz .LBB51_2980
; %bb.2975:
	v_cmp_lt_i16_e32 vcc_lo, 9, v4
	s_cbranch_vccz .LBB51_2977
; %bb.2976:
	v_cvt_f64_f32_e32 v[5:6], v44
	v_mov_b32_e32 v7, 0
	s_mov_b32 s0, 0
	s_delay_alu instid0(VALU_DEP_1)
	v_mov_b32_e32 v8, v7
	global_store_b128 v[1:2], v[5:8], off
.LBB51_2977:
	s_and_not1_b32 vcc_lo, exec_lo, s0
	s_cbranch_vccnz .LBB51_2979
; %bb.2978:
	v_mov_b32_e32 v45, 0
	global_store_b64 v[1:2], v[44:45], off
.LBB51_2979:
	s_mov_b32 s0, 0
.LBB51_2980:
	s_delay_alu instid0(SALU_CYCLE_1)
	s_and_not1_b32 vcc_lo, exec_lo, s0
	s_cbranch_vccnz .LBB51_2982
; %bb.2981:
	v_cvt_f16_f32_e32 v3, v44
	s_delay_alu instid0(VALU_DEP_1)
	v_and_b32_e32 v3, 0xffff, v3
	global_store_b32 v[1:2], v3, off
.LBB51_2982:
	s_mov_b32 s0, 0
.LBB51_2983:
	s_delay_alu instid0(SALU_CYCLE_1)
	s_and_not1_b32 vcc_lo, exec_lo, s0
	s_cbranch_vccnz .LBB51_2992
; %bb.2984:
	v_cmp_gt_i16_e32 vcc_lo, 6, v4
	s_mov_b32 s0, -1
	s_cbranch_vccnz .LBB51_2990
; %bb.2985:
	v_cmp_lt_i16_e32 vcc_lo, 6, v4
	s_cbranch_vccz .LBB51_2987
; %bb.2986:
	v_cvt_f64_f32_e32 v[5:6], v44
	s_mov_b32 s0, 0
	global_store_b64 v[1:2], v[5:6], off
.LBB51_2987:
	s_and_not1_b32 vcc_lo, exec_lo, s0
	s_cbranch_vccnz .LBB51_2989
; %bb.2988:
	global_store_b32 v[1:2], v44, off
.LBB51_2989:
	s_mov_b32 s0, 0
.LBB51_2990:
	s_delay_alu instid0(SALU_CYCLE_1)
	s_and_not1_b32 vcc_lo, exec_lo, s0
	s_cbranch_vccnz .LBB51_2992
; %bb.2991:
	v_cvt_f16_f32_e32 v3, v44
	global_store_b16 v[1:2], v3, off
.LBB51_2992:
	s_mov_b32 s0, 0
.LBB51_2993:
	s_delay_alu instid0(SALU_CYCLE_1)
	s_and_not1_b32 vcc_lo, exec_lo, s0
	s_cbranch_vccnz .LBB51_3009
; %bb.2994:
	v_cmp_gt_i16_e32 vcc_lo, 2, v4
	s_mov_b32 s0, -1
	s_cbranch_vccnz .LBB51_3004
; %bb.2995:
	v_cmp_gt_i16_e32 vcc_lo, 3, v4
	s_cbranch_vccnz .LBB51_3001
; %bb.2996:
	v_cmp_lt_i16_e32 vcc_lo, 3, v4
	s_cbranch_vccz .LBB51_2998
; %bb.2997:
	v_trunc_f32_e32 v3, v44
	s_mov_b32 s0, 0
	s_delay_alu instid0(VALU_DEP_1) | instskip(NEXT) | instid1(VALU_DEP_1)
	v_mul_f32_e64 v5, 0x2f800000, |v3|
	v_floor_f32_e32 v5, v5
	s_delay_alu instid0(VALU_DEP_1) | instskip(SKIP_2) | instid1(VALU_DEP_3)
	v_fma_f32 v6, 0xcf800000, v5, |v3|
	v_ashrrev_i32_e32 v3, 31, v3
	v_cvt_u32_f32_e32 v5, v5
	v_cvt_u32_f32_e32 v6, v6
	s_delay_alu instid0(VALU_DEP_2) | instskip(NEXT) | instid1(VALU_DEP_2)
	v_xor_b32_e32 v7, v5, v3
	v_xor_b32_e32 v6, v6, v3
	s_delay_alu instid0(VALU_DEP_1) | instskip(NEXT) | instid1(VALU_DEP_3)
	v_sub_co_u32 v5, vcc_lo, v6, v3
	v_sub_co_ci_u32_e32 v6, vcc_lo, v7, v3, vcc_lo
	global_store_b64 v[1:2], v[5:6], off
.LBB51_2998:
	s_and_not1_b32 vcc_lo, exec_lo, s0
	s_cbranch_vccnz .LBB51_3000
; %bb.2999:
	v_cvt_i32_f32_e32 v3, v44
	global_store_b32 v[1:2], v3, off
.LBB51_3000:
	s_mov_b32 s0, 0
.LBB51_3001:
	s_delay_alu instid0(SALU_CYCLE_1)
	s_and_not1_b32 vcc_lo, exec_lo, s0
	s_cbranch_vccnz .LBB51_3003
; %bb.3002:
	v_cvt_i32_f32_e32 v3, v44
	global_store_b16 v[1:2], v3, off
.LBB51_3003:
	s_mov_b32 s0, 0
.LBB51_3004:
	s_delay_alu instid0(SALU_CYCLE_1)
	s_and_not1_b32 vcc_lo, exec_lo, s0
	s_cbranch_vccnz .LBB51_3009
; %bb.3005:
	v_cmp_lt_i16_e32 vcc_lo, 0, v4
	s_mov_b32 s0, -1
	s_cbranch_vccz .LBB51_3007
; %bb.3006:
	v_cvt_i32_f32_e32 v3, v44
	s_mov_b32 s0, 0
	global_store_b8 v[1:2], v3, off
.LBB51_3007:
	s_and_not1_b32 vcc_lo, exec_lo, s0
	s_cbranch_vccnz .LBB51_3009
; %bb.3008:
	v_trunc_f32_e32 v3, v44
	s_delay_alu instid0(VALU_DEP_1) | instskip(NEXT) | instid1(VALU_DEP_1)
	v_mul_f32_e64 v5, 0x2f800000, |v3|
	v_floor_f32_e32 v5, v5
	s_delay_alu instid0(VALU_DEP_1) | instskip(SKIP_1) | instid1(VALU_DEP_2)
	v_fma_f32 v5, 0xcf800000, v5, |v3|
	v_ashrrev_i32_e32 v3, 31, v3
	v_cvt_u32_f32_e32 v5, v5
	s_delay_alu instid0(VALU_DEP_1) | instskip(NEXT) | instid1(VALU_DEP_1)
	v_xor_b32_e32 v5, v5, v3
	v_sub_nc_u32_e32 v3, v5, v3
	global_store_b8 v[1:2], v3, off
.LBB51_3009:
	s_mov_b32 s2, -1
.LBB51_3010:
	s_delay_alu instid0(SALU_CYCLE_1)
	s_and_not1_b32 vcc_lo, exec_lo, s2
	s_cbranch_vccnz .LBB51_3205
; %bb.3011:
	v_cmp_gt_i16_e32 vcc_lo, 11, v4
	v_add_co_u32 v1, s0, s36, v57
	s_delay_alu instid0(VALU_DEP_1)
	v_add_co_ci_u32_e64 v2, null, s37, 0, s0
	s_mov_b32 s2, 0
	s_mov_b32 s0, -1
	s_cbranch_vccnz .LBB51_3089
; %bb.3012:
	v_cmp_lt_i16_e32 vcc_lo, 25, v4
	s_mov_b32 s3, -1
	s_mov_b32 s1, 0
	s_mov_b32 s0, 0
	s_cbranch_vccz .LBB51_3045
; %bb.3013:
	v_cmp_lt_i16_e32 vcc_lo, 28, v4
	s_cbranch_vccz .LBB51_3028
; %bb.3014:
	v_cmp_lt_i16_e32 vcc_lo, 43, v4
	;; [unrolled: 3-line block ×3, first 2 shown]
	s_cbranch_vccz .LBB51_3018
; %bb.3016:
	v_cmp_eq_u16_e32 vcc_lo, 46, v4
	s_mov_b32 s0, -1
	s_mov_b32 s3, 0
	s_cbranch_vccz .LBB51_3018
; %bb.3017:
	v_bfe_u32 v3, v46, 16, 1
	v_cmp_o_f32_e32 vcc_lo, v46, v46
	s_mov_b32 s0, 0
	s_mov_b32 s2, -1
	s_delay_alu instid0(VALU_DEP_2) | instskip(NEXT) | instid1(VALU_DEP_1)
	v_add3_u32 v3, v46, v3, 0x7fff
	v_lshrrev_b32_e32 v3, 16, v3
	s_delay_alu instid0(VALU_DEP_1)
	v_cndmask_b32_e32 v3, 0x7fc0, v3, vcc_lo
	global_store_b32 v[1:2], v3, off
.LBB51_3018:
	s_and_b32 vcc_lo, exec_lo, s3
	s_cbranch_vccz .LBB51_3023
; %bb.3019:
	v_cmp_eq_u16_e32 vcc_lo, 44, v4
	s_mov_b32 s0, -1
	s_cbranch_vccz .LBB51_3023
; %bb.3020:
	v_bfe_u32 v5, v46, 23, 8
	v_mov_b32_e32 v3, 0xff
	s_mov_b32 s2, exec_lo
	s_delay_alu instid0(VALU_DEP_2)
	v_cmpx_ne_u32_e32 0xff, v5
; %bb.3021:
	v_and_b32_e32 v3, 0x400000, v46
	v_and_or_b32 v5, 0x3fffff, v46, v5
	s_delay_alu instid0(VALU_DEP_2) | instskip(NEXT) | instid1(VALU_DEP_2)
	v_cmp_ne_u32_e32 vcc_lo, 0, v3
	v_cmp_ne_u32_e64 s0, 0, v5
	v_lshrrev_b32_e32 v3, 23, v46
	s_delay_alu instid0(VALU_DEP_2) | instskip(NEXT) | instid1(SALU_CYCLE_1)
	s_and_b32 s0, vcc_lo, s0
	v_cndmask_b32_e64 v5, 0, 1, s0
	s_delay_alu instid0(VALU_DEP_1)
	v_add_nc_u32_e32 v3, v3, v5
; %bb.3022:
	s_or_b32 exec_lo, exec_lo, s2
	s_mov_b32 s0, 0
	s_mov_b32 s2, -1
	global_store_b8 v[1:2], v3, off
.LBB51_3023:
	s_mov_b32 s3, 0
.LBB51_3024:
	s_delay_alu instid0(SALU_CYCLE_1)
	s_and_b32 vcc_lo, exec_lo, s3
	s_cbranch_vccz .LBB51_3027
; %bb.3025:
	v_cmp_eq_u16_e32 vcc_lo, 29, v4
	s_mov_b32 s0, -1
	s_cbranch_vccz .LBB51_3027
; %bb.3026:
	v_trunc_f32_e32 v3, v46
	s_mov_b32 s0, 0
	s_mov_b32 s2, -1
	s_delay_alu instid0(VALU_DEP_1) | instskip(NEXT) | instid1(VALU_DEP_1)
	v_mul_f32_e32 v5, 0x2f800000, v3
	v_floor_f32_e32 v5, v5
	s_delay_alu instid0(VALU_DEP_1) | instskip(SKIP_1) | instid1(VALU_DEP_2)
	v_fmamk_f32 v3, v5, 0xcf800000, v3
	v_cvt_u32_f32_e32 v6, v5
	v_cvt_u32_f32_e32 v5, v3
	global_store_b64 v[1:2], v[5:6], off
.LBB51_3027:
	s_mov_b32 s3, 0
.LBB51_3028:
	s_delay_alu instid0(SALU_CYCLE_1)
	s_and_b32 vcc_lo, exec_lo, s3
	s_cbranch_vccz .LBB51_3044
; %bb.3029:
	v_cmp_gt_i16_e32 vcc_lo, 27, v4
	s_mov_b32 s2, -1
	s_cbranch_vccnz .LBB51_3035
; %bb.3030:
	v_cmp_lt_i16_e32 vcc_lo, 27, v4
	s_cbranch_vccz .LBB51_3032
; %bb.3031:
	v_cvt_u32_f32_e32 v3, v46
	s_mov_b32 s2, 0
	global_store_b32 v[1:2], v3, off
.LBB51_3032:
	s_and_not1_b32 vcc_lo, exec_lo, s2
	s_cbranch_vccnz .LBB51_3034
; %bb.3033:
	v_cvt_u32_f32_e32 v3, v46
	global_store_b16 v[1:2], v3, off
.LBB51_3034:
	s_mov_b32 s2, 0
.LBB51_3035:
	s_delay_alu instid0(SALU_CYCLE_1)
	s_and_not1_b32 vcc_lo, exec_lo, s2
	s_cbranch_vccnz .LBB51_3043
; %bb.3036:
	v_and_b32_e32 v3, 0x7fffffff, v46
	v_mov_b32_e32 v5, 0x80
	s_mov_b32 s2, exec_lo
	s_delay_alu instid0(VALU_DEP_2)
	v_cmpx_gt_u32_e32 0x43800000, v3
	s_cbranch_execz .LBB51_3042
; %bb.3037:
	v_cmp_lt_u32_e32 vcc_lo, 0x3bffffff, v3
	s_mov_b32 s3, 0
                                        ; implicit-def: $vgpr3
	s_and_saveexec_b32 s4, vcc_lo
	s_delay_alu instid0(SALU_CYCLE_1)
	s_xor_b32 s4, exec_lo, s4
	s_cbranch_execz .LBB51_3224
; %bb.3038:
	v_bfe_u32 v3, v46, 20, 1
	s_mov_b32 s3, exec_lo
	s_delay_alu instid0(VALU_DEP_1) | instskip(NEXT) | instid1(VALU_DEP_1)
	v_add3_u32 v3, v46, v3, 0x487ffff
	v_lshrrev_b32_e32 v3, 20, v3
	s_or_saveexec_b32 s4, s4
                                        ; implicit-def: $sgpr5
	s_delay_alu instid0(SALU_CYCLE_1)
	s_xor_b32 exec_lo, exec_lo, s4
	s_cbranch_execnz .LBB51_3225
.LBB51_3039:
	s_or_b32 exec_lo, exec_lo, s4
	v_mov_b32_e32 v5, s5
	s_and_saveexec_b32 s4, s3
.LBB51_3040:
	v_lshrrev_b32_e32 v5, 24, v46
	s_delay_alu instid0(VALU_DEP_1)
	v_and_or_b32 v5, 0x80, v5, v3
.LBB51_3041:
	s_or_b32 exec_lo, exec_lo, s4
.LBB51_3042:
	s_delay_alu instid0(SALU_CYCLE_1)
	s_or_b32 exec_lo, exec_lo, s2
	global_store_b8 v[1:2], v5, off
.LBB51_3043:
	s_mov_b32 s2, -1
.LBB51_3044:
	s_mov_b32 s3, 0
.LBB51_3045:
	s_delay_alu instid0(SALU_CYCLE_1)
	s_and_b32 vcc_lo, exec_lo, s3
	s_cbranch_vccz .LBB51_3085
; %bb.3046:
	v_cmp_lt_i16_e32 vcc_lo, 22, v4
	s_mov_b32 s1, -1
	s_cbranch_vccz .LBB51_3078
; %bb.3047:
	v_cmp_gt_i16_e32 vcc_lo, 24, v4
	s_cbranch_vccnz .LBB51_3067
; %bb.3048:
	v_cmp_lt_i16_e32 vcc_lo, 24, v4
	s_cbranch_vccz .LBB51_3056
; %bb.3049:
	v_and_b32_e32 v3, 0x7fffffff, v46
	v_mov_b32_e32 v5, 0x80
	s_mov_b32 s1, exec_lo
	s_delay_alu instid0(VALU_DEP_2)
	v_cmpx_gt_u32_e32 0x47800000, v3
	s_cbranch_execz .LBB51_3055
; %bb.3050:
	v_cmp_lt_u32_e32 vcc_lo, 0x37ffffff, v3
	s_mov_b32 s2, 0
                                        ; implicit-def: $vgpr3
	s_and_saveexec_b32 s3, vcc_lo
	s_delay_alu instid0(SALU_CYCLE_1)
	s_xor_b32 s3, exec_lo, s3
	s_cbranch_execz .LBB51_3230
; %bb.3051:
	v_bfe_u32 v3, v46, 21, 1
	s_mov_b32 s2, exec_lo
	s_delay_alu instid0(VALU_DEP_1) | instskip(NEXT) | instid1(VALU_DEP_1)
	v_add3_u32 v3, v46, v3, 0x88fffff
	v_lshrrev_b32_e32 v3, 21, v3
	s_or_saveexec_b32 s3, s3
                                        ; implicit-def: $sgpr4
	s_delay_alu instid0(SALU_CYCLE_1)
	s_xor_b32 exec_lo, exec_lo, s3
	s_cbranch_execnz .LBB51_3231
.LBB51_3052:
	s_or_b32 exec_lo, exec_lo, s3
	v_mov_b32_e32 v5, s4
	s_and_saveexec_b32 s3, s2
.LBB51_3053:
	v_lshrrev_b32_e32 v5, 24, v46
	s_delay_alu instid0(VALU_DEP_1)
	v_and_or_b32 v5, 0x80, v5, v3
.LBB51_3054:
	s_or_b32 exec_lo, exec_lo, s3
.LBB51_3055:
	s_delay_alu instid0(SALU_CYCLE_1)
	s_or_b32 exec_lo, exec_lo, s1
	s_mov_b32 s1, 0
	global_store_b8 v[1:2], v5, off
.LBB51_3056:
	s_and_b32 vcc_lo, exec_lo, s1
	s_cbranch_vccz .LBB51_3066
; %bb.3057:
	v_and_b32_e32 v5, 0x7fffffff, v46
	s_mov_b32 s1, exec_lo
                                        ; implicit-def: $vgpr3
	s_delay_alu instid0(VALU_DEP_1)
	v_cmpx_gt_u32_e32 0x43f00000, v5
	s_xor_b32 s1, exec_lo, s1
	s_cbranch_execz .LBB51_3063
; %bb.3058:
	s_mov_b32 s2, exec_lo
                                        ; implicit-def: $vgpr3
	v_cmpx_lt_u32_e32 0x3c7fffff, v5
	s_xor_b32 s2, exec_lo, s2
; %bb.3059:
	v_bfe_u32 v3, v46, 20, 1
	s_delay_alu instid0(VALU_DEP_1) | instskip(NEXT) | instid1(VALU_DEP_1)
	v_add3_u32 v3, v46, v3, 0x407ffff
	v_and_b32_e32 v5, 0xff00000, v3
	v_lshrrev_b32_e32 v3, 20, v3
	s_delay_alu instid0(VALU_DEP_2) | instskip(NEXT) | instid1(VALU_DEP_2)
	v_cmp_ne_u32_e32 vcc_lo, 0x7f00000, v5
	v_cndmask_b32_e32 v3, 0x7e, v3, vcc_lo
; %bb.3060:
	s_and_not1_saveexec_b32 s2, s2
; %bb.3061:
	v_add_f32_e64 v3, 0x46800000, |v46|
; %bb.3062:
	s_or_b32 exec_lo, exec_lo, s2
                                        ; implicit-def: $vgpr5
.LBB51_3063:
	s_and_not1_saveexec_b32 s1, s1
; %bb.3064:
	v_mov_b32_e32 v3, 0x7f
	v_cmp_lt_u32_e32 vcc_lo, 0x7f800000, v5
	s_delay_alu instid0(VALU_DEP_2)
	v_cndmask_b32_e32 v3, 0x7e, v3, vcc_lo
; %bb.3065:
	s_or_b32 exec_lo, exec_lo, s1
	v_lshrrev_b32_e32 v5, 24, v46
	s_delay_alu instid0(VALU_DEP_1)
	v_and_or_b32 v3, 0x80, v5, v3
	global_store_b8 v[1:2], v3, off
.LBB51_3066:
	s_mov_b32 s1, 0
.LBB51_3067:
	s_delay_alu instid0(SALU_CYCLE_1)
	s_and_not1_b32 vcc_lo, exec_lo, s1
	s_cbranch_vccnz .LBB51_3077
; %bb.3068:
	v_and_b32_e32 v5, 0x7fffffff, v46
	s_mov_b32 s1, exec_lo
                                        ; implicit-def: $vgpr3
	s_delay_alu instid0(VALU_DEP_1)
	v_cmpx_gt_u32_e32 0x47800000, v5
	s_xor_b32 s1, exec_lo, s1
	s_cbranch_execz .LBB51_3074
; %bb.3069:
	s_mov_b32 s2, exec_lo
                                        ; implicit-def: $vgpr3
	v_cmpx_lt_u32_e32 0x387fffff, v5
	s_xor_b32 s2, exec_lo, s2
; %bb.3070:
	v_bfe_u32 v3, v46, 21, 1
	s_delay_alu instid0(VALU_DEP_1) | instskip(NEXT) | instid1(VALU_DEP_1)
	v_add3_u32 v3, v46, v3, 0x80fffff
	v_lshrrev_b32_e32 v3, 21, v3
; %bb.3071:
	s_and_not1_saveexec_b32 s2, s2
; %bb.3072:
	v_add_f32_e64 v3, 0x43000000, |v46|
; %bb.3073:
	s_or_b32 exec_lo, exec_lo, s2
                                        ; implicit-def: $vgpr5
.LBB51_3074:
	s_and_not1_saveexec_b32 s1, s1
; %bb.3075:
	v_mov_b32_e32 v3, 0x7f
	v_cmp_lt_u32_e32 vcc_lo, 0x7f800000, v5
	s_delay_alu instid0(VALU_DEP_2)
	v_cndmask_b32_e32 v3, 0x7c, v3, vcc_lo
; %bb.3076:
	s_or_b32 exec_lo, exec_lo, s1
	v_lshrrev_b32_e32 v5, 24, v46
	s_delay_alu instid0(VALU_DEP_1)
	v_and_or_b32 v3, 0x80, v5, v3
	global_store_b8 v[1:2], v3, off
.LBB51_3077:
	s_mov_b32 s1, 0
	s_mov_b32 s2, -1
.LBB51_3078:
	s_and_not1_b32 vcc_lo, exec_lo, s1
	s_mov_b32 s1, 0
	s_cbranch_vccnz .LBB51_3085
; %bb.3079:
	v_cmp_lt_i16_e32 vcc_lo, 14, v4
	s_mov_b32 s1, -1
	s_cbranch_vccz .LBB51_3083
; %bb.3080:
	v_cmp_eq_u16_e32 vcc_lo, 15, v4
	s_mov_b32 s0, -1
	s_cbranch_vccz .LBB51_3082
; %bb.3081:
	v_bfe_u32 v3, v46, 16, 1
	v_cmp_o_f32_e32 vcc_lo, v46, v46
	s_mov_b32 s0, 0
	s_mov_b32 s2, -1
	s_delay_alu instid0(VALU_DEP_2) | instskip(NEXT) | instid1(VALU_DEP_1)
	v_add3_u32 v3, v46, v3, 0x7fff
	v_lshrrev_b32_e32 v3, 16, v3
	s_delay_alu instid0(VALU_DEP_1)
	v_cndmask_b32_e32 v3, 0x7fc0, v3, vcc_lo
	global_store_b16 v[1:2], v3, off
.LBB51_3082:
	s_mov_b32 s1, 0
.LBB51_3083:
	s_delay_alu instid0(SALU_CYCLE_1)
	s_and_b32 vcc_lo, exec_lo, s1
	s_mov_b32 s1, 0
	s_cbranch_vccz .LBB51_3085
; %bb.3084:
	v_cmp_ne_u16_e64 s0, 11, v4
	s_mov_b32 s1, -1
.LBB51_3085:
	s_delay_alu instid0(VALU_DEP_1)
	s_and_b32 vcc_lo, exec_lo, s0
	s_cbranch_vccnz .LBB51_3228
; %bb.3086:
	s_and_not1_b32 vcc_lo, exec_lo, s1
	s_cbranch_vccnz .LBB51_3088
.LBB51_3087:
	v_cmp_neq_f32_e32 vcc_lo, 0, v46
	s_mov_b32 s2, -1
	v_cndmask_b32_e64 v3, 0, 1, vcc_lo
	global_store_b8 v[1:2], v3, off
.LBB51_3088:
	s_mov_b32 s0, 0
.LBB51_3089:
	s_delay_alu instid0(SALU_CYCLE_1)
	s_and_b32 vcc_lo, exec_lo, s0
	s_cbranch_vccz .LBB51_3128
; %bb.3090:
	v_cmp_gt_i16_e32 vcc_lo, 5, v4
	s_mov_b32 s0, -1
	s_cbranch_vccnz .LBB51_3111
; %bb.3091:
	v_cmp_gt_i16_e32 vcc_lo, 8, v4
	s_cbranch_vccnz .LBB51_3101
; %bb.3092:
	v_cmp_gt_i16_e32 vcc_lo, 9, v4
	s_cbranch_vccnz .LBB51_3098
; %bb.3093:
	v_cmp_lt_i16_e32 vcc_lo, 9, v4
	s_cbranch_vccz .LBB51_3095
; %bb.3094:
	v_cvt_f64_f32_e32 v[5:6], v46
	v_mov_b32_e32 v7, 0
	s_mov_b32 s0, 0
	s_delay_alu instid0(VALU_DEP_1)
	v_mov_b32_e32 v8, v7
	global_store_b128 v[1:2], v[5:8], off
.LBB51_3095:
	s_and_not1_b32 vcc_lo, exec_lo, s0
	s_cbranch_vccnz .LBB51_3097
; %bb.3096:
	v_mov_b32_e32 v47, 0
	global_store_b64 v[1:2], v[46:47], off
.LBB51_3097:
	s_mov_b32 s0, 0
.LBB51_3098:
	s_delay_alu instid0(SALU_CYCLE_1)
	s_and_not1_b32 vcc_lo, exec_lo, s0
	s_cbranch_vccnz .LBB51_3100
; %bb.3099:
	v_cvt_f16_f32_e32 v3, v46
	s_delay_alu instid0(VALU_DEP_1)
	v_and_b32_e32 v3, 0xffff, v3
	global_store_b32 v[1:2], v3, off
.LBB51_3100:
	s_mov_b32 s0, 0
.LBB51_3101:
	s_delay_alu instid0(SALU_CYCLE_1)
	s_and_not1_b32 vcc_lo, exec_lo, s0
	s_cbranch_vccnz .LBB51_3110
; %bb.3102:
	v_cmp_gt_i16_e32 vcc_lo, 6, v4
	s_mov_b32 s0, -1
	s_cbranch_vccnz .LBB51_3108
; %bb.3103:
	v_cmp_lt_i16_e32 vcc_lo, 6, v4
	s_cbranch_vccz .LBB51_3105
; %bb.3104:
	v_cvt_f64_f32_e32 v[5:6], v46
	s_mov_b32 s0, 0
	global_store_b64 v[1:2], v[5:6], off
.LBB51_3105:
	s_and_not1_b32 vcc_lo, exec_lo, s0
	s_cbranch_vccnz .LBB51_3107
; %bb.3106:
	global_store_b32 v[1:2], v46, off
.LBB51_3107:
	s_mov_b32 s0, 0
.LBB51_3108:
	s_delay_alu instid0(SALU_CYCLE_1)
	s_and_not1_b32 vcc_lo, exec_lo, s0
	s_cbranch_vccnz .LBB51_3110
; %bb.3109:
	v_cvt_f16_f32_e32 v3, v46
	global_store_b16 v[1:2], v3, off
.LBB51_3110:
	s_mov_b32 s0, 0
.LBB51_3111:
	s_delay_alu instid0(SALU_CYCLE_1)
	s_and_not1_b32 vcc_lo, exec_lo, s0
	s_cbranch_vccnz .LBB51_3127
; %bb.3112:
	v_cmp_gt_i16_e32 vcc_lo, 2, v4
	s_mov_b32 s0, -1
	s_cbranch_vccnz .LBB51_3122
; %bb.3113:
	v_cmp_gt_i16_e32 vcc_lo, 3, v4
	s_cbranch_vccnz .LBB51_3119
; %bb.3114:
	v_cmp_lt_i16_e32 vcc_lo, 3, v4
	s_cbranch_vccz .LBB51_3116
; %bb.3115:
	v_trunc_f32_e32 v3, v46
	s_mov_b32 s0, 0
	s_delay_alu instid0(VALU_DEP_1) | instskip(NEXT) | instid1(VALU_DEP_1)
	v_mul_f32_e64 v5, 0x2f800000, |v3|
	v_floor_f32_e32 v5, v5
	s_delay_alu instid0(VALU_DEP_1) | instskip(SKIP_2) | instid1(VALU_DEP_3)
	v_fma_f32 v6, 0xcf800000, v5, |v3|
	v_ashrrev_i32_e32 v3, 31, v3
	v_cvt_u32_f32_e32 v5, v5
	v_cvt_u32_f32_e32 v6, v6
	s_delay_alu instid0(VALU_DEP_2) | instskip(NEXT) | instid1(VALU_DEP_2)
	v_xor_b32_e32 v7, v5, v3
	v_xor_b32_e32 v6, v6, v3
	s_delay_alu instid0(VALU_DEP_1) | instskip(NEXT) | instid1(VALU_DEP_3)
	v_sub_co_u32 v5, vcc_lo, v6, v3
	v_sub_co_ci_u32_e32 v6, vcc_lo, v7, v3, vcc_lo
	global_store_b64 v[1:2], v[5:6], off
.LBB51_3116:
	s_and_not1_b32 vcc_lo, exec_lo, s0
	s_cbranch_vccnz .LBB51_3118
; %bb.3117:
	v_cvt_i32_f32_e32 v3, v46
	global_store_b32 v[1:2], v3, off
.LBB51_3118:
	s_mov_b32 s0, 0
.LBB51_3119:
	s_delay_alu instid0(SALU_CYCLE_1)
	s_and_not1_b32 vcc_lo, exec_lo, s0
	s_cbranch_vccnz .LBB51_3121
; %bb.3120:
	v_cvt_i32_f32_e32 v3, v46
	global_store_b16 v[1:2], v3, off
.LBB51_3121:
	s_mov_b32 s0, 0
.LBB51_3122:
	s_delay_alu instid0(SALU_CYCLE_1)
	s_and_not1_b32 vcc_lo, exec_lo, s0
	s_cbranch_vccnz .LBB51_3127
; %bb.3123:
	v_cmp_lt_i16_e32 vcc_lo, 0, v4
	s_mov_b32 s0, -1
	s_cbranch_vccz .LBB51_3125
; %bb.3124:
	v_cvt_i32_f32_e32 v3, v46
	s_mov_b32 s0, 0
	global_store_b8 v[1:2], v3, off
.LBB51_3125:
	s_and_not1_b32 vcc_lo, exec_lo, s0
	s_cbranch_vccnz .LBB51_3127
; %bb.3126:
	v_trunc_f32_e32 v3, v46
	s_delay_alu instid0(VALU_DEP_1) | instskip(NEXT) | instid1(VALU_DEP_1)
	v_mul_f32_e64 v5, 0x2f800000, |v3|
	v_floor_f32_e32 v5, v5
	s_delay_alu instid0(VALU_DEP_1) | instskip(SKIP_1) | instid1(VALU_DEP_2)
	v_fma_f32 v5, 0xcf800000, v5, |v3|
	v_ashrrev_i32_e32 v3, 31, v3
	v_cvt_u32_f32_e32 v5, v5
	s_delay_alu instid0(VALU_DEP_1) | instskip(NEXT) | instid1(VALU_DEP_1)
	v_xor_b32_e32 v5, v5, v3
	v_sub_nc_u32_e32 v3, v5, v3
	global_store_b8 v[1:2], v3, off
.LBB51_3127:
	s_mov_b32 s2, -1
.LBB51_3128:
	s_delay_alu instid0(SALU_CYCLE_1)
	s_and_not1_b32 vcc_lo, exec_lo, s2
	s_cbranch_vccnz .LBB51_3205
; %bb.3129:
	v_cmp_gt_i16_e32 vcc_lo, 11, v4
	v_add_co_u32 v2, s0, s36, v56
	s_delay_alu instid0(VALU_DEP_1)
	v_add_co_ci_u32_e64 v3, null, s37, 0, s0
	s_mov_b32 s1, 0
	s_mov_b32 s0, -1
	s_cbranch_vccnz .LBB51_2728
; %bb.3130:
	v_cmp_lt_i16_e32 vcc_lo, 25, v4
	s_mov_b32 s2, -1
	s_mov_b32 s0, 0
	s_cbranch_vccz .LBB51_3163
; %bb.3131:
	v_cmp_lt_i16_e32 vcc_lo, 28, v4
	s_cbranch_vccz .LBB51_3147
; %bb.3132:
	v_cmp_lt_i16_e32 vcc_lo, 43, v4
	;; [unrolled: 3-line block ×3, first 2 shown]
	s_cbranch_vccz .LBB51_3137
; %bb.3134:
	v_cmp_eq_u16_e32 vcc_lo, 46, v4
	s_mov_b32 s0, -1
	s_cbranch_vccz .LBB51_3136
; %bb.3135:
	v_bfe_u32 v1, v0, 16, 1
	v_cmp_o_f32_e32 vcc_lo, v0, v0
	s_mov_b32 s0, 0
	s_delay_alu instid0(VALU_DEP_2) | instskip(NEXT) | instid1(VALU_DEP_1)
	v_add3_u32 v1, v0, v1, 0x7fff
	v_lshrrev_b32_e32 v1, 16, v1
	s_delay_alu instid0(VALU_DEP_1)
	v_cndmask_b32_e32 v1, 0x7fc0, v1, vcc_lo
	global_store_b32 v[2:3], v1, off
.LBB51_3136:
	s_mov_b32 s2, 0
.LBB51_3137:
	s_delay_alu instid0(SALU_CYCLE_1)
	s_and_b32 vcc_lo, exec_lo, s2
	s_cbranch_vccz .LBB51_3142
; %bb.3138:
	v_cmp_eq_u16_e32 vcc_lo, 44, v4
	s_mov_b32 s0, -1
	s_cbranch_vccz .LBB51_3142
; %bb.3139:
	v_bfe_u32 v5, v0, 23, 8
	v_mov_b32_e32 v1, 0xff
	s_mov_b32 s2, exec_lo
	s_delay_alu instid0(VALU_DEP_2)
	v_cmpx_ne_u32_e32 0xff, v5
; %bb.3140:
	v_and_b32_e32 v1, 0x400000, v0
	v_and_or_b32 v5, 0x3fffff, v0, v5
	s_delay_alu instid0(VALU_DEP_2) | instskip(NEXT) | instid1(VALU_DEP_2)
	v_cmp_ne_u32_e32 vcc_lo, 0, v1
	v_cmp_ne_u32_e64 s0, 0, v5
	v_lshrrev_b32_e32 v1, 23, v0
	s_delay_alu instid0(VALU_DEP_2) | instskip(NEXT) | instid1(SALU_CYCLE_1)
	s_and_b32 s0, vcc_lo, s0
	v_cndmask_b32_e64 v5, 0, 1, s0
	s_delay_alu instid0(VALU_DEP_1)
	v_add_nc_u32_e32 v1, v1, v5
; %bb.3141:
	s_or_b32 exec_lo, exec_lo, s2
	s_mov_b32 s0, 0
	global_store_b8 v[2:3], v1, off
.LBB51_3142:
	s_mov_b32 s2, 0
.LBB51_3143:
	s_delay_alu instid0(SALU_CYCLE_1)
	s_and_b32 vcc_lo, exec_lo, s2
	s_cbranch_vccz .LBB51_3146
; %bb.3144:
	v_cmp_eq_u16_e32 vcc_lo, 29, v4
	s_mov_b32 s0, -1
	s_cbranch_vccz .LBB51_3146
; %bb.3145:
	v_trunc_f32_e32 v1, v0
	s_mov_b32 s0, 0
	s_delay_alu instid0(VALU_DEP_1) | instskip(NEXT) | instid1(VALU_DEP_1)
	v_mul_f32_e32 v5, 0x2f800000, v1
	v_floor_f32_e32 v5, v5
	s_delay_alu instid0(VALU_DEP_1) | instskip(SKIP_1) | instid1(VALU_DEP_2)
	v_fmamk_f32 v1, v5, 0xcf800000, v1
	v_cvt_u32_f32_e32 v6, v5
	v_cvt_u32_f32_e32 v5, v1
	global_store_b64 v[2:3], v[5:6], off
.LBB51_3146:
	s_mov_b32 s2, 0
.LBB51_3147:
	s_delay_alu instid0(SALU_CYCLE_1)
	s_and_b32 vcc_lo, exec_lo, s2
	s_cbranch_vccz .LBB51_3162
; %bb.3148:
	v_cmp_gt_i16_e32 vcc_lo, 27, v4
	s_mov_b32 s2, -1
	s_cbranch_vccnz .LBB51_3154
; %bb.3149:
	v_cmp_lt_i16_e32 vcc_lo, 27, v4
	s_cbranch_vccz .LBB51_3151
; %bb.3150:
	v_cvt_u32_f32_e32 v1, v0
	s_mov_b32 s2, 0
	global_store_b32 v[2:3], v1, off
.LBB51_3151:
	s_and_not1_b32 vcc_lo, exec_lo, s2
	s_cbranch_vccnz .LBB51_3153
; %bb.3152:
	v_cvt_u32_f32_e32 v1, v0
	global_store_b16 v[2:3], v1, off
.LBB51_3153:
	s_mov_b32 s2, 0
.LBB51_3154:
	s_delay_alu instid0(SALU_CYCLE_1)
	s_and_not1_b32 vcc_lo, exec_lo, s2
	s_cbranch_vccnz .LBB51_3162
; %bb.3155:
	v_and_b32_e32 v1, 0x7fffffff, v0
	v_mov_b32_e32 v5, 0x80
	s_mov_b32 s2, exec_lo
	s_delay_alu instid0(VALU_DEP_2)
	v_cmpx_gt_u32_e32 0x43800000, v1
	s_cbranch_execz .LBB51_3161
; %bb.3156:
	v_cmp_lt_u32_e32 vcc_lo, 0x3bffffff, v1
	s_mov_b32 s3, 0
                                        ; implicit-def: $vgpr1
	s_and_saveexec_b32 s4, vcc_lo
	s_delay_alu instid0(SALU_CYCLE_1)
	s_xor_b32 s4, exec_lo, s4
	s_cbranch_execz .LBB51_3232
; %bb.3157:
	v_bfe_u32 v1, v0, 20, 1
	s_mov_b32 s3, exec_lo
	s_delay_alu instid0(VALU_DEP_1) | instskip(NEXT) | instid1(VALU_DEP_1)
	v_add3_u32 v1, v0, v1, 0x487ffff
	v_lshrrev_b32_e32 v1, 20, v1
	s_or_saveexec_b32 s4, s4
                                        ; implicit-def: $sgpr5
	s_delay_alu instid0(SALU_CYCLE_1)
	s_xor_b32 exec_lo, exec_lo, s4
	s_cbranch_execnz .LBB51_3233
.LBB51_3158:
	s_or_b32 exec_lo, exec_lo, s4
	v_mov_b32_e32 v5, s5
	s_and_saveexec_b32 s4, s3
.LBB51_3159:
	v_lshrrev_b32_e32 v5, 24, v0
	s_delay_alu instid0(VALU_DEP_1)
	v_and_or_b32 v5, 0x80, v5, v1
.LBB51_3160:
	s_or_b32 exec_lo, exec_lo, s4
.LBB51_3161:
	s_delay_alu instid0(SALU_CYCLE_1)
	s_or_b32 exec_lo, exec_lo, s2
	global_store_b8 v[2:3], v5, off
.LBB51_3162:
	s_mov_b32 s2, 0
.LBB51_3163:
	s_delay_alu instid0(SALU_CYCLE_1)
	s_and_b32 vcc_lo, exec_lo, s2
	s_cbranch_vccz .LBB51_3203
; %bb.3164:
	v_cmp_lt_i16_e32 vcc_lo, 22, v4
	s_mov_b32 s1, -1
	s_cbranch_vccz .LBB51_3196
; %bb.3165:
	v_cmp_gt_i16_e32 vcc_lo, 24, v4
	s_cbranch_vccnz .LBB51_3185
; %bb.3166:
	v_cmp_lt_i16_e32 vcc_lo, 24, v4
	s_cbranch_vccz .LBB51_3174
; %bb.3167:
	v_and_b32_e32 v1, 0x7fffffff, v0
	v_mov_b32_e32 v5, 0x80
	s_mov_b32 s1, exec_lo
	s_delay_alu instid0(VALU_DEP_2)
	v_cmpx_gt_u32_e32 0x47800000, v1
	s_cbranch_execz .LBB51_3173
; %bb.3168:
	v_cmp_lt_u32_e32 vcc_lo, 0x37ffffff, v1
	s_mov_b32 s2, 0
                                        ; implicit-def: $vgpr1
	s_and_saveexec_b32 s3, vcc_lo
	s_delay_alu instid0(SALU_CYCLE_1)
	s_xor_b32 s3, exec_lo, s3
	s_cbranch_execz .LBB51_3238
; %bb.3169:
	v_bfe_u32 v1, v0, 21, 1
	s_mov_b32 s2, exec_lo
	s_delay_alu instid0(VALU_DEP_1) | instskip(NEXT) | instid1(VALU_DEP_1)
	v_add3_u32 v1, v0, v1, 0x88fffff
	v_lshrrev_b32_e32 v1, 21, v1
	s_or_saveexec_b32 s3, s3
                                        ; implicit-def: $sgpr4
	s_delay_alu instid0(SALU_CYCLE_1)
	s_xor_b32 exec_lo, exec_lo, s3
	s_cbranch_execnz .LBB51_3239
.LBB51_3170:
	s_or_b32 exec_lo, exec_lo, s3
	v_mov_b32_e32 v5, s4
	s_and_saveexec_b32 s3, s2
.LBB51_3171:
	v_lshrrev_b32_e32 v5, 24, v0
	s_delay_alu instid0(VALU_DEP_1)
	v_and_or_b32 v5, 0x80, v5, v1
.LBB51_3172:
	s_or_b32 exec_lo, exec_lo, s3
.LBB51_3173:
	s_delay_alu instid0(SALU_CYCLE_1)
	s_or_b32 exec_lo, exec_lo, s1
	s_mov_b32 s1, 0
	global_store_b8 v[2:3], v5, off
.LBB51_3174:
	s_and_b32 vcc_lo, exec_lo, s1
	s_cbranch_vccz .LBB51_3184
; %bb.3175:
	v_and_b32_e32 v5, 0x7fffffff, v0
	s_mov_b32 s1, exec_lo
                                        ; implicit-def: $vgpr1
	s_delay_alu instid0(VALU_DEP_1)
	v_cmpx_gt_u32_e32 0x43f00000, v5
	s_xor_b32 s1, exec_lo, s1
	s_cbranch_execz .LBB51_3181
; %bb.3176:
	s_mov_b32 s2, exec_lo
                                        ; implicit-def: $vgpr1
	v_cmpx_lt_u32_e32 0x3c7fffff, v5
	s_xor_b32 s2, exec_lo, s2
; %bb.3177:
	v_bfe_u32 v1, v0, 20, 1
	s_delay_alu instid0(VALU_DEP_1) | instskip(NEXT) | instid1(VALU_DEP_1)
	v_add3_u32 v1, v0, v1, 0x407ffff
	v_and_b32_e32 v5, 0xff00000, v1
	v_lshrrev_b32_e32 v1, 20, v1
	s_delay_alu instid0(VALU_DEP_2) | instskip(NEXT) | instid1(VALU_DEP_2)
	v_cmp_ne_u32_e32 vcc_lo, 0x7f00000, v5
	v_cndmask_b32_e32 v1, 0x7e, v1, vcc_lo
; %bb.3178:
	s_and_not1_saveexec_b32 s2, s2
; %bb.3179:
	v_add_f32_e64 v1, 0x46800000, |v0|
; %bb.3180:
	s_or_b32 exec_lo, exec_lo, s2
                                        ; implicit-def: $vgpr5
.LBB51_3181:
	s_and_not1_saveexec_b32 s1, s1
; %bb.3182:
	v_mov_b32_e32 v1, 0x7f
	v_cmp_lt_u32_e32 vcc_lo, 0x7f800000, v5
	s_delay_alu instid0(VALU_DEP_2)
	v_cndmask_b32_e32 v1, 0x7e, v1, vcc_lo
; %bb.3183:
	s_or_b32 exec_lo, exec_lo, s1
	v_lshrrev_b32_e32 v5, 24, v0
	s_delay_alu instid0(VALU_DEP_1)
	v_and_or_b32 v1, 0x80, v5, v1
	global_store_b8 v[2:3], v1, off
.LBB51_3184:
	s_mov_b32 s1, 0
.LBB51_3185:
	s_delay_alu instid0(SALU_CYCLE_1)
	s_and_not1_b32 vcc_lo, exec_lo, s1
	s_cbranch_vccnz .LBB51_3195
; %bb.3186:
	v_and_b32_e32 v5, 0x7fffffff, v0
	s_mov_b32 s1, exec_lo
                                        ; implicit-def: $vgpr1
	s_delay_alu instid0(VALU_DEP_1)
	v_cmpx_gt_u32_e32 0x47800000, v5
	s_xor_b32 s1, exec_lo, s1
	s_cbranch_execz .LBB51_3192
; %bb.3187:
	s_mov_b32 s2, exec_lo
                                        ; implicit-def: $vgpr1
	v_cmpx_lt_u32_e32 0x387fffff, v5
	s_xor_b32 s2, exec_lo, s2
; %bb.3188:
	v_bfe_u32 v1, v0, 21, 1
	s_delay_alu instid0(VALU_DEP_1) | instskip(NEXT) | instid1(VALU_DEP_1)
	v_add3_u32 v1, v0, v1, 0x80fffff
	v_lshrrev_b32_e32 v1, 21, v1
; %bb.3189:
	s_and_not1_saveexec_b32 s2, s2
; %bb.3190:
	v_add_f32_e64 v1, 0x43000000, |v0|
; %bb.3191:
	s_or_b32 exec_lo, exec_lo, s2
                                        ; implicit-def: $vgpr5
.LBB51_3192:
	s_and_not1_saveexec_b32 s1, s1
; %bb.3193:
	v_mov_b32_e32 v1, 0x7f
	v_cmp_lt_u32_e32 vcc_lo, 0x7f800000, v5
	s_delay_alu instid0(VALU_DEP_2)
	v_cndmask_b32_e32 v1, 0x7c, v1, vcc_lo
; %bb.3194:
	s_or_b32 exec_lo, exec_lo, s1
	v_lshrrev_b32_e32 v5, 24, v0
	s_delay_alu instid0(VALU_DEP_1)
	v_and_or_b32 v1, 0x80, v5, v1
	global_store_b8 v[2:3], v1, off
.LBB51_3195:
	s_mov_b32 s1, 0
.LBB51_3196:
	s_delay_alu instid0(SALU_CYCLE_1)
	s_and_not1_b32 vcc_lo, exec_lo, s1
	s_mov_b32 s1, 0
	s_cbranch_vccnz .LBB51_3203
; %bb.3197:
	v_cmp_lt_i16_e32 vcc_lo, 14, v4
	s_mov_b32 s1, -1
	s_cbranch_vccz .LBB51_3201
; %bb.3198:
	v_cmp_eq_u16_e32 vcc_lo, 15, v4
	s_mov_b32 s0, -1
	s_cbranch_vccz .LBB51_3200
; %bb.3199:
	v_bfe_u32 v1, v0, 16, 1
	v_cmp_o_f32_e32 vcc_lo, v0, v0
	s_mov_b32 s0, 0
	s_delay_alu instid0(VALU_DEP_2) | instskip(NEXT) | instid1(VALU_DEP_1)
	v_add3_u32 v1, v0, v1, 0x7fff
	v_lshrrev_b32_e32 v1, 16, v1
	s_delay_alu instid0(VALU_DEP_1)
	v_cndmask_b32_e32 v1, 0x7fc0, v1, vcc_lo
	global_store_b16 v[2:3], v1, off
.LBB51_3200:
	s_mov_b32 s1, 0
.LBB51_3201:
	s_delay_alu instid0(SALU_CYCLE_1)
	s_and_b32 vcc_lo, exec_lo, s1
	s_mov_b32 s1, 0
	s_cbranch_vccz .LBB51_3203
; %bb.3202:
	v_cmp_ne_u16_e64 s0, 11, v4
	s_mov_b32 s1, -1
.LBB51_3203:
	s_delay_alu instid0(VALU_DEP_1)
	s_and_b32 vcc_lo, exec_lo, s0
	s_cbranch_vccnz .LBB51_3236
.LBB51_3204:
	s_mov_b32 s0, 0
	s_branch .LBB51_2728
.LBB51_3205:
	s_mov_b32 s0, 0
	s_mov_b32 s1, 0
                                        ; implicit-def: $vgpr2_vgpr3
                                        ; implicit-def: $vgpr4
	s_branch .LBB51_2728
.LBB51_3206:
	s_cbranch_execnz .LBB51_3210
; %bb.3207:
	s_or_b32 s44, s44, exec_lo
                                        ; implicit-def: $vgpr43
	s_cbranch_execz .LBB51_2673
	s_branch .LBB51_2674
.LBB51_3208:
	s_or_saveexec_b32 s4, s4
                                        ; implicit-def: $sgpr5
	s_delay_alu instid0(SALU_CYCLE_1)
	s_xor_b32 exec_lo, exec_lo, s4
	s_cbranch_execz .LBB51_2803
.LBB51_3209:
	v_add_f32_e64 v3, 0x46000000, |v42|
	s_and_not1_b32 s3, s3, exec_lo
	s_mov_b32 s5, 0
	s_delay_alu instid0(VALU_DEP_1) | instskip(NEXT) | instid1(VALU_DEP_1)
	v_and_b32_e32 v3, 0xff, v3
	v_cmp_ne_u32_e32 vcc_lo, 0, v3
	s_and_b32 s6, vcc_lo, exec_lo
	s_delay_alu instid0(SALU_CYCLE_1)
	s_or_b32 s3, s3, s6
	s_or_b32 exec_lo, exec_lo, s4
	v_mov_b32_e32 v5, s5
	s_and_saveexec_b32 s4, s3
	s_cbranch_execnz .LBB51_2804
	s_branch .LBB51_2805
.LBB51_3210:
	s_trap 2
	s_sendmsg_rtn_b32 s0, sendmsg(MSG_RTN_GET_DOORBELL)
	s_mov_b32 ttmp2, m0
	s_waitcnt lgkmcnt(0)
	s_and_b32 s0, s0, 0x3ff
	s_delay_alu instid0(SALU_CYCLE_1) | instskip(NEXT) | instid1(SALU_CYCLE_1)
	s_bitset1_b32 s0, 10
	s_mov_b32 m0, s0
	s_sendmsg sendmsg(MSG_INTERRUPT)
	s_mov_b32 m0, ttmp2
.LBB51_3211:                            ; =>This Inner Loop Header: Depth=1
	s_sethalt 5
	s_branch .LBB51_3211
.LBB51_3212:
	s_cbranch_execnz .LBB51_3218
; %bb.3213:
	s_or_b32 s44, s44, exec_lo
	s_cbranch_execz .LBB51_2851
	s_branch .LBB51_2852
.LBB51_3214:
	s_or_saveexec_b32 s3, s3
                                        ; implicit-def: $sgpr4
	s_delay_alu instid0(SALU_CYCLE_1)
	s_xor_b32 exec_lo, exec_lo, s3
	s_cbranch_execz .LBB51_2816
.LBB51_3215:
	v_add_f32_e64 v3, 0x42800000, |v42|
	s_and_not1_b32 s2, s2, exec_lo
	s_mov_b32 s4, 0
	s_delay_alu instid0(VALU_DEP_1) | instskip(NEXT) | instid1(VALU_DEP_1)
	v_and_b32_e32 v3, 0xff, v3
	v_cmp_ne_u32_e32 vcc_lo, 0, v3
	s_and_b32 s5, vcc_lo, exec_lo
	s_delay_alu instid0(SALU_CYCLE_1)
	s_or_b32 s2, s2, s5
	s_or_b32 exec_lo, exec_lo, s3
	v_mov_b32_e32 v5, s4
	s_and_saveexec_b32 s3, s2
	s_cbranch_execnz .LBB51_2817
	s_branch .LBB51_2818
.LBB51_3216:
	s_or_saveexec_b32 s4, s4
                                        ; implicit-def: $sgpr5
	s_delay_alu instid0(SALU_CYCLE_1)
	s_xor_b32 exec_lo, exec_lo, s4
	s_cbranch_execz .LBB51_2921
.LBB51_3217:
	v_add_f32_e64 v3, 0x46000000, |v44|
	s_and_not1_b32 s3, s3, exec_lo
	s_mov_b32 s5, 0
	s_delay_alu instid0(VALU_DEP_1) | instskip(NEXT) | instid1(VALU_DEP_1)
	v_and_b32_e32 v3, 0xff, v3
	v_cmp_ne_u32_e32 vcc_lo, 0, v3
	s_and_b32 s6, vcc_lo, exec_lo
	s_delay_alu instid0(SALU_CYCLE_1)
	s_or_b32 s3, s3, s6
	s_or_b32 exec_lo, exec_lo, s4
	v_mov_b32_e32 v5, s5
	s_and_saveexec_b32 s4, s3
	s_cbranch_execnz .LBB51_2922
	s_branch .LBB51_2923
.LBB51_3218:
	s_trap 2
	s_sendmsg_rtn_b32 s0, sendmsg(MSG_RTN_GET_DOORBELL)
	s_mov_b32 ttmp2, m0
	s_waitcnt lgkmcnt(0)
	s_and_b32 s0, s0, 0x3ff
	s_delay_alu instid0(SALU_CYCLE_1) | instskip(NEXT) | instid1(SALU_CYCLE_1)
	s_bitset1_b32 s0, 10
	s_mov_b32 m0, s0
	s_sendmsg sendmsg(MSG_INTERRUPT)
	s_mov_b32 m0, ttmp2
.LBB51_3219:                            ; =>This Inner Loop Header: Depth=1
	s_sethalt 5
	s_branch .LBB51_3219
.LBB51_3220:
	s_cbranch_execnz .LBB51_3226
; %bb.3221:
	s_or_b32 s44, s44, exec_lo
	s_cbranch_execz .LBB51_2969
	s_branch .LBB51_2970
.LBB51_3222:
	s_or_saveexec_b32 s3, s3
                                        ; implicit-def: $sgpr4
	s_delay_alu instid0(SALU_CYCLE_1)
	s_xor_b32 exec_lo, exec_lo, s3
	s_cbranch_execz .LBB51_2934
.LBB51_3223:
	v_add_f32_e64 v3, 0x42800000, |v44|
	s_and_not1_b32 s2, s2, exec_lo
	s_mov_b32 s4, 0
	s_delay_alu instid0(VALU_DEP_1) | instskip(NEXT) | instid1(VALU_DEP_1)
	v_and_b32_e32 v3, 0xff, v3
	v_cmp_ne_u32_e32 vcc_lo, 0, v3
	s_and_b32 s5, vcc_lo, exec_lo
	s_delay_alu instid0(SALU_CYCLE_1)
	s_or_b32 s2, s2, s5
	s_or_b32 exec_lo, exec_lo, s3
	v_mov_b32_e32 v5, s4
	s_and_saveexec_b32 s3, s2
	s_cbranch_execnz .LBB51_2935
	s_branch .LBB51_2936
.LBB51_3224:
	s_or_saveexec_b32 s4, s4
                                        ; implicit-def: $sgpr5
	s_delay_alu instid0(SALU_CYCLE_1)
	s_xor_b32 exec_lo, exec_lo, s4
	s_cbranch_execz .LBB51_3039
.LBB51_3225:
	v_add_f32_e64 v3, 0x46000000, |v46|
	s_and_not1_b32 s3, s3, exec_lo
	s_mov_b32 s5, 0
	s_delay_alu instid0(VALU_DEP_1) | instskip(NEXT) | instid1(VALU_DEP_1)
	v_and_b32_e32 v3, 0xff, v3
	v_cmp_ne_u32_e32 vcc_lo, 0, v3
	s_and_b32 s6, vcc_lo, exec_lo
	s_delay_alu instid0(SALU_CYCLE_1)
	s_or_b32 s3, s3, s6
	s_or_b32 exec_lo, exec_lo, s4
	v_mov_b32_e32 v5, s5
	s_and_saveexec_b32 s4, s3
	s_cbranch_execnz .LBB51_3040
	s_branch .LBB51_3041
.LBB51_3226:
	s_trap 2
	s_sendmsg_rtn_b32 s0, sendmsg(MSG_RTN_GET_DOORBELL)
	s_mov_b32 ttmp2, m0
	s_waitcnt lgkmcnt(0)
	s_and_b32 s0, s0, 0x3ff
	s_delay_alu instid0(SALU_CYCLE_1) | instskip(NEXT) | instid1(SALU_CYCLE_1)
	s_bitset1_b32 s0, 10
	s_mov_b32 m0, s0
	s_sendmsg sendmsg(MSG_INTERRUPT)
	s_mov_b32 m0, ttmp2
.LBB51_3227:                            ; =>This Inner Loop Header: Depth=1
	s_sethalt 5
	s_branch .LBB51_3227
.LBB51_3228:
	s_cbranch_execnz .LBB51_3234
; %bb.3229:
	s_or_b32 s44, s44, exec_lo
	s_cbranch_execz .LBB51_3087
	s_branch .LBB51_3088
.LBB51_3230:
	s_or_saveexec_b32 s3, s3
                                        ; implicit-def: $sgpr4
	s_delay_alu instid0(SALU_CYCLE_1)
	s_xor_b32 exec_lo, exec_lo, s3
	s_cbranch_execz .LBB51_3052
.LBB51_3231:
	v_add_f32_e64 v3, 0x42800000, |v46|
	s_and_not1_b32 s2, s2, exec_lo
	s_mov_b32 s4, 0
	s_delay_alu instid0(VALU_DEP_1) | instskip(NEXT) | instid1(VALU_DEP_1)
	v_and_b32_e32 v3, 0xff, v3
	v_cmp_ne_u32_e32 vcc_lo, 0, v3
	s_and_b32 s5, vcc_lo, exec_lo
	s_delay_alu instid0(SALU_CYCLE_1)
	s_or_b32 s2, s2, s5
	s_or_b32 exec_lo, exec_lo, s3
	v_mov_b32_e32 v5, s4
	s_and_saveexec_b32 s3, s2
	s_cbranch_execnz .LBB51_3053
	s_branch .LBB51_3054
.LBB51_3232:
	s_or_saveexec_b32 s4, s4
                                        ; implicit-def: $sgpr5
	s_delay_alu instid0(SALU_CYCLE_1)
	s_xor_b32 exec_lo, exec_lo, s4
	s_cbranch_execz .LBB51_3158
.LBB51_3233:
	v_add_f32_e64 v1, 0x46000000, |v0|
	s_and_not1_b32 s3, s3, exec_lo
	s_mov_b32 s5, 0
	s_delay_alu instid0(VALU_DEP_1) | instskip(NEXT) | instid1(VALU_DEP_1)
	v_and_b32_e32 v1, 0xff, v1
	v_cmp_ne_u32_e32 vcc_lo, 0, v1
	s_and_b32 s6, vcc_lo, exec_lo
	s_delay_alu instid0(SALU_CYCLE_1)
	s_or_b32 s3, s3, s6
	s_or_b32 exec_lo, exec_lo, s4
	v_mov_b32_e32 v5, s5
	s_and_saveexec_b32 s4, s3
	s_cbranch_execnz .LBB51_3159
	s_branch .LBB51_3160
.LBB51_3234:
	s_trap 2
	s_sendmsg_rtn_b32 s0, sendmsg(MSG_RTN_GET_DOORBELL)
	s_mov_b32 ttmp2, m0
	s_waitcnt lgkmcnt(0)
	s_and_b32 s0, s0, 0x3ff
	s_delay_alu instid0(SALU_CYCLE_1) | instskip(NEXT) | instid1(SALU_CYCLE_1)
	s_bitset1_b32 s0, 10
	s_mov_b32 m0, s0
	s_sendmsg sendmsg(MSG_INTERRUPT)
	s_mov_b32 m0, ttmp2
.LBB51_3235:                            ; =>This Inner Loop Header: Depth=1
	s_sethalt 5
	s_branch .LBB51_3235
.LBB51_3236:
	s_cbranch_execnz .LBB51_3240
; %bb.3237:
	s_mov_b32 s1, 0
	s_or_b32 s44, s44, exec_lo
	s_branch .LBB51_3204
.LBB51_3238:
	s_or_saveexec_b32 s3, s3
                                        ; implicit-def: $sgpr4
	s_delay_alu instid0(SALU_CYCLE_1)
	s_xor_b32 exec_lo, exec_lo, s3
	s_cbranch_execz .LBB51_3170
.LBB51_3239:
	v_add_f32_e64 v1, 0x42800000, |v0|
	s_and_not1_b32 s2, s2, exec_lo
	s_mov_b32 s4, 0
	s_delay_alu instid0(VALU_DEP_1) | instskip(NEXT) | instid1(VALU_DEP_1)
	v_and_b32_e32 v1, 0xff, v1
	v_cmp_ne_u32_e32 vcc_lo, 0, v1
	s_and_b32 s5, vcc_lo, exec_lo
	s_delay_alu instid0(SALU_CYCLE_1)
	s_or_b32 s2, s2, s5
	s_or_b32 exec_lo, exec_lo, s3
	v_mov_b32_e32 v5, s4
	s_and_saveexec_b32 s3, s2
	s_cbranch_execnz .LBB51_3171
	s_branch .LBB51_3172
.LBB51_3240:
	s_trap 2
	s_sendmsg_rtn_b32 s0, sendmsg(MSG_RTN_GET_DOORBELL)
	s_mov_b32 ttmp2, m0
	s_waitcnt lgkmcnt(0)
	s_and_b32 s0, s0, 0x3ff
	s_delay_alu instid0(SALU_CYCLE_1) | instskip(NEXT) | instid1(SALU_CYCLE_1)
	s_bitset1_b32 s0, 10
	s_mov_b32 m0, s0
	s_sendmsg sendmsg(MSG_INTERRUPT)
	s_mov_b32 m0, ttmp2
.LBB51_3241:                            ; =>This Inner Loop Header: Depth=1
	s_sethalt 5
	s_branch .LBB51_3241
	.section	.rodata,"a",@progbits
	.p2align	6, 0x0
	.amdhsa_kernel _ZN2at6native32elementwise_kernel_manual_unrollILi128ELi4EZNS0_15gpu_kernel_implIN12_GLOBAL__N_110CalcIgammaIfEEEEvRNS_18TensorIteratorBaseERKT_EUlibE0_EEviT1_
		.amdhsa_group_segment_fixed_size 0
		.amdhsa_private_segment_fixed_size 144
		.amdhsa_kernarg_size 432
		.amdhsa_user_sgpr_count 15
		.amdhsa_user_sgpr_dispatch_ptr 0
		.amdhsa_user_sgpr_queue_ptr 0
		.amdhsa_user_sgpr_kernarg_segment_ptr 1
		.amdhsa_user_sgpr_dispatch_id 0
		.amdhsa_user_sgpr_private_segment_size 0
		.amdhsa_wavefront_size32 1
		.amdhsa_uses_dynamic_stack 0
		.amdhsa_enable_private_segment 1
		.amdhsa_system_sgpr_workgroup_id_x 1
		.amdhsa_system_sgpr_workgroup_id_y 0
		.amdhsa_system_sgpr_workgroup_id_z 0
		.amdhsa_system_sgpr_workgroup_info 0
		.amdhsa_system_vgpr_workitem_id 0
		.amdhsa_next_free_vgpr 66
		.amdhsa_next_free_sgpr 82
		.amdhsa_reserve_vcc 1
		.amdhsa_float_round_mode_32 0
		.amdhsa_float_round_mode_16_64 0
		.amdhsa_float_denorm_mode_32 3
		.amdhsa_float_denorm_mode_16_64 3
		.amdhsa_dx10_clamp 1
		.amdhsa_ieee_mode 1
		.amdhsa_fp16_overflow 0
		.amdhsa_workgroup_processor_mode 1
		.amdhsa_memory_ordered 1
		.amdhsa_forward_progress 0
		.amdhsa_shared_vgpr_count 0
		.amdhsa_exception_fp_ieee_invalid_op 0
		.amdhsa_exception_fp_denorm_src 0
		.amdhsa_exception_fp_ieee_div_zero 0
		.amdhsa_exception_fp_ieee_overflow 0
		.amdhsa_exception_fp_ieee_underflow 0
		.amdhsa_exception_fp_ieee_inexact 0
		.amdhsa_exception_int_div_zero 0
	.end_amdhsa_kernel
	.section	.text._ZN2at6native32elementwise_kernel_manual_unrollILi128ELi4EZNS0_15gpu_kernel_implIN12_GLOBAL__N_110CalcIgammaIfEEEEvRNS_18TensorIteratorBaseERKT_EUlibE0_EEviT1_,"axG",@progbits,_ZN2at6native32elementwise_kernel_manual_unrollILi128ELi4EZNS0_15gpu_kernel_implIN12_GLOBAL__N_110CalcIgammaIfEEEEvRNS_18TensorIteratorBaseERKT_EUlibE0_EEviT1_,comdat
.Lfunc_end51:
	.size	_ZN2at6native32elementwise_kernel_manual_unrollILi128ELi4EZNS0_15gpu_kernel_implIN12_GLOBAL__N_110CalcIgammaIfEEEEvRNS_18TensorIteratorBaseERKT_EUlibE0_EEviT1_, .Lfunc_end51-_ZN2at6native32elementwise_kernel_manual_unrollILi128ELi4EZNS0_15gpu_kernel_implIN12_GLOBAL__N_110CalcIgammaIfEEEEvRNS_18TensorIteratorBaseERKT_EUlibE0_EEviT1_
                                        ; -- End function
	.section	.AMDGPU.csdata,"",@progbits
; Kernel info:
; codeLenInByte = 60920
; NumSgprs: 84
; NumVgprs: 66
; ScratchSize: 144
; MemoryBound: 1
; FloatMode: 240
; IeeeMode: 1
; LDSByteSize: 0 bytes/workgroup (compile time only)
; SGPRBlocks: 10
; VGPRBlocks: 8
; NumSGPRsForWavesPerEU: 84
; NumVGPRsForWavesPerEU: 66
; Occupancy: 16
; WaveLimiterHint : 1
; COMPUTE_PGM_RSRC2:SCRATCH_EN: 1
; COMPUTE_PGM_RSRC2:USER_SGPR: 15
; COMPUTE_PGM_RSRC2:TRAP_HANDLER: 0
; COMPUTE_PGM_RSRC2:TGID_X_EN: 1
; COMPUTE_PGM_RSRC2:TGID_Y_EN: 0
; COMPUTE_PGM_RSRC2:TGID_Z_EN: 0
; COMPUTE_PGM_RSRC2:TIDIG_COMP_CNT: 0
	.text
	.p2alignl 7, 3214868480
	.fill 96, 4, 3214868480
	.type	__const._ZN12_GLOBAL__N_130_igam_helper_asymptotic_seriesIdEET_S1_S1_b.d,@object ; @__const._ZN12_GLOBAL__N_130_igam_helper_asymptotic_seriesIdEET_S1_S1_b.d
	.section	.rodata,"a",@progbits
	.p2align	4, 0x0
__const._ZN12_GLOBAL__N_130_igam_helper_asymptotic_seriesIdEET_S1_S1_b.d:
	.quad	0xbfd5555555555555              ; double -0.33333333333333331
	.quad	0x3fb5555555555555              ; double 0.083333333333333329
	.quad	0xbf8e573ac901e574              ; double -0.014814814814814815
	.quad	0x3f52f684bda12f68              ; double 0.0011574074074074073
	.quad	0x3f371de3a556c734              ; double 3.5273368606701942E-4
	.quad	0xbf276e06fec7273b              ; double -1.787551440329218E-4
	.quad	0x3f048c5892f7cd83              ; double 3.9192631785224377E-5
	.quad	0xbec255370652afc2              ; double -2.1854485106799924E-6
	.quad	0xbebf1b22f594c6b5              ; double -1.85406221071516E-6
	.quad	0x3eabd6d21e4b4109              ; double 8.2967113409530865E-7
	.quad	0xbe87b5f9a2d0465c              ; double -1.7665952736826078E-7
	.quad	0x3e3ccf5ceb7f0d9f              ; double 6.7078535434014984E-9
	.quad	0x3e46097d55c37c1c              ; double 1.0261809784240309E-8
	.quad	0xbe32d2197c7a2faa              ; double -4.3820360184533529E-9
	.quad	0x3e0f6e66d24d5c8a              ; double 9.1476995822367902E-10
	.quad	0xbdbc0d9b6edf2b0c              ; double -2.5514193994946251E-11
	.quad	0xbdd0070a87340428              ; double -5.8307721325504256E-11
	.quad	0x3dbac9475c463659              ; double 2.4361948020667415E-11
	.quad	0xbd961ca701fd754a              ; double -5.0276692801141755E-12
	.quad	0x3d3ef98008f5eec2              ; double 1.1004392031956135E-13
	.quad	0x3d57ba0759769d7d              ; double 3.3717632624009856E-13
	.quad	0xbd43989bebb193c0              ; double -1.3923887224181621E-13
	.quad	0x3d20104fc4369a3c              ; double 2.8534893807047445E-14
	.quad	0xbcc283fe7950ad7b              ; double -5.1391118342425723E-16
	.quad	0xbce1ca914d71a27c              ; double -1.9752288294349442E-15
	.quad	0xbf5e573ac901e574              ; double -0.0018518518518518519
	.quad	0xbf6c71c71c71c71c              ; double -0.003472222222222222
	.quad	0x3f65ac056b015ac0              ; double 0.0026455026455026454
	.quad	0xbf50394f6f09e723              ; double -9.9022633744855963E-4
	.quad	0x3f2af83440e53dbc              ; double 2.0576131687242798E-4
	.quad	0xbe9af83440e53dbc              ; double -4.018775720164609E-7
	.quad	0xbef2fa4ae89e5af0              ; double -1.8098550334489977E-5
	.quad	0x3ee00a9cabd6b83e              ; double 7.6491609160811098E-6
	.quad	0xbebb0bdfcc629cba              ; double -1.6120900894563446E-6
	.quad	0x3e33f59230a8357c              ; double 4.647127802807434E-9
	.quad	0x3e8280f2cde3f847              ; double 1.3786334469157209E-7
	.quad	0xbe6ee23d0cba8aee              ; double -5.7525456035177047E-8
	.quad	0x3e49aa7a30de114c              ; double 1.1951628599778148E-8
	.quad	0xbdb349fbca3a377b              ; double -1.7543241719747647E-11
	.quad	0xbe11564ecff73d58              ; double -1.0091543710600413E-9
	.quad	0x3dfc9b434bf3c34e              ; double 4.1627929918425828E-10
	.quad	0xbdd78a5056f8ce45              ; double -8.5639070264929801E-11
	.quad	0x3d3113e3a466db9e              ; double 6.0672151016047582E-14
	.quad	0x3d9f8041c5540ea2              ; double 7.1624989648114856E-12
	.quad	0xbd89ccf2fab4608b              ; double -2.9331866437714371E-12
	.quad	0x3d6519580a10cd82              ; double 5.9966963656836885E-13
	.quad	0xbcaf3b7a5dcd1851              ; double -2.1671786527323313E-16
	.quad	0xbd2c068b448455ea              ; double -4.9783399723692617E-14
	.quad	0x3d16d8a9ef5c1827              ; double 2.0291628823713425E-14
	.quad	0xbcf29b03783db2a2              ; double -4.1312557138106099E-15
	.quad	0x3f70ee643b990ee6              ; double 0.0041335978835978834
	.quad	0xbf65f7268edab4c8              ; double -0.0026813271604938273
	.quad	0x3f4948b0fcd6e9e0              ; double 7.716049382716049E-4
	.quad	0x3ec0db20a88f4696              ; double 2.0093878600823047E-6
	.quad	0xbf1c253efaa1a933              ; double -1.0736653226365161E-4
	.quad	0x3f0bbf43daf4fe53              ; double 5.2923448829120125E-5
	.quad	0xbeeac2d05890f2c3              ; double -1.2760635188618728E-5
	.quad	0x3e626154ae39151d              ; double 3.4235787340961378E-8
	.quad	0x3eb7058929663936              ; double 1.3721957309062932E-6
	.quad	0xbea522cb05171911              ; double -6.2989921383800548E-7
	.quad	0x3e832ac81c15d3d7              ; double 1.4280614206064242E-7
	.quad	0xbdec24bd0e740a6c              ; double -2.0477098421990866E-10
	.quad	0xbe4e437343a46f5d              ; double -1.409252991086752E-8
	.quad	0x3e3ac0d455e25360              ; double 6.2289740849220218E-9
	.quad	0xbe177c5829460138              ; double -1.3670488396617112E-9
	.quad	0x3d70962774f638bb              ; double 9.428356159014678E-13
	.quad	0x3de1b1056c188672              ; double 1.2872252400089318E-10
	.quad	0xbdce9778dbc61371              ; double -5.5645956134363323E-11
	.quad	0x3daa55da34225759              ; double 1.1975935546366981E-11
	.quad	0xbcf2c681309d6007              ; double -4.1689782251838634E-15
	.quad	0xbd733f39f65c6eee              ; double -1.0940640427884595E-12
	.quad	0x3d60675f56b95f3b              ; double 4.6622399463901356E-13
	.quad	0xbd3be16182b001e8              ; double -9.9051057639069066E-14
	.quad	0x3c75d3b42a398b8f              ; double 1.8931876768373515E-17
	.quad	0x3d03f2fe637bc2b8              ; double 8.8592218725911265E-15
	.quad	0x3f4547d93b34e2b6              ; double 6.4943415637860077E-4
	.quad	0x3f2e13ce465fa859              ; double 2.2947209362139917E-4
	.quad	0xbf3ebfb188b7ca00              ; double -4.691894943952557E-4
	.quad	0x3f318b9b5bf2d984              ; double 2.6772063206283885E-4
	.quad	0xbf13d2a3a29b5d9d              ; double -7.5618016718839766E-5
	.quad	0xbe90152a1871f27a              ; double -2.3965051138672968E-7
	.quad	0x3ee73df462204ef4              ; double 1.1082654115347302E-5
	.quad	0xbed7cd6f27b3f020              ; double -5.6749528269915965E-6
	.quad	0x3eb7e0201539310e              ; double 1.4230900732435883E-6
	.quad	0xbdbea23269c140a7              ; double -2.7861080291528143E-11
	.quad	0xbe86c2dcffbefeef              ; double -1.6958404091930278E-7
	.quad	0x3e75bde8ef4c4dc7              ; double 8.0994649053880827E-8
	.quad	0xbe54853ced169327              ; double -1.9111168485973655E-8
	.quad	0x3d850c3f0dd501eb              ; double 2.3928620439808118E-12
	.quad	0x3e21b66a39794ba9              ; double 2.0620131815488797E-9
	.quad	0xbe1040c53b2491f0              ; double -9.460496661855133E-10
	.quad	0x3ded9b15465daec1              ; double 2.1541049775774907E-10
	.quad	0xbd0f46057e1c9d1f              ; double -1.388823336813903E-14
	.quad	0xbdb812d3d94d533b              ; double -2.1894761681963938E-11
	.quad	0x3da587d7a7c1a668              ; double 9.7909989511716843E-12
	.quad	0xbd8328e9df2eb8b6              ; double -2.1782191880180961E-12
	.quad	0x3c91e54cdbaa3443              ; double 6.2088195734079008E-17
	.quad	0x3d4def3f46a086e5              ; double 2.1269783632797371E-13
	.quad	0xbd3a4d8ed36b49dc              ; double -9.344688791517433E-14
	.quad	0x3d17075e8dcfddd0              ; double 2.0453671226782849E-14
	.quad	0xbf4c3e0b02da7bf9              ; double -8.6188829091671172E-4
	.quad	0x3f49b0ff6874f2c4              ; double 7.8403922172006662E-4
	.quad	0xbf33999a85a4237a              ; double -2.9907248030319018E-4
	.quad	0xbeb88f2ae1def9d0              ; double -1.4638452578843418E-6
	.quad	0x3f116908b48ce058              ; double 6.6414982154651219E-5
	.quad	0xbf04ce3fd902bcad              ; double -3.9683650471794347E-5
	.quad	0x3ee7db4c02846e81              ; double 1.1375726970678419E-5
	.quad	0x3df13b3c5b7cb45e              ; double 2.5074972262375329E-10
	.quad	0xbebc71c074985d3f              ; double -1.6954149536558305E-6
	.quad	0x3eade37d9f09164c              ; double 8.9075075322053094E-7
	.quad	0xbe8ec676cf33153c              ; double -2.2929348340008049E-7
	.quad	0x3dc041515bab6ada              ; double 2.9567941375440492E-11
	.quad	0x3e5efe94304ac16b              ; double 2.8865829742708783E-8
	.quad	0xbe4e78e449f4e3be              ; double -1.4189739437803219E-8
	.quad	0x3e2d9a9f1a8b7696              ; double 3.4463580499464896E-9
	.quad	0xbd5033ba70791e5e              ; double -2.3024517174528067E-13
	.quad	0xbdfb14f212618752              ; double -3.9409233028046403E-10
	.quad	0x3de9911dbca7ce93              ; double 1.8602338968504501E-10
	.quad	0xbdc7f2fac5e22aae              ; double -4.3563230050566177E-11
	.quad	0x3cd7088090f49aab              ; double 1.278600101629623E-15
	.quad	0x3d949465337812c4              ; double 4.6792750266579197E-12
	.quad	0xbd82e7ac3cc20208              ; double -2.149246470613483E-12
	.quad	0x3d614577d11fe2b7              ; double 4.908815614809652E-13
	.quad	0xbc5d3b49b9fd2152              ; double -6.3385914848915601E-18
	.quad	0xbd2c6716fd28d001              ; double -5.0453320690800942E-14
	.quad	0xbf36128ac5a4fa71              ; double -3.3679855336635813E-4
	.quad	0xbf1247604839c039              ; double -6.9728137583658585E-5
	.quad	0x3f322be87360ef1f              ; double 2.7727532449593918E-4
	.quad	0xbf2a2042c5148e27              ; double -1.9932570516188847E-4
	.quad	0x3f11d1e9cb24760b              ; double 6.797780477937208E-5
	.quad	0x3e830bdcf208080e              ; double 1.4190629206439671E-7
	.quad	0xbeec823fc1b3cc36              ; double -1.3594048189768693E-5
	.quad	0x3ee0d0e229150428              ; double 8.018470256334202E-6
	.quad	0xbec338eb19652fd9              ; double -2.2914811765080952E-6
	.quad	0xbdf659cfde0bb2eb              ; double -3.2524735512984538E-10
	.quad	0x3e9741504e5c87c2              ; double 3.4652846491085265E-7
	.quad	0xbe88c267becd0c0f              ; double -1.8447187191171344E-7
	.quad	0x3e69e630225a095b              ; double 4.8240967037894184E-8
	.quad	0xbd14411c5ac40e35              ; double -1.7989466721743514E-14
	.quad	0xbe3b15bbf334c8c3              ; double -6.3061945000135231E-9
	.quad	0x3e2b2a3adb58623d              ; double 3.1624176287745678E-9
	.quad	0xbe0af0f32d677057              ; double -7.8409242536974288E-10
	.quad	0x3cf762c060bd9bda              ; double 5.1926791652540408E-15
	.quad	0x3dd9b9c5831849dc              ; double 9.3589442423067842E-11
	.quad	0xbdc8d0152b8692ba              ; double -4.513426216163278E-11
	.quad	0x3da7bf5ea6674b5f              ; double 1.0799129993116828E-11
	.quad	0xbc851bfdafa33430              ; double -3.661886712685252E-17
	.quad	0xbd754d6b090f18db              ; double -1.2109020690551549E-12
	.quad	0x3d63fcc249cb50d9              ; double 5.6807435849905644E-13
	.quad	0xbd42a5b16d7de31e              ; double -1.3249659916340829E-13
	.quad	0x3f4168ef1b0931c8              ; double 5.3130793646399225E-4
	.quad	0xbf436773bdb97b48              ; double -5.9216643735369393E-4
	.quad	0x3f31c0950d3ecb9d              ; double 2.708782096718045E-4
	.quad	0x3eaa8411da6cab49              ; double 7.9023532326603281E-7
	.quad	0xbf15600945495b37              ; double -8.1539693675619691E-5
	.quad	0x3f0d6bdf83130dc1              ; double 5.6116827531062497E-5
	.quad	0xbef3382f4cf48618              ; double -1.8329116582843375E-5
	.quad	0xbe2a74243fa27729              ; double -3.0796134506033047E-9
	.quad	0x3ecd115d4f5dcc68              ; double 3.4651553688036091E-6
	.quad	0xbec10587854fcb37              ; double -2.0291327396058603E-6
	.quad	0x3ea36c8903447d35              ; double 5.7887928631490039E-7
	.quad	0x3d5074e709bf4b8b              ; double 2.3386306738266568E-13
	.quad	0xbe77b2f7de505322              ; double -8.828600746330484E-8
	.quad	0x3e69778c6d79bcc1              ; double 4.7435958880408125E-8
	.quad	0xbe4af0ea334cc20d              ; double -1.2545415020710382E-8
	.quad	0x3d3858ba968e7d04              ; double 8.6496488580102926E-14
	.quad	0x3e1cf0f99fa070bc              ; double 1.6846058979264062E-9
	.quad	0xbe0d77155071f99b              ; double -8.5754928235775943E-10
	.quad	0x3dedaf3327a51b54              ; double 2.1598224929232125E-10
	.quad	0xbccb6df73b581619              ; double -7.6132305204761534E-16
	.quad	0xbdbd4a717ac2b965              ; double -2.6639822008536144E-11
	.quad	0x3dacbb55e3e29ba5              ; double 1.3065700536611057E-11
	.quad	0xbd8bf888fe9ca81c              ; double -3.1799163902367977E-12
	.quad	0x3c55b9bd2acc211f              ; double 4.7109761213674312E-18
	.quad	0x3d59f7d14e8f487b              ; double 3.6902800842763465E-13
	.quad	0x3f3691879c01efb4              ; double 3.4436760689237765E-4
	.quad	0x3f0b1d75d3346711              ; double 5.1717909082605919E-5
	.quad	0xbf35f3385098cebf              ; double -3.3493161081142234E-4
	.quad	0x3f326eeb5ece1d9f              ; double 2.8126951547632369E-4
	.quad	0xbf1cc642787368ce              ; double -1.0976582244684731E-4
	.quad	0xbe8119c70312e0a2              ; double -1.2741009095484485E-7
	.quad	0x3efd179830b113ab              ; double 2.7744451511563645E-5
	.quad	0xbef3269164e3e304              ; double -1.8263488805711332E-5
	.quad	0x3ed8467d794bd7f2              ; double 5.7876949497350525E-6
	.quad	0x3e00f82da50cdaee              ; double 4.9387589339362701E-10
	.quad	0xbeb1c6acec59f442              ; double -1.0595367014026043E-6
	.quad	0x3ea4b12ad51452d5              ; double 6.1667143761104078E-7
	.quad	0xbe87929779607d63              ; double -1.7562973359060463E-7
	.quad	0xbd76d32eed259534              ; double -1.2974473287015439E-12
	.quad	0x3e5cf11fbdf49e99              ; double 2.6954236062889659E-8
	.quad	0xbe4f4e88c5d1cae1              ; double -1.4578352908731272E-8
	.quad	0x3e30b2830e4dfce1              ; double 3.887645959386175E-9
	.quad	0xbc865f59322ddf56              ; double -3.8810022510194121E-17
	.quad	0xbe024e8da0f96246              ; double -5.3279941738772864E-10
	.quad	0x3df2daf0a8add2ab              ; double 2.7437977643314844E-10
	.quad	0xbdd33ada96417614              ; double -6.995796092070568E-11
	.quad	0x3c7ddc4a629af677              ; double 2.5899863874868481E-17
	.quad	0x3da379df6a52f424              ; double 8.8566890996696388E-12
	.quad	0xbd935d870109f334              ; double -4.4031688158713109E-12
	.quad	0x3d731d6a00ba6216              ; double 1.0865561947091654E-12
	.quad	0xbf45629b3187b744              ; double -6.5262391859530937E-4
	.quad	0x3f4b8239c670e690              ; double 8.3949872067208726E-4
	.quad	0xbf3cb967b4446107              ; double -4.3829709854172099E-4
	.quad	0xbea762676b30cfd6              ; double -6.9690914584205523E-7
	.quad	0x3f25d1157082916d              ; double 1.6644846642067547E-4
	.quad	0xbf20c16fcea7ddb2              ; double -1.2783517679769218E-4
	.quad	0x3f084637d3f583cd              ; double 4.6299532636913042E-5
	.quad	0x3e33937992ec9b02              ; double 4.557909867922708E-9
	.quad	0xbee6384af9ac219d              ; double -1.0595271125805195E-5
	.quad	0x3edc738f198ab550              ; double 6.7833429048651668E-6
	.quad	0xbec1adec9530a7ad              ; double -2.1075476666258803E-6
	.quad	0xbdb2ed3c124b7492              ; double -1.7213731432817144E-11
	.quad	0x3e9952f970ac9b03              ; double 3.7735877416110978E-7
	.quad	0xbe8d599e3b2187a2              ; double -2.1867506700122867E-7
	.quad	0x3e70b282393d4893              ; double 6.2202288040189267E-8
	.quad	0x3cc7c54ec550bd4b              ; double 6.5977038267330002E-16
	.quad	0xbe44985ee872fc56              ; double -9.5903864974256859E-9
	.quad	0x3e3663fd6d84752e              ; double 5.2132144922808074E-9
	.quad	0xbe180990f0dfb26a              ; double -1.3991589583935709E-9
	.quad	0x3cc36412c0552a81              ; double 5.3820589990605749E-16
	.quad	0x3deac79309fc7363              ; double 1.9484714275467745E-10
	.quad	0xbddbd671f048b194              ; double -1.0127287556389682E-10
	.quad	0x3dbcac1ee5de78aa              ; double 2.6077347197254926E-11
	.quad	0xbc5779b4a6572e09              ; double -5.0904186999932991E-18
	.quad	0xbd8da96613f7775a              ; double -3.3721464474854593E-12
	.quad	0xbf438dff1cc96982              ; double -5.9676129019274626E-4
	.quad	0xbf12e31f9b7913ea              ; double -7.2048954160200109E-5
	.quad	0x3f463969bb825829              ; double 6.782308837667328E-4
	.quad	0xbf44f9f2582dd0a5              ; double -6.401475260262758E-4
	.quad	0x3f322fb20c28e8a0              ; double 2.7750107634328704E-4
	.quad	0x3e886c71c8cebf16              ; double 1.8197008380465151E-7
	.quad	0xbf163a803aebc9b7              ; double -8.4795071170685031E-5
	.quad	0x3f100120036172b0              ; double 6.1051920825015314E-5
	.quad	0xbef618fcc48d37bc              ; double -2.1073920183404862E-5
	.quad	0xbe0e7018e8be3330              ; double -8.8585890141255993E-10
	.quad	0x3ed2fe63d892e1a9              ; double 4.5284535953805374E-6
	.quad	0xbec7d8d3a891d8ba              ; double -2.8427815022504407E-6
	.quad	0x3ead3850f27b27e8              ; double 8.7082341778646408E-7
	.quad	0x3d903901807110d2              ; double 3.6886101871706966E-12
	.quad	0xbe849865a9b6fd04              ; double -1.5344695190702061E-7
	.quad	0x3e77ca3da4d350ce              ; double 8.8624667787906948E-8
	.quad	0xbe5b0abf9d310d85              ; double -2.5184812301826817E-8
	.quad	0xbd0706d644652279              ; double -1.0225912098215092E-14
	.quad	0x3e30bcbd16605be3              ; double 3.8969470758154778E-9
	.quad	0xbe2244bad2fffd4f              ; double -2.1267304792235634E-9
	.quad	0x3e03b6549adcccb6              ; double 5.7370135528051383E-10
	.quad	0xbc0bdbb7a0bc6bce              ; double -1.887749850169741E-19
	.quad	0xbdd63f0cfd72ae16              ; double -8.0931538694657872E-11
	.quad	0x3dc74cd688c73fed              ; double 4.23827232834492E-11
	.quad	0xbda831b3a872b284              ; double -1.1002224534207727E-11
	.quad	0x3f55d4ae684527bf              ; double 0.0013324454494800656
	.quad	0xbf5f5dbcaf756cde              ; double -0.0019144384985654776
	.quad	0x3f522b37f1b46951              ; double 0.0011089369134596636
	.quad	0x3eb0a9ef61e90004              ; double 9.9324041226422995E-7
	.quad	0xbf40aba998a532bf              ; double -5.0874501293093194E-4
	.quad	0x3f3c01c0b52c3345              ; double 4.2735056665392886E-4
	.quad	0xbf2618e482f9d22a              ; double -1.68588537679108E-4
	.quad	0xbe41759e6f571329              ; double -8.1301893922785004E-9
	.quad	0x3f07bdf837b4e130              ; double 4.5284402370562144E-5
	.quad	0xbf00650f761692a2              ; double -3.1270536747817339E-5
	.quad	0x3ee5ea3af60786b1              ; double 1.0449868285303381E-5
	.quad	0x3dcaa0a6ef89a12a              ; double 4.8435226265680926E-11
	.quad	0xbec205588c7220b7              ; double -2.1482565873456259E-6
	.quad	0x3eb64d9971a80133              ; double 1.329369701097492E-6
	.quad	0xbe9b0abf52fc4d58              ; double -4.029569309210103E-7
	.quad	0xbd48b97eb7553f43              ; double -1.7567877666323291E-13
	.quad	0x3e72d454a640f7f8              ; double 7.0145043163668253E-8
	.quad	0xbe65b19dcac0a663              ; double -4.0407877349994832E-8
	.quad	0x3e48a3e9b486f0da              ; double 1.1474026743371962E-8
	.quad	0x3c524830817ba61f              ; double 3.9642746853563326E-18
	.quad	0xbe1e96b1d57d29c3              ; double -1.7804938269892715E-9
	.quad	0x3e10bf3a2f6afa8a              ; double 9.7480262548731649E-10
	.quad	0xbdf22546bbf739c6              ; double -2.6405338676507616E-10
	.quad	0x3c5ab9618d3701a6              ; double 5.7948751634037417E-18
	.quad	0x3dc4b273207b9023              ; double 3.7647749553543838E-11
	.quad	0x3f59e1dba8ec5904              ; double 0.001579727660730835
	.quad	0x3f254d241144693f              ; double 1.6251626278391583E-4
	.quad	0xbf60e7245b5e0240              ; double -0.0020633421035543276
	.quad	0x3f6185be08721041              ; double 0.0021389686185689098
	.quad	0xbf508fd64cc4d9d6              ; double -0.0010108559391263003
	.quad	0xbe9ac8f35a61360f              ; double -3.9912705529919201E-7
	.quad	0x3f37bf3a7a227118              ; double 3.6235025084764691E-4
	.quad	0xbf3271c35d1a742a              ; double -2.8143901463712157E-4
	.quad	0x3f1b648cb8b91d61              ; double 1.0449513336495887E-4
	.quad	0x3e223870b487d429              ; double 2.1211418491830298E-9
	.quad	0xbefb081c1069b36a              ; double -2.5779417251947842E-5
	.quad	0x3ef21f0d8e42b54d              ; double 1.7281818956040464E-5
	.quad	0xbed7a962022d07b2              ; double -5.6413773872904282E-6
	.quad	0xbda83e23f727e2fe              ; double -1.1024320105776174E-11
	.quad	0x3eb2d456933154b1              ; double 1.1223224418895176E-6
	.quad	0xbea70cb7c2ec0c52              ; double -6.8693396379526738E-7
	.quad	0x3e8bb865efbb7c49              ; double 2.0653236975414888E-7
	.quad	0x3d2a4c4ee6f7598a              ; double 4.6714772409838506E-14
	.quad	0xbe631e2f7c2057dd              ; double -3.5609886164949055E-8
	.quad	0x3e55fafc6207f6ce              ; double 2.0470855345905963E-8
	.quad	0xbe38f34113f0801a              ; double -5.8091738633283357E-9
	.quad	0xbca3353e1d7f8951              ; double -1.3328212875828689E-16
	.quad	0x3e0f0bacd0370f00              ; double 9.0354604391335134E-10
	.quad	0xbe010ac14ad52eba              ; double -4.9598782517330839E-10
	.quad	0x3de2876b3785de06              ; double 1.3481607129399748E-10
	.quad	0xbf70ae56a5daa127              ; double -0.0040725121195140162
	.quad	0x3f7a3a699f4a401b              ; double 0.0064033628338080696
	.quad	0xbf708d50006f5e0e              ; double -0.004041016108167662
	.quad	0xbec25187cdea1eeb              ; double -2.1837328028662332E-6
	.quad	0x3f61cf4d14eb1812              ; double 0.002174044180125464
	.quad	0xbf60237b58c76530              ; double -0.0019700440518418891
	.quad	0x3f4b647f0b161ed3              ; double 8.3595469747962459E-4
	.quad	0x3e54e11fb9ab4d6e              ; double 1.9445447567109655E-8
	.quad	0xbf30e5103ef55b59              ; double -2.5779387120421698E-4
	.quad	0x3f28eab17b1a5667              ; double 1.9009987368139304E-4
	.quad	0xbf11bf09035d225d              ; double -6.7696499937438964E-5
	.quad	0xbde3d8d849a65517              ; double -1.4440629666426571E-10
	.quad	0x3ef079cba3747641              ; double 1.5712512518742267E-5
	.quad	0xbee59bec2daecc91              ; double -1.0304008744776892E-5
	.quad	0x3ecbb865dacf43ba              ; double 3.3045177674013869E-6
	.quad	0x3d6c166cf2213dbe              ; double 7.9829760242325708E-13
	.quad	0xbea581f5664ec1e3              ; double -6.4097794149312999E-7
	.quad	0x3e9a1a0baff44abe              ; double 3.8894624761300054E-7
	.quad	0xbe7f3011553e9943              ; double -1.161834764494887E-7
	.quad	0xbce95f1e554e1fc0              ; double -2.816808630596451E-15
	.quad	0x3e555806ce2925dd              ; double 1.9878012911297094E-8
	.quad	0xbe487f75dac1bcf1              ; double -1.1407719956357511E-8
	.quad	0x3e2bcb20d29db62e              ; double 3.2355857064185554E-9
	.quad	0x3be8a6832e8ed281              ; double 4.1759468293455943E-20
	.quad	0xbe0153438ee8db49              ; double -5.0423112718105821E-10
	.quad	0xbf785c7ccbc5fc12              ; double -0.0059475779383993
	.quad	0xbf41b33b019b3e6f              ; double -5.4016476789260452E-4
	.quad	0x3f82010998f1553a              ; double 0.0087910413550767903
	.quad	0xbf84303ce949bb43              ; double -0.0098576315587856119
	.quad	0x3f748900f8e29435              ; double 0.0050134695031021541
	.quad	0x3eb57cc9e9a6596f              ; double 1.2807521786221875E-6
	.quad	0xbf60e596fb46b154              ; double -0.0020626019342754685
	.quad	0x3f5c0816b1314cf1              ; double 0.0017109128573523059
	.quad	0xbf462eb1c560282d              ; double -6.7695312714133803E-4
	.quad	0xbe3da3e6523aaa76              ; double -6.9011545676562137E-9
	.quad	0x3f28b6bb2cc02754              ; double 1.8855128143995903E-4
	.quad	0xbf218eb043924ff5              ; double -1.339521566349197E-4
	.quad	0x3f084156dd77628d              ; double 4.6263183033528039E-5
	.quad	0x3dc602512b27e94c              ; double 4.0034230613321352E-11
	.quad	0xbee581f634675d03              ; double -1.0255652921494033E-5
	.quad	0x3edbbbac7672b130              ; double 6.6120863727976508E-6
	.quad	0xbec18b098b674d56              ; double -2.0913022027253007E-6
	.quad	0xbd4d7cac376be54f              ; double -2.0951775649603836E-13
	.quad	0x3e9aae08a5f2b88d              ; double 3.9756029041993248E-7
	.quad	0xbe9013a5585a3e12              ; double -2.3956211978815888E-7
	.quad	0x3e731ba687133284              ; double 7.1182883382145858E-8
	.quad	0x3cd01431e3f933d6              ; double 8.9255748730534553E-16
	.quad	0xbe49fce55cf292a0              ; double -1.2101547235064675E-8
	.quad	0x3e3dc92e5d9a0e3b              ; double 6.9350618248334389E-9
	.quad	0xbe20e39a0cc2ec99              ; double -1.9661464453856102E-9
	.quad	0x3f91d1d650ed0c93              ; double 0.017402027787522711
	.quad	0xbf9e3c8e8bed86bc              ; double -0.029527880945699123
	.quad	0x3f9486e7effed53e              ; double 0.020045875571402798
	.quad	0x3edd7b4780bea3b5              ; double 7.0289515966903405E-6
	.quad	0xbf895848e63486fe              ; double -0.012375421071343148
	.quad	0x3f888706e55cc0cd              ; double 0.011976293444235253
	.quad	0xbf762eac168d2782              ; double -0.0054156038466518525
	.quad	0xbe70fd512bea82b1              ; double -6.3290893396418622E-8
	.quad	0x3f5ee468e4a5f58f              ; double 0.0018855118129005065
	.quad	0xbf582431e1b8c909              ; double -0.001473473274825001
	.quad	0x3f423100f1a3a0db              ; double 5.5515810097708383E-4
	.quad	0x3e0201c0ffe9ba4d              ; double 5.2406834412550662E-10
	.quad	0xbf22d1b761a9f916              ; double -1.4357913535784837E-4
	.quad	0x3f19fff1a4a27ea0              ; double 9.9181293224943293E-5
	.quad	0xbf018b09870ea0cd              ; double -3.3460834749478309E-5
	.quad	0xbd8f737fafb85756              ; double -3.5755837291098991E-12
	.quad	0x3ede03c9b879aefc              ; double 7.1560851960630075E-6
	.quad	0xbed3175457fe1a62              ; double -4.5516802628155527E-6
	.quad	0x3eb7e29028144e09              ; double 1.4236576649271474E-6
	.quad	0x3d152ba383fd9af1              ; double 1.8803149082089665E-14
	.quad	0xbe91ddddafb245ed              ; double -2.6623403898929208E-7
	.quad	0x3e856899531b5ee8              ; double 1.5950642189595716E-7
	.quad	0xbe6955671300d859              ; double -4.7187514673841103E-8
	.quad	0xbc92c41cf2b85954              ; double -6.5107872958755182E-17
	.quad	0x3e4122c811c56ff1              ; double 7.979509102674624E-9
	.quad	0x3f9ef9a05c03d2e9              ; double 0.030249124160905892
	.quad	0x3f645497f334cd1d              ; double 0.0024817436002649977
	.quad	0xbfa9919f49d95e46              ; double -0.049939134373457025
	.quad	0x3faead435e7cd1d3              ; double 0.059915643009307872
	.quad	0xbfa0a1a394a2e4b2              ; double -0.03248320760162339
	.quad	0xbed7ff321b78f2fd              ; double -5.7212968652103442E-6
	.quad	0x3f8ee5043853b987              ; double 0.015085251778569354
	.quad	0xbf8b28c0c73a65de              ; double -0.013261324005088445
	.quad	0x3f76bd327be56cf6              ; double 0.0055515262632426145
	.quad	0x3e603f5710abeebc              ; double 3.0263182257030013E-8
	.quad	0xbf5c3a98ac5d2c9a              ; double -0.0017229548406756724
	.quad	0x3f551ff48c35df65              ; double 0.0012893570099929638
	.quad	0xbf3eb34f5f300209              ; double -4.6845138348319875E-4
	.quad	0xbde927a79848909f              ; double -1.830259937893045E-10
	.quad	0x3f1e03ca2f459ca1              ; double 1.1449739014822654E-4
	.quad	0xbf1448c9a0ce370e              ; double -7.7378565221244473E-5
	.quad	0x3efadee20eccfadb              ; double 2.5625836246985202E-5
	.quad	0x3d72f0a65a7d9ac5              ; double 1.0766165333192815E-12
	.quad	0xbed65555261131ce              ; double -5.3246809282422619E-6
	.quad	0x3ecc19493d88fea7              ; double 3.3496348630644639E-6
	.quad	0xbeb16ab6da432b11              ; double -1.0381253128684019E-6
	.quad	0xbcf942a2036ee783              ; double -5.6089099206211277E-15
	.quad	0x3e89b42c1c8dde07              ; double 1.9150821930676592E-7
	.quad	0xbe7ea6a427a1383d              ; double -1.1418365800203487E-7
	.quad	0x3e62116dd1a9ac83              ; double 3.3654425209171787E-8
	.quad	0xbfb95b685f50d178              ; double -0.099051020880159046
	.quad	0x3fc6fb2ba98c8bc4              ; double 0.17954011706123485
	.quad	0xbfc0a06f29064247              ; double -0.12989606383463778
	.quad	0xbf008105d4f69d94              ; double -3.1478872752284355E-5
	.quad	0x3fb72bb47a744982              ; double 0.090510635276848133
	.quad	0xbfb7c3a13cf8dfb4              ; double -0.092828824411184396
	.quad	0x3fa6bd2f38631744              ; double 0.04441211283987781
	.quad	0x3e92a46fbbd016c8              ; double 2.7779236316835886E-7
	.quad	0xbf91a49f1cad78b9              ; double -0.017229543805449696
	.quad	0x3f8d0beffa0aa57b              ; double 0.014182925050891573
	.quad	0xbf77067b69432cef              ; double -0.0056214161633747336
	.quad	0xbe2494d3b2241202              ; double -2.3959850918638099E-9
	.quad	0x3f5a4350e25cd11c              ; double 0.0016029634366079909
	.quad	0xbf53043d03c40f6a              ; double -0.0011606784674435774
	.quad	0x3f3adee20c4df7f1              ; double 4.1001337768153875E-4
	.quad	0x3db431836a382e07              ; double 1.8365800754090661E-11
	.quad	0xbf191fffca306bb5              ; double -9.5844256563655899E-5
	.quad	0x3f10af037c4544c3              ; double 6.3643062337764711E-5
	.quad	0xbef5c564909bc462              ; double -2.0762506244890648E-5
	.quad	0xbd409d913b45ff81              ; double -1.1806020912804483E-13
	.quad	0x3ed1abde539275a7              ; double 4.2131808239120649E-6
	.quad	0xbec607c5fc6f6d3d              ; double -2.6262241337012469E-6
	.quad	0x3eab1a24ba744e1c              ; double 8.0770620494930664E-7
	.quad	0x3cc5a9a2f5f87fc0              ; double 6.0125912123632726E-16
	.quad	0xbe83c51966be9669              ; double -1.472973737401884E-7
	.quad	0xbfc997cfc43300a2              ; double -0.19994542198219728
	.quad	0xbf8ed5bd48e4f389              ; double -0.015056113040026424
	.quad	0x3fd75748b67ecf48              ; double 0.36470239469348487
	.quad	0xbfddb7f120e7ea15              ; double -0.46435192311733547
	.quad	0x3fd10cd9ca6272d6              ; double 0.26640934719197895
	.quad	0x3f01d889ea4a1955              ; double 3.4038266027147192E-5
	.quad	0xbfc1a4da23c48dc0              ; double -0.13784338709329624
	.quad	0x3fc056ba4744ccfb              ; double 0.1276467178337056
	.quad	0xbfacc80f182c4e01              ; double -0.056213828755200985
	.quad	0xbe8787c7d3bab1e9              ; double -1.7531508854830111E-7
	.quad	0x3f93b27ecaac87da              ; double 0.019235592956768112
	.quad	0xbf8ee6e34f7ffc6f              ; double -0.015088821281095314
	.quad	0x3f7783054c284396              ; double 0.0057401854451350123
	.quad	0x3e123fc5f86c0936              ; double 1.0622382710310225E-9
	.quad	0xbf591ffff755a2c9              ; double -0.0015335082692563998
	.quad	0x3f51b9f3b54bf1cd              ; double 0.0010819320643228215
	.quad	0xbf387e11172c9899              ; double -3.737251019394566E-4
	.quad	0xbd9d1a2e9ec22641              ; double -6.6170909729031987E-12
	.quad	0x3f1616d5ec6f637f              ; double 8.4263617380909623E-5
	.quad	0xbf0cea33db7ebcae              ; double -5.5150706827483478E-5
	.quad	0x3ef2a1f93f1f53aa              ; double 1.776953644834807E-5
	.quad	0x3d25dbb18655a9c8              ; double 3.882792321020553E-14
	.quad	0xbecda7a61ad67669              ; double -3.5351369748876799E-6
	.quad	0x3ec257a6d57a6a06              ; double 2.1865832130045269E-6
	.quad	0xbea66b2e18d848b8              ; double -6.6812849447625595E-7
	.quad	0x3fe72e2bba1d9e04              ; double 0.72438608504029434
	.quad	0xbff644d13921c967              ; double -1.3918010932653375
	.quad	0x3ff10befe6e8d273              ; double 1.0654143352413967
	.quad	0x3f28976514ed9543              ; double 1.8761738689502581E-4
	.quad	0xbfea773c127046e4              ; double -0.82705501176152695
	.quad	0x3fec97c057cf058f              ; double 0.89352433347828419
	.quad	0xbfdcc80c9e91f59e              ; double -0.44971003995291337
	.quad	0xbebb0613881c041d              ; double -1.6107401567546651E-6
	.quad	0x3fc89f1e41653f05              ; double 0.19235590165271091
	.quad	0xbfc53ebc2bd4a5fe              ; double -0.1659770216004261
	.quad	0x3fb1a243edb1b5e9              ; double 0.068882222681814334
	.quad	0x3e4ddf275f42d73e              ; double 1.3910091724608687E-8
	.quad	0xbf95fbfff5c36b90              ; double -0.021469115615086631
	.quad	0x3f909e5478d507d5              ; double 0.016228980898865892
	.quad	0xbf787e11163a4d10              ; double -0.005979601617258426
	.quad	0xbddf06d9aae91936              ; double -1.1287469112826745E-10
	.quad	0x3f58d9b0a9bf8951              ; double 0.0015167451119784856
	.quad	0xbf512b0eca39706b              ; double -0.00104786342935539
	.quad	0x3f374a778ed1da06              ; double 3.5539072889126421E-4
	.quad	0x3d6cbf45664ed58b              ; double 8.170432211180152E-13
	.quad	0xbf146342326dba30              ; double -7.7773013442452394E-5
	.quad	0x3f0a5dffd2db3feb              ; double 5.0291413897007722E-5
	.quad	0xbef0d06292a04737              ; double -1.6035083867000518E-5
	.quad	0x3d0c1417e70f541b              ; double 1.2469354315487606E-14
	.quad	0x3eca5076da7b0108              ; double 3.1369106244517616E-6
	.quad	0x3ffaab9a101bb71a              ; double 1.6668949727276812
	.quad	0x3fbdd5fa0e771b94              ; double 0.11654627659946321
	.quad	0xc00aa17682be467c              ; double -3.3288393225018904
	.quad	0x4011e07e7f446f75              ; double 4.4692325482864037
	.quad	0xc005950812bad9bf              ; double -2.6977693045875806
	.quad	0xbf310b3257317fb1              ; double -2.6006678598910609E-4
	.quad	0x3ff89f57741b2958              ; double 1.5389017615694538
	.quad	0xbff7e696e1cfec61              ; double -1.4937962361134611
	.quad	0x3fe60acf7fbade6a              ; double 0.6888196463323315
	.quad	0x3eb5f0bc5a443c00              ; double 1.3077482004552384E-6
	.quad	0xbfd07d0100542640              ; double -0.25762963325596289
	.quad	0x3fcb01495866b19f              ; double 0.21097676102125448
	.quad	0xbfb56e4eb61b59c3              ; double -0.08371440835921988
	.quad	0xbe40bbb88b9466e1              ; double -7.7920428881354755E-9
	.quad	0x3f98d9b0bf9f081e              ; double 0.024267923064833601
	.quad	0xbf923dbfb77934eb              ; double -0.017813678334552312
	.quad	0x3f7a33c67b186dc8              ; double 0.0063970330388900057
	.quad	0x3dcb2cc483e0a3e5              ; double 4.9430807090480523E-11
	.quad	0xbf597c12c0f590c5              ; double -0.0015554602758465635
	.quad	0x3f514dafe26aa905              ; double 0.0010561196919903215
	.quad	0xbf371e8789184a90              ; double -3.5277184460472902E-4
	.quad	0x3d3a2d8643f4cecc              ; double 9.300233464502246E-14
	.quad	0x3f13bc592408f7d0              ; double 7.5285855026557174E-5
	.quad	0xbf09437c115cc480              ; double -4.8186515569156353E-5
	.quad	0x3eefef14428cf51e              ; double 1.5227271505597605E-5
	.quad	0xc01a79ae8aaafd02              ; double -6.6188298861372932
	.quad	0x402acbc4bfe43e00              ; double 13.397985455142589
	.quad	0xc0259425c342f48f              ; double -10.789350606845145
	.quad	0xbf5783c598bad82d              ; double -0.0014352254537875018
	.quad	0x4022777c33a9e5be              ; double 9.2333694596189808
	.quad	0xc024e9c14a89b561              ; double -10.456552819547769
	.quad	0x40160ace4d316e22              ; double 5.5105526029033474
	.quad	0x3ee93792683ce6df              ; double 1.2024439690716742E-5
	.quad	0xc0049c412368986f              ; double -2.5762961164755818
	.quad	0x400290e25fcc2f2f              ; double 2.3207442745387179
	.quad	0xbff012bb030da5a0              ; double -1.0045728797216285
	.quad	0xbe7b66c50603144a              ; double -1.0207833290021913E-7
	.quad	0x3fd5be7aa66267cb              ; double 0.33975092171169469
	.quad	0xbfd119e3bb753f97              ; double -0.26720517450757469
	.quad	0x3fba33c67aa334e1              ; double 0.10235252851562705
	.quad	0x3e0cf9b8b6c4bf11              ; double 8.4329730484871628E-10
	.quad	0xbf9cab9518f65fc2              ; double -0.027998284958442594
	.quad	0x3f948c40dcd22bf3              ; double 0.020066274144976814
	.quad	0xbf7ce6296b540e4a              ; double -0.0070554368915086239
	.quad	0x3d8110fee1c91478              ; double 1.9402238183698188E-12
	.quad	0x3f5b22fa918990d6              ; double 0.0016562888105449611
	.quad	0xbf5228812c7988e6              ; double -0.0011082898580743682
	.quad	0x3f37f34f31e8c834              ; double 3.6545451613101691E-4
	.quad	0xbdcc326e272abdba              ; double -5.1290032026971791E-11
	.quad	0xbf140318feb8a93e              ; double -7.6340103696869035E-5
	.quad	0xc0311cda4df23f8f              ; double -17.112706061976095
	.quad	0xbff1eed0a9756022              ; double -1.1208044642899115
	.quad	0x404290e447565b8b              ; double 37.131966511885445
	.quad	0xc04a262dbeb59bed              ; double -52.29827102534896
	.quad	0x4040877fddff7151              ; double 33.058589696624615
	.quad	0x3f644f1cbaa6692d              ; double 0.0024791298976200222
	.quad	0xc0349c638d29d8b8              ; double -20.610894034115262
	.quad	0x4034e3009704f557              ; double 20.886727751455819
	.quad	0xc0241766824d1546              ; double -10.045703956517752
	.quad	0xbee9aaa596c95635              ; double -1.2238783449063012E-5
	.quad	0x40104edc9ba085fd              ; double 4.0770134274221137
	.quad	0xc00bca121cae7f61              ; double -3.4736673584701951
	.quad	0x3ff6ed4d8666bb37              ; double 1.4329352617312006
	.quad	0x3e7327d0e3f45c35              ; double 7.1359914411879714E-8
	.quad	0xbfdcab95261f4c56              ; double -0.44797257159115611
	.quad	0x3fd5d504eafd4576              ; double 0.3411266608064446
	.quad	0xbfc041774ab1cf11              ; double -0.12699786326594922
	.quad	0xbdf3e595b39c15a7              ; double -2.8953677269081527E-10
	.quad	0x3fa0f5dc9b8a1b31              ; double 0.033125776278259862
	.quad	0xbf97d5298a65ffac              ; double -0.023274087021036102
	.quad	0x3f80774672284d2c              ; double 0.0080399993503648889
	.quad	0xbe143c0ac88249cd              ; double -1.177805216235265E-9
	.quad	0xbf5e04a57e2fe4f3              ; double -0.0018321624891071669
	.quad	0x3f53d694faf27294              ; double 0.0012108282933588664
	.quad	0xbf39dfa290a5dfd6              ; double -3.947994124682252E-4
	.quad	0x405278fb311f1460              ; double 73.89033153567425
	.quad	0xc06399a52c414c0d              ; double -156.80141270402274
	.quad	0x406086f7d7d0b401              ; double 132.21775427591641
	.quad	0x3f8c0b02d3029674              ; double 0.013692876877324546
	.quad	0xc05eea8ed98bc840              ; double -123.66496885920151
	.quad	0x4062469edffa7c58              ; double 146.20689391062729
	.quad	0xc0541765ca0e8768              ; double -80.36558772486535
	.quad	0xbf1d845bb29bdf67              ; double -1.1259851148881298E-4
	.quad	0x40446293b11a1841              ; double 40.770132196179937
	.quad	0xc0431aec6beb0621              ; double -38.210340013273033
	.quad	0x403131fa217aa43e              ; double 17.195222942773619
	.quad	0x3eaf6148205f94ff              ; double 9.3519707955168352E-7
	.quad	0xc01916228095cabe              ; double -6.2716159907747038
	.quad	0x401477b49bf91088              ; double 5.1168999071852639
	.quad	0xc00041774a8e94a0              ; double -2.0319658112299095
	.quad	0xbe3543603c3db77e              ; double -4.9507215582761543E-9
	.quad	0x3fe314982ef2633d              ; double 0.596263972943326
	.quad	0xbfdc4d2154519e31              ; double -0.44220765337238094
	.quad	0x3fc495180eaf4767              ; double 0.16079998700166273
	.quad	0xbe5a8ec579502d77              ; double -2.4733786203223403E-8
	.quad	0xbfa4a331c6c018a9              ; double -0.040307574759979765
	.quad	0x3f9c847628bbd500              ; double 0.02784905074709787
	.quad	0xbf8367b9ec7c1fdc              ; double -0.0094751858992054225
	.quad	0x3edaed56c9758d3d              ; double 6.4199222359091319E-6
	.quad	0x3f61687c64ad326f              ; double 0.002125018077469946
	.quad	0x406a85634b8ba3fd              ; double 212.16837098382521
	;; [unrolled: 1-line block ×3, first 2 shown]
	.quad	0xc07f0fb9cab41690              ; double -496.9828593287175
	.quad	0x4086d9ba4564ae7d              ; double 731.215952669692
	.quad	0xc07e2236233f801a              ; double -482.13821720890849
	.quad	0xbf9d8244d2c96715              ; double -0.028817248692894887
	.quad	0x407462acdd1575ec              ; double 326.16720302947101
	.quad	0xc0757e4b60bc3e58              ; double -343.89340280087117
	.quad	0x40657e76482a6b51              ; double 171.95193870816232
	.quad	0x3f226665aa2d3d74              ; double 1.4038077378096157E-4
	.quad	0xc052d09a549f7d79              ; double -75.2594195897599
	.quad	0x4050a142c323ba44              ; double 66.519699845209345
	.quad	0xc03c7290a77aa105              ; double -28.447519748152462
	.quad	0xbea98c1ee94c0d42              ; double -7.6137026158753915E-7
	.quad	0x4023149833c28106              ; double 9.5402237105304373
	.quad	0xc01e11f369db732d              ; double -7.5175301113311379
	.quad	0x400727bb0f4b0bff              ; double 2.894399756887196
	.quad	0xbe9f47ea0413bd03              ; double -4.66121949995382E-7
	.quad	0xbfe9cbfe38dc7845              ; double -0.80615149598794089
	.quad	0x3fe2b6ed8abda2e3              ; double 0.58483006570631024
	.quad	0xbfcaae9fa50d9b0e              ; double -0.20845408972964957
	.quad	0x3f235a9630c9aff6              ; double 1.4765818959305816E-4
	.quad	0x3faa1cba970da277              ; double 0.051000433863753018
	.quad	0xbfa0ee0f4f19f2c4              ; double -0.033066252141883662
	.quad	0x3f8ef19b3f907c55              ; double 0.015109265210467774
	.quad	0xc08eecc57d9b7a22              ; double -989.59643098322363
	;; [unrolled: 2-line block ×3, first 2 shown]
	.quad	0xbfc4628bbdff74b9              ; double -0.15925738122215252
	.quad	0x409e93fe8f94aa2a              ; double 1956.9985945919857
	.quad	0xc0a2ce80c187647b              ; double -2407.2514765081555
	.quad	0x40957e75c17e78cb              ; double 1375.6149959336497
	.quad	0x3f552b5961d37922              ; double 0.0012920735237496668
	.quad	0xc08784c0dd097f37              ; double -752.59417159480552
	.quad	0x4086ddbbc69d7a8d              ; double 731.71668742208715
	.quad	0xc07555ec7b2e5ff5              ; double -341.37023466220063
	.quad	0xbee4f10d857992ab              ; double -9.985739026060805E-6
	.quad	0x4060b2052d01f9ee              ; double 133.56313181291574
	.quad	0xc05c30d433000f3b              ; double -112.76295161252794
	.quad	0x404727bb0f314c0d              ; double 46.310396098204457
	.quad	0xbee09e065b39c078              ; double -7.9237387133614757E-6
	.quad	0xc02d057dfff1769d              ; double -14.510726927018647
	.quad	0x4026393a14be7336              ; double 11.111771248100563
	.quad	0xc010ad23c7275f11              ; double -4.1690817945270888
	.quad	0x3f6966e51fd5f699              ; double 0.0031008219800117806
	.quad	0x3ff1f3c047d911f2              ; double 1.1220095449981469
	.quad	0xbfe8563601b50cc3              ; double -0.76052379926149916
	.quad	0x3fd735346fac42ee              ; double 0.36262236505085255
	.quad	0x3fcc603b728f44d1              ; double 0.2216867741940747
	.quad	0x3fdf284ba04b635e              ; double 0.48683443692930506
	.size	__const._ZN12_GLOBAL__N_130_igam_helper_asymptotic_seriesIdEET_S1_S1_b.d, 5000

	.type	__const._ZN12_GLOBAL__N_123lanczos_sum_expg_scaledIdEET_S1_.lanczos_sum_expg_scaled_num,@object ; @__const._ZN12_GLOBAL__N_123lanczos_sum_expg_scaledIdEET_S1_.lanczos_sum_expg_scaled_num
	.p2align	4, 0x0
__const._ZN12_GLOBAL__N_123lanczos_sum_expg_scaledIdEET_S1_.lanczos_sum_expg_scaled_num:
	.quad	0x3f78d44d6a172145              ; double 0.0060618423462489067
	.quad	0x3fe0509f77f7c44b              ; double 0.50984166556566757
	;; [unrolled: 1-line block ×13, first 2 shown]
	.size	__const._ZN12_GLOBAL__N_123lanczos_sum_expg_scaledIdEET_S1_.lanczos_sum_expg_scaled_num, 104

	.type	__const._ZN12_GLOBAL__N_123lanczos_sum_expg_scaledIdEET_S1_.lanczos_sum_expg_scaled_denom,@object ; @__const._ZN12_GLOBAL__N_123lanczos_sum_expg_scaledIdEET_S1_.lanczos_sum_expg_scaled_denom
	.p2align	4, 0x0
__const._ZN12_GLOBAL__N_123lanczos_sum_expg_scaledIdEET_S1_.lanczos_sum_expg_scaled_denom:
	.quad	0x3ff0000000000000              ; double 1
	.quad	0x4050800000000000              ; double 66
	;; [unrolled: 1-line block ×13, first 2 shown]
	.size	__const._ZN12_GLOBAL__N_123lanczos_sum_expg_scaledIdEET_S1_.lanczos_sum_expg_scaled_denom, 104

	.type	__const._ZN12_GLOBAL__N_130_igam_helper_asymptotic_seriesIfEET_S1_S1_b.d,@object ; @__const._ZN12_GLOBAL__N_130_igam_helper_asymptotic_seriesIfEET_S1_S1_b.d
	.p2align	4, 0x0
__const._ZN12_GLOBAL__N_130_igam_helper_asymptotic_seriesIfEET_S1_S1_b.d:
	.long	0xbeaaaaab                      ; float -0.333333343
	.long	0x3daaaaab                      ; float 0.0833333358
	.long	0xbc72b9d6                      ; float -0.0148148146
	.long	0x3a97b426                      ; float 0.00115740742
	.long	0x39b8ef1d                      ; float 3.52733681E-4
	.long	0xb93b7038                      ; float -1.78755145E-4
	.long	0x382462c5                      ; float 3.91926333E-5
	.long	0xb612a9b8                      ; float -2.18544847E-6
	.long	0xb5f8d918                      ; float -1.85406225E-6
	.long	0x355eb691                      ; float 8.29671137E-7
	.long	0xb43dafcd                      ; float -1.76659526E-7
	.long	0x31e67ae7                      ; float 6.70785338E-9
	.long	0x32304beb                      ; float 1.02618101E-8
	.long	0xb19690cc                      ; float -4.38203607E-9
	.long	0x307b7337                      ; float 9.14769981E-10
	.long	0xade06cdb                      ; float -2.55141932E-11
	.long	0xae803854                      ; float -5.83077198E-11
	.long	0x2dd64a3b                      ; float 2.43619482E-11
	.long	0xacb0e538                      ; float -5.02766925E-12
	.long	0x29f7cc00                      ; float 1.10043918E-13
	.long	0x2abdd03b                      ; float 3.37176332E-13
	.long	0xaa1cc4df                      ; float -1.39238867E-13
	.long	0x2900827e                      ; float 2.85348934E-14
	.long	0xa6141ff4                      ; float -5.13911194E-16
	.long	0xa70e548a                      ; float -1.97522874E-15
	.long	0xbaf2b9d6                      ; float -0.00185185182
	.long	0xbb638e39                      ; float -0.00347222225
	.long	0x3b2d602b                      ; float 0.00264550257
	.long	0xba81ca7b                      ; float -9.90226282E-4
	.long	0x3957c1a2                      ; float 2.05761316E-4
	.long	0xb4d7c1a2                      ; float -4.01877571E-7
	.long	0xb797d257                      ; float -1.80985498E-5
	.long	0x370054e5                      ; float 7.64916058E-6
	.long	0xb5d85efe                      ; float -1.61209005E-6
	.long	0x319fac92                      ; float 4.64712802E-9
	.long	0x34140796                      ; float 1.37863339E-7
	.long	0xb37711e8                      ; float -5.75254546E-8
	.long	0x324d53d2                      ; float 1.1951629E-8
	.long	0xad9a4fde                      ; float -1.75432412E-11
	.long	0xb08ab276                      ; float -1.00915432E-9
	.long	0x2fe4da1a                      ; float 4.16279289E-10
	.long	0xaebc5283                      ; float -8.56390722E-11
	.long	0x29889f1d                      ; float 6.06721501E-14
	.long	0x2cfc020e                      ; float 7.16249889E-12
	.long	0xac4e6798                      ; float -2.93318668E-12
	.long	0x2b28cac0                      ; float 5.99669619E-13
	.long	0xa579dbd3                      ; float -2.16717866E-16
	.long	0xa960345a                      ; float -4.97833992E-14
	.long	0x28b6c54f                      ; float 2.0291628E-14
	.long	0xa794d81c                      ; float -4.13125582E-15
	.long	0x3b877322                      ; float 0.00413359795
	.long	0xbb2fb934                      ; float -0.00268132705
	.long	0x3a4a4588                      ; float 7.71604944E-4
	.long	0x3606d905                      ; float 2.0093878E-6
	.long	0xb8e129f8                      ; float -1.07366533E-4
	.long	0x385dfa1f                      ; float 5.29234494E-5
	.long	0xb7561683                      ; float -1.27606354E-5
	.long	0x33130aa5                      ; float 3.42357858E-8
	.long	0x35b82c49                      ; float 1.3721957E-6
	.long	0xb5291658                      ; float -6.29899205E-7
	.long	0x34195641                      ; float 1.42806144E-7
	.long	0xaf6125e8                      ; float -2.04770978E-10
	.long	0xb2721b9a                      ; float -1.40925298E-8
	.long	0x31d606a3                      ; float 6.22897422E-9
	.long	0xb0bbe2c1                      ; float -1.36704881E-9
	.long	0x2b84b13c                      ; float 9.42835653E-13
	.long	0x2f0d882b                      ; float 1.28722519E-10
	.long	0xae74bbc7                      ; float -5.56459566E-11
	.long	0x2d52aed2                      ; float 1.19759359E-11
	.long	0xa796340a                      ; float -4.16897843E-15
	.long	0xab99f9d0                      ; float -1.09406408E-12
	.long	0x2b033afb                      ; float 4.6622401E-13
	.long	0xa9df0b0c                      ; float -9.9051057E-14
	.long	0x23ae9da1                      ; float 1.89318762E-17
	.long	0x281f97f3                      ; float 8.85922178E-15
	.long	0x3a2a3eca                      ; float 6.49434165E-4
	.long	0x39709e72                      ; float 2.29472091E-4
	.long	0xb9f5fd8c                      ; float -4.69189486E-4
	.long	0x398c5cdb                      ; float 2.67720636E-4
	.long	0xb89e951d                      ; float -7.56180161E-5
	.long	0xb480a951                      ; float -2.39650518E-7
	.long	0x3739efa3                      ; float 1.10826541E-5
	.long	0xb6be6b79                      ; float -5.67495272E-6
	.long	0x35bf0101                      ; float 1.42309011E-6
	.long	0xadf51193                      ; float -2.78610798E-11
	.long	0xb43616e8                      ; float -1.69584041E-7
	.long	0x33adef47                      ; float 8.09946456E-8
	.long	0xb2a429e7                      ; float -1.91111678E-8
	.long	0x2c2861f8                      ; float 2.39286195E-12
	.long	0x310db352                      ; float 2.06201323E-9
	.long	0xb082062a                      ; float -9.46049683E-10
	.long	0x2f6cd8aa                      ; float 2.15410495E-10
	.long	0xa87a302c                      ; float -1.38882334E-14
	.long	0xadc0969f                      ; float -2.1894762E-11
	.long	0x2d2c3ebd                      ; float 9.79099874E-12
	.long	0xac19474f                      ; float -2.17821919E-12
	.long	0x248f2a67                      ; float 6.20881966E-17
	.long	0x2a6f79fa                      ; float 2.12697834E-13
	.long	0xa9d26c77                      ; float -9.34468905E-14
	.long	0x28b83af4                      ; float 2.04536705E-14
	.long	0xba61f058                      ; float -8.61888286E-4
	.long	0x3a4d87fb                      ; float 7.84039206E-4
	.long	0xb99cccd4                      ; float -2.99072475E-4
	.long	0xb5c47957                      ; float -1.46384525E-6
	.long	0x388b4846                      ; float 6.64149848E-5
	.long	0xb82671ff                      ; float -3.96836513E-5
	.long	0x373eda60                      ; float 1.13757269E-5
	.long	0x2f89d9e3                      ; float 2.50749727E-10
	.long	0xb5e38e04                      ; float -1.69541499E-6
	.long	0x356f1bed                      ; float 8.90750754E-7
	.long	0xb47633b6                      ; float -2.29293477E-7
	.long	0x2e020a8b                      ; float 2.95679418E-11
	.long	0x32f7f4a2                      ; float 2.88658306E-8
	.long	0xb273c722                      ; float -1.41897392E-8
	.long	0x316cd4f9                      ; float 3.44635809E-9
	.long	0xaa819dd4                      ; float -2.30245185E-13
	.long	0xafd8a791                      ; float -3.94092342E-10
	.long	0x2f4c88ee                      ; float 1.86023391E-10
	.long	0xae3f97d6                      ; float -4.35632294E-11
	.long	0x26b84405                      ; float 1.27860015E-15
	.long	0x2ca4a32a                      ; float 4.6792752E-12
	.long	0xac173d62                      ; float -2.14924649E-12
	.long	0x2b0a2bbf                      ; float 4.90881587E-13
	.long	0xa2e9da4e                      ; float -6.33859156E-18
	.long	0xa96338b8                      ; float -5.0453321E-14
	.long	0xb9b09456                      ; float -3.36798548E-4
	.long	0xb8923b02                      ; float -6.97281357E-5
	.long	0x39915f44                      ; float 2.77275336E-4
	.long	0xb9510216                      ; float -1.99325703E-4
	.long	0x388e8f4e                      ; float 6.79778022E-5
	.long	0x34185ee8                      ; float 1.41906298E-7
	.long	0xb76411fe                      ; float -1.35940481E-5
	.long	0x37068711                      ; float 8.01847E-6
	.long	0xb619c759                      ; float -2.29148122E-6
	.long	0xafb2ce7f                      ; float -3.25247357E-10
	.long	0x34ba0a82                      ; float 3.46528452E-7
	.long	0xb446133e                      ; float -1.84471872E-7
	.long	0x334f3181                      ; float 4.82409668E-8
	.long	0xa8a208e3                      ; float -1.7989467E-14
	.long	0xb1d8ade0                      ; float -6.30619468E-9
	.long	0x315951d7                      ; float 3.16241766E-9
	.long	0xb0578799                      ; float -7.84092402E-10
	.long	0x27bb1603                      ; float 5.19267916E-15
	.long	0x2ecdce2c                      ; float 9.35894417E-11
	.long	0xae4680a9                      ; float -4.51342609E-11
	.long	0x2d3dfaf5                      ; float 1.07991298E-11
	.long	0xa428dfed                      ; float -3.66188655E-17
	.long	0xabaa6b58                      ; float -1.21090204E-12
	.long	0x2b1fe612                      ; float 5.68074342E-13
	.long	0xaa152d8b                      ; float -1.32496593E-13
	.long	0x3a0b4779                      ; float 5.31307945E-4
	.long	0xba1b3b9e                      ; float -5.92166441E-4
	.long	0x398e04a8                      ; float 2.70878198E-4
	.long	0x3554208f                      ; float 7.90235333E-7
	.long	0xb8ab004a                      ; float -8.15396924E-5
	.long	0x386b5efc                      ; float 5.61168272E-5
	.long	0xb799c17a                      ; float -1.83291158E-5
	.long	0xb153a122                      ; float -3.07961345E-9
	.long	0x36688aea                      ; float 3.46515526E-6
	.long	0xb6082c3c                      ; float -2.0291327E-6
	.long	0x351b6448                      ; float 5.78879281E-7
	.long	0x2a83a738                      ; float 2.33863059E-13
	.long	0xb3bd97bf                      ; float -8.82860078E-8
	.long	0x334bbc63                      ; float 4.74359574E-8
	.long	0xb2578752                      ; float -1.25454154E-8
	.long	0x29c2c5d5                      ; float 8.64964905E-14
	.long	0x30e787cd                      ; float 1.6846059E-9
	.long	0xb06bb8ab                      ; float -8.57549309E-10
	.long	0x2f6d7999                      ; float 2.15982246E-10
	.long	0xa65b6fba                      ; float -7.61323059E-16
	.long	0xadea538c                      ; float -2.66398223E-11
	.long	0x2d65daaf                      ; float 1.30657004E-11
	.long	0xac5fc448                      ; float -3.1799164E-12
	.long	0x22adcde9                      ; float 4.71097598E-18
	.long	0x2acfbe8a                      ; float 3.69027996E-13
	.long	0x39b48c3d                      ; float 3.44367611E-4
	.long	0x3858ebaf                      ; float 5.17179105E-5
	.long	0xb9af99c3                      ; float -3.34931625E-4
	.long	0x3993775b                      ; float 2.81269517E-4
	.long	0xb8e63214                      ; float -1.09765824E-4
	.long	0xb408ce38                      ; float -1.2741009E-7
	.long	0x37e8bcc2                      ; float 2.77444524E-5
	.long	0xb799348b                      ; float -1.82634885E-5
	.long	0x36c233ec                      ; float 5.78769505E-6
	.long	0x3007c16d                      ; float 4.93875885E-10
	.long	0xb58e3567                      ; float -1.05953666E-6
	.long	0x35258957                      ; float 6.16671457E-7
	.long	0xb43c94bc                      ; float -1.75629737E-7
	.long	0xabb69977                      ; float -1.29744728E-12
	.long	0x32e788fe                      ; float 2.69542362E-8
	.long	0xb27a7446                      ; float -1.45783527E-8
	.long	0x31859418                      ; float 3.88764576E-9
	.long	0xa432faca                      ; float -3.88100239E-17
	.long	0xb012746d                      ; float -5.32799416E-10
	.long	0x2f96d785                      ; float 2.74379769E-10
	.long	0xae99d6d5                      ; float -6.9957963E-11
	.long	0x23eee253                      ; float 2.58998637E-17
	.long	0x2d1bcefb                      ; float 8.85668881E-12
	.long	0xac9aec38                      ; float -4.4031688E-12
	.long	0x2b98eb50                      ; float 1.08655619E-12
	.long	0xba2b14da                      ; float -6.52623944E-4
	.long	0x3a5c11ce                      ; float 8.39498708E-4
	.long	0xb9e5cb3e                      ; float -4.38297109E-4
	.long	0xb53b133b                      ; float -6.96909126E-7
	.long	0x392e88ac                      ; float 1.66448473E-4
	.long	0xb9060b7e                      ; float -1.2783517E-4
	.long	0x384231bf                      ; float 4.6299534E-5
	.long	0x319c9bcd                      ; float 4.55791005E-9
	.long	0xb731c258                      ; float -1.05952713E-5
	.long	0x36e39c79                      ; float 6.78334299E-6
	.long	0xb60d6f65                      ; float -2.10754774E-6
	.long	0xad9769e1                      ; float -1.72137322E-11
	.long	0x34ca97cc                      ; float 3.77358788E-7
	.long	0xb46accf2                      ; float -2.18675069E-7
	.long	0x33859412                      ; float 6.22022895E-8
	.long	0x263e2a76                      ; float 6.59770373E-16
	.long	0xb224c2f7                      ; float -9.59038626E-9
	.long	0x31b31feb                      ; float 5.2132143E-9
	.long	0xb0c04c88                      ; float -1.39915901E-9
	.long	0x261b2096                      ; float 5.38205899E-16
	.long	0x2f563c98                      ; float 1.94847138E-10
	.long	0xaedeb390                      ; float -1.01272879E-10
	.long	0x2de560f7                      ; float 2.60773469E-11
	.long	0xa2bbcda5                      ; float -5.09041862E-18
	.long	0xac6d4b31                      ; float -3.37214653E-12
	.long	0xba1c6ff9                      ; float -5.96761296E-4
	.long	0xb89718fd                      ; float -7.20489551E-5
	.long	0x3a31cb4e                      ; float 6.78230891E-4
	.long	0xba27cf93                      ; float -6.4014754E-4
	.long	0x39917d90                      ; float 2.77501065E-4
	.long	0x3443638e                      ; float 1.8197008E-7
	.long	0xb8b1d402                      ; float -8.47950723E-5
	.long	0x38800900                      ; float 6.10519201E-5
	.long	0xb7b0c7e6                      ; float -2.10739199E-5
	.long	0xb07380c7                      ; float -8.85858886E-10
	.long	0x3697f31f                      ; float 4.5284537E-6
	.long	0xb63ec69d                      ; float -2.84278144E-6
	.long	0x3569c288                      ; float 8.70823441E-7
	.long	0x2c81c80c                      ; float 3.68861018E-12
	.long	0xb424c32d                      ; float -1.53446948E-7
	.long	0x33be51ed                      ; float 8.86246667E-8
	.long	0xb2d855fd                      ; float -2.51848125E-8
	.long	0xa83836b2                      ; float -1.0225912E-14
	.long	0x3185e5e9                      ; float 3.89694721E-9
	.long	0xb11225d7                      ; float -2.12673057E-9
	.long	0x301db2a5                      ; float 5.73701364E-10
	.long	0xa05eddbd                      ; float -1.88774985E-19
	.long	0xaeb1f868                      ; float -8.09315392E-11
	.long	0x2e3a66b4                      ; float 4.23827223E-11
	.long	0xad418d9d                      ; float -1.10022243E-11
	.long	0x3aaea573                      ; float 0.00133244542
	.long	0xbafaede5                      ; float -0.00191443844
	.long	0x3a9159c0                      ; float 0.00110893697
	.long	0x35854f7b                      ; float 9.93240405E-7
	.long	0xba055d4d                      ; float -5.08745026E-4
	.long	0x39e00e06                      ; float 4.27350577E-4
	.long	0xb930c724                      ; float -1.68588536E-4
	.long	0xb20bacf3                      ; float -8.13018896E-9
	.long	0x383defc2                      ; float 4.52844033E-5
	.long	0xb803287c                      ; float -3.12705379E-5
	.long	0x372f51d8                      ; float 1.04498686E-5
	.long	0x2e550537                      ; float 4.84352246E-11
	.long	0xb6102ac4                      ; float -2.1482565E-6
	.long	0x35b26ccc                      ; float 1.32936975E-6
	.long	0xb4d855fb                      ; float -4.02956942E-7
	.long	0xaa45cbf6                      ; float -1.7567878E-13
	.long	0x3396a2a5                      ; float 7.01450417E-8
	.long	0xb32d8cee                      ; float -4.04078762E-8
	.long	0x32451f4e                      ; float 1.14740271E-8
	.long	0x22924184                      ; float 3.96427467E-18
	.long	0xb0f4b58f                      ; float -1.78049386E-9
	.long	0x3085f9d1                      ; float 9.74802571E-10
	.long	0xaf912a36                      ; float -2.6405339E-10
	.long	0x22d5cb0c                      ; float 5.79487499E-18
	.long	0x2e259399                      ; float 3.76477495E-11
	.long	0x3acf0edd                      ; float 0.00157972763
	.long	0x392a6921                      ; float 1.62516269E-4
	.long	0xbb073923                      ; float -0.00206334214
	.long	0x3b0c2df0                      ; float 0.00213896856
	.long	0xba847eb2                      ; float -0.00101085589
	.long	0xb4d6479b                      ; float -3.9912706E-7
	.long	0x39bdf9d4                      ; float 3.62350256E-4
	.long	0xb9938e1b                      ; float -2.81439017E-4
	.long	0x38db2466                      ; float 1.04495135E-4
	.long	0x3111c386                      ; float 2.12114193E-9
	.long	0xb7d840e1                      ; float -2.57794181E-5
	.long	0x3790f86c                      ; float 1.72818181E-5
	.long	0xb6bd4b10                      ; float -5.64137736E-6
	.long	0xad41f120                      ; float -1.10243203E-11
	.long	0x3596a2b5                      ; float 1.12232249E-6
	.long	0xb53865be                      ; float -6.86933959E-7
	.long	0x345dc32f                      ; float 2.06532363E-7
	.long	0x29526277                      ; float 4.67147717E-14
	.long	0xb318f17c                      ; float -3.56098866E-8
	.long	0x32afd7e3                      ; float 2.04708552E-8
	.long	0xb1c79a09                      ; float -5.80917403E-9
	.long	0xa519a9f1                      ; float -1.3328213E-16
	.long	0x30785d67                      ; float 9.03546071E-10
	.long	0xb008560a                      ; float -4.95987806E-10
	.long	0x2f143b5a                      ; float 1.34816075E-10
	.long	0xbb8572b5                      ; float -0.00407251203
	.long	0x3bd1d34d                      ; float 0.00640336284
	.long	0xbb846a80                      ; float -0.0040410161
	.long	0xb6128c3e                      ; float -2.1837327E-6
	.long	0x3b0e7a69                      ; float 0.00217404426
	.long	0xbb011bdb                      ; float -0.0019700441
	.long	0x3a5b23f8                      ; float 8.35954677E-4
	.long	0x32a708fe                      ; float 1.94454479E-8
	.long	0xb9872882                      ; float -2.57793872E-4
	.long	0x3947558c                      ; float 1.90099876E-4
	.long	0xb88df848                      ; float -6.76964991E-5
	.long	0xaf1ec6c2                      ; float -1.44406292E-10
	.long	0x3783ce5d                      ; float 1.57125123E-5
	.long	0xb72cdf61                      ; float -1.03040084E-5
	.long	0x365dc32f                      ; float 3.3045178E-6
	.long	0x2b60b368                      ; float 7.98297625E-13
	.long	0xb52c0fab                      ; float -6.4097793E-7
	.long	0x34d0d05d                      ; float 3.88946233E-7
	.long	0xb3f9808b                      ; float -1.16183479E-7
	.long	0xa74af8f3                      ; float -2.8168087E-15
	.long	0x32aac036                      ; float 1.98780121E-8
	.long	0xb243fbaf                      ; float -1.14077201E-8
	.long	0x315e5907                      ; float 3.2355858E-9
	.long	0x1f453419                      ; float 4.17594668E-20
	.long	0xb00a9a1c                      ; float -5.04231101E-10
	.long	0xbbc2e3e6                      ; float -0.00594757777
	.long	0xba0d99d8                      ; float -5.40164765E-4
	.long	0x3c10084d                      ; float 0.00879104156
	.long	0xbc2181e7                      ; float -0.00985763129
	.long	0x3ba44808                      ; float 0.00501346961
	.long	0x35abe64f                      ; float 1.28075214E-6
	.long	0xbb072cb8                      ; float -0.00206260197
	.long	0x3ae040b6                      ; float 0.00171091291
	.long	0xba31758e                      ; float -6.76953117E-4
	.long	0xb1ed1f33                      ; float -6.90115475E-9
	.long	0x3945b5d9                      ; float 1.88551276E-4
	.long	0xb90c7582                      ; float -1.33952155E-4
	.long	0x38420ab7                      ; float 4.62631833E-5
	.long	0x2e301289                      ; float 4.00342294E-11
	.long	0xb72c0fb2                      ; float -1.02556533E-5
	.long	0x36dddd64                      ; float 6.61208651E-6
	.long	0xb60c584c                      ; float -2.09130212E-6
	.long	0xaa6be562                      ; float -2.0951776E-13
	.long	0x34d57045                      ; float 3.97560285E-7
	.long	0xb4809d2b                      ; float -2.39562127E-7
	.long	0x3398dd34                      ; float 7.11828818E-8
	.long	0x2680a18f                      ; float 8.92557474E-16
	.long	0xb24fe72b                      ; float -1.21015473E-8
	.long	0x31ee4973                      ; float 6.93506185E-9
	.long	0xb1071cd0                      ; float -1.96614636E-9
	.long	0x3c8e8eb3                      ; float 0.0174020287
	.long	0xbcf1e474                      ; float -0.0295278803
	.long	0x3ca4373f                      ; float 0.0200458746
	.long	0x36ebda3c                      ; float 7.02895159E-6
	.long	0xbc4ac247                      ; float -0.0123754209
	.long	0x3c443837                      ; float 0.0119762933
	.long	0xbbb17561                      ; float -0.00541560398
	.long	0xb387ea89                      ; float -6.32908907E-8
	.long	0x3af72347                      ; float 0.0018855118
	.long	0xbac1218f                      ; float -0.00147347327
	.long	0x3a118808                      ; float 5.55158127E-4
	.long	0x30100e08                      ; float 5.24068344E-10
	.long	0xb9168dbb                      ; float -1.43579135E-4
	.long	0x38cfff8d                      ; float 9.91812921E-5
	.long	0xb80c584c                      ; float -3.34608339E-5
	.long	0xac7b9bfd                      ; float -3.57558362E-12
	.long	0x36f01e4e                      ; float 7.1560853E-6
	.long	0xb698baa3                      ; float -4.55168038E-6
	.long	0x35bf1481                      ; float 1.42365764E-6
	.long	0x28a95d1c                      ; float 1.88031489E-14
	.long	0xb48eeeed                      ; float -2.66234025E-7
	.long	0x342b44cb                      ; float 1.59506428E-7
	.long	0xb34aab39                      ; float -4.71875161E-8
	.long	0xa49620e8                      ; float -6.51078757E-17
	.long	0x32091641                      ; float 7.97950949E-9
	.long	0x3cf7cd03                      ; float 0.0302491244
	.long	0x3b22a4c0                      ; float 0.00248174369
	.long	0xbd4c8cfa                      ; float -0.0499391332
	.long	0x3d756a1b                      ; float 0.0599156432
	.long	0xbd050d1d                      ; float -0.0324832089
	.long	0xb6bff991                      ; float -5.72129693E-6
	.long	0x3c772822                      ; float 0.015085252
	.long	0xbc594606                      ; float -0.0132613238
	.long	0x3bb5e994                      ; float 0.00555152632
	.long	0x3301fab9                      ; float 3.0263184E-8
	.long	0xbae1d4c5                      ; float -0.0017229548
	.long	0x3aa8ffa4                      ; float 0.00128935697
	.long	0xb9f59a7b                      ; float -4.68451384E-4
	.long	0xaf493d3d                      ; float -1.83025997E-10
	.long	0x38f01e51                      ; float 1.14497387E-4
	.long	0xb8a2464d                      ; float -7.7378565E-5
	.long	0x37d6f710                      ; float 2.56258354E-5
	.long	0x2b978533                      ; float 1.07661655E-12
	.long	0xb6b2aaa9                      ; float -5.32468084E-6
	.long	0x3660ca4a                      ; float 3.34963488E-6
	.long	0xb58b55b7                      ; float -1.03812533E-6
	.long	0xa7ca1510                      ; float -5.60890988E-15
	.long	0x344da161                      ; float 1.91508221E-7
	.long	0xb3f53521                      ; float -1.14183656E-7
	.long	0x33108b6f                      ; float 3.36544268E-8
	.long	0xbdcadb43                      ; float -0.099051021
	.long	0x3e37d95d                      ; float 0.179540113
	.long	0xbe050379                      ; float -0.12989606
	.long	0xb804082f                      ; float -3.1478874E-5
	.long	0x3db95da4                      ; float 0.0905106365
	.long	0xbdbe1d0a                      ; float -0.0928288251
	.long	0x3d35e97a                      ; float 0.0444121137
	.long	0x3495237e                      ; float 2.77792367E-7
	.long	0xbc8d24f9                      ; float -0.017229544
	.long	0x3c685f80                      ; float 0.0141829252
	.long	0xbbb833db                      ; float -0.00562141603
	.long	0xb124a69e                      ; float -2.39598519E-9
	.long	0x3ad21a87                      ; float 0.00160296343
	.long	0xba9821e8                      ; float -0.00116067845
	.long	0x39d6f710                      ; float 4.10013366E-4
	.long	0x2da18c1b                      ; float 1.83658002E-11
	.long	0xb8c8fffe                      ; float -9.58442542E-5
	.long	0x3885781c                      ; float 6.36430632E-5
	.long	0xb7ae2b25                      ; float -2.07625071E-5
	.long	0xaa04ec8a                      ; float -1.18060211E-13
	.long	0x368d5ef3                      ; float 4.213181E-6
	.long	0xb6303e30                      ; float -2.62622416E-6
	.long	0x3558d126                      ; float 8.07706215E-7
	.long	0x262d4d18                      ; float 6.01259138E-16
	.long	0xb41e28cb                      ; float -1.47297371E-7
	.long	0xbe4cbe7e                      ; float -0.19994542
	.long	0xbc76adea                      ; float -0.0150561128
	.long	0x3ebaba46                      ; float 0.364702404
	.long	0xbeedbf89                      ; float -0.464351922
	.long	0x3e8866ce                      ; float 0.266409338
	.long	0x380ec44f                      ; float 3.40382649E-5
	.long	0xbe0d26d1                      ; float -0.137843385
	.long	0x3e02b5d2                      ; float 0.127646714
	.long	0xbd664079                      ; float -0.0562138297
	.long	0xb43c3e3f                      ; float -1.75315094E-7
	.long	0x3c9d93f6                      ; float 0.0192355923
	.long	0xbc77371a                      ; float -0.0150888208
	.long	0x3bbc182a                      ; float 0.00574018527
	.long	0x3091fe30                      ; float 1.0622383E-9
	.long	0xbac90000                      ; float -0.0015335083
	.long	0x3a8dcf9e                      ; float 0.0010819321
	.long	0xb9c3f089                      ; float -3.7372511E-4
	.long	0xace8d175                      ; float -6.61709099E-12
	.long	0x38b0b6af                      ; float 8.42636145E-5
	.long	0xb867519f                      ; float -5.51507073E-5
	.long	0x37950fca                      ; float 1.77695365E-5
	.long	0x292edd8c                      ; float 3.88279225E-14
	.long	0xb66d3d31                      ; float -3.53513701E-6
	.long	0x3612bd37                      ; float 2.18658329E-6
	.long	0xb5335971                      ; float -6.68128507E-7
	.long	0x3f39715e                      ; float 0.724386096
	.long	0xbfb2268a                      ; float -1.39180112
	.long	0x3f885f7f                      ; float 1.06541431
	.long	0x3944bb29                      ; float 1.87617392E-4
	.long	0xbf53b9e1                      ; float -0.827055037
	.long	0x3f64be03                      ; float 0.893524348
	.long	0xbee64065                      ; float -0.449710041
	.long	0xb5d8309c                      ; float -1.61074013E-6
	.long	0x3e44f8f2                      ; float 0.192355901
	.long	0xbe29f5e1                      ; float -0.165977016
	.long	0x3d8d121f                      ; float 0.0688822195
	.long	0x326ef93b                      ; float 1.39100917E-8
	.long	0xbcafe000                      ; float -0.0214691162
	.long	0x3c84f2a4                      ; float 0.0162289813
	.long	0xbbc3f089                      ; float -0.00597960176
	.long	0xaef836cd                      ; float -1.12874689E-10
	.long	0x3ac6cd85                      ; float 0.00151674508
	.long	0xba895876                      ; float -0.00104786339
	.long	0x39ba53bc                      ; float 3.55390715E-4
	.long	0x2b65fa2b                      ; float 8.1704321E-13
	.long	0xb8a31a12                      ; float -7.77730165E-5
	.long	0x3852efff                      ; float 5.02914154E-5
	.long	0xb7868315                      ; float -1.60350846E-5
	.long	0x2860a0bf                      ; float 1.24693541E-14
	.long	0x365283b7                      ; float 3.13691066E-6
	.long	0x3fd55cd1                      ; float 1.66689503
	.long	0x3deeafd0                      ; float 0.116546273
	.long	0xc0550bb4                      ; float -3.3288393
	.long	0x408f03f4                      ; float 4.46923256
	.long	0xc02ca841                      ; float -2.6977694
	.long	0xb9885993                      ; float -2.60066794E-4
	.long	0x3fc4fabc                      ; float 1.53890181
	.long	0xbfbf34b7                      ; float -1.49379623
	.long	0x3f30567c                      ; float 0.688819647
	.long	0x35af85e3                      ; float 1.30774822E-6
	.long	0xbe83e808                      ; float -0.257629633
	.long	0x3e580a4b                      ; float 0.210976765
	.long	0xbdab7276                      ; float -0.0837144107
	.long	0xb205ddc4                      ; float -7.79204256E-9
	.long	0x3cc6cd86                      ; float 0.0242679231
	.long	0xbc91edfe                      ; float -0.0178136788
	.long	0x3bd19e34                      ; float 0.00639703311
	.long	0x2e596624                      ; float 4.94308067E-11
	.long	0xbacbe096                      ; float -0.00155546027
	.long	0x3a8a6d7f                      ; float 0.00105611968
	.long	0xb9b8f43c                      ; float -3.52771836E-4
	.long	0x29d16c32                      ; float 9.30023338E-14
	.long	0x389de2c9                      ; float 7.52858541E-5
	.long	0xb84a1be1                      ; float -4.81865172E-5
	.long	0x377f78a2                      ; float 1.52272714E-5
	.long	0xc0d3cd74                      ; float -6.61882973
	.long	0x41565e26                      ; float 13.3979855
	.long	0xc12ca12e                      ; float -10.7893505
	.long	0xbabc1e2d                      ; float -0.00143522548
	.long	0x4113bbe2                      ; float 9.23336982
	.long	0xc1274e0a                      ; float -10.4565525
	.long	0x40b05672                      ; float 5.51055241
	.long	0x3749bc93                      ; float 1.20244395E-5
	.long	0xc024e209                      ; float -2.57629609
	.long	0x40148713                      ; float 2.32074428
	.long	0xbf8095d8                      ; float -1.00457287
	.long	0xb3db3628                      ; float -1.02078332E-7
	.long	0x3eadf3d5                      ; float 0.339750916
	.long	0xbe88cf1e                      ; float -0.267205179
	.long	0x3dd19e34                      ; float 0.10235253
	.long	0x3067cdc6                      ; float 8.43297321E-10
	.long	0xbce55ca9                      ; float -0.0279982854
	.long	0x3ca46207                      ; float 0.0200662743
	.long	0xbbe7314b                      ; float -0.00705543673
	.long	0x2c0887f7                      ; float 1.94022381E-12
	.long	0x3ad917d5                      ; float 0.00165628886
	.long	0xba914409                      ; float -0.00110828981
	.long	0x39bf9a7a                      ; float 3.65454529E-4
	.long	0xae619371                      ; float -5.12900312E-11
	.long	0xb8a018c8                      ; float -7.63401039E-5
	.long	0xc188e6d2                      ; float -17.1127052
	.long	0xbf8f7685                      ; float -1.12080443
	.long	0x42148722                      ; float 37.1319656
	.long	0xc251316e                      ; float -52.2982712
	.long	0x42043bff                      ; float 33.0585899
	.long	0x3b2278e6                      ; float 0.00247912994
	.long	0xc1a4e31c                      ; float -20.6108932
	.long	0x41a71805                      ; float 20.8867283
	.long	0xc120bb34                      ; float -10.0457039
	.long	0xb74d552d                      ; float -1.22387837E-5
	.long	0x408276e5                      ; float 4.07701349
	.long	0xc05e5091                      ; float -3.47366738
	.long	0x3fb76a6c                      ; float 1.43293524
	.long	0x33993e87                      ; float 7.13599135E-8
	.long	0xbee55ca9                      ; float -0.447972566
	.long	0x3eaea827                      ; float 0.341126651
	.long	0xbe020bba                      ; float -0.126997858
	.long	0xaf9f2cae                      ; float -2.89536783E-10
	.long	0x3d07aee5                      ; float 0.0331257768
	.long	0xbcbea94c                      ; float -0.0232740864
	.long	0x3c03ba34                      ; float 0.00803999975
	.long	0xb0a1e056                      ; float -1.17780519E-9
	.long	0xbaf0252c                      ; float -0.0018321625
	.long	0x3a9eb4a8                      ; float 0.00121082831
	.long	0xb9cefd15                      ; float -3.94799426E-4
	.long	0x4293c7da                      ; float 73.890335
	.long	0xc31ccd29                      ; float -156.801407
	.long	0x430437bf                      ; float 132.217758
	.long	0x3c605817                      ; float 0.0136928773
	.long	0xc2f75477                      ; float -123.66497
	.long	0x431234f7                      ; float 146.206894
	.long	0xc2a0bb2e                      ; float -80.3655853
	.long	0xb8ec22de                      ; float -1.12598515E-4
	.long	0x4223149e                      ; float 40.770134
	.long	0xc218d763                      ; float -38.2103386
	.long	0x41898fd1                      ; float 17.1952229
	.long	0x357b0a41                      ; float 9.35197078E-7
	.long	0xc0c8b114                      ; float -6.27161598
	.long	0x40a3bda5                      ; float 5.11689997
	.long	0xc0020bba                      ; float -2.03196573
	.long	0xb1aa1b02                      ; float -4.95072161E-9
	.long	0x3f18a4c1                      ; float 0.596263945
	.long	0xbee2690b                      ; float -0.442207664
	.long	0x3e24a8c0                      ; float 0.16079998
	.long	0xb2d4762c                      ; float -2.47337866E-8
	.long	0xbd25198e                      ; float -0.040307574
	.long	0x3ce423b1                      ; float 0.0278490502
	.long	0xbc1b3dcf                      ; float -0.00947518554
	.long	0x36d76ab6                      ; float 6.4199221E-6
	.long	0x3b0b43e3                      ; float 0.00212501804
	.long	0x43542b1a                      ; float 212.168365
	;; [unrolled: 1-line block ×3, first 2 shown]
	.long	0xc3f87dce                      ; float -496.982849
	.long	0x4436cdd2                      ; float 731.215942
	.long	0xc3f111b1                      ; float -482.138214
	.long	0xbcec1227                      ; float -0.0288172495
	.long	0x43a31567                      ; float 326.167206
	.long	0xc3abf25b                      ; float -343.893402
	.long	0x432bf3b2                      ; float 171.951935
	.long	0x3913332d                      ; float 1.40380769E-4
	.long	0xc29684d3                      ; float -75.2594223
	.long	0x42850a16                      ; float 66.519699
	.long	0xc1e39485                      ; float -28.4475193
	.long	0xb54c60f7                      ; float -7.61370245E-7
	.long	0x4118a4c2                      ; float 9.54022407
	.long	0xc0f08f9b                      ; float -7.51752996
	.long	0x40393dd8                      ; float 2.89439964
	.long	0xb4fa3f50                      ; float -4.66121946E-7
	.long	0xbf4e5ff2                      ; float -0.806151509
	.long	0x3f15b76c                      ; float 0.584830046
	.long	0xbe5574fd                      ; float -0.208454087
	.long	0x391ad4b2                      ; float 1.47658197E-4
	.long	0x3d50e5d5                      ; float 0.0510004349
	.long	0xbd07707a                      ; float -0.0330662504
	.long	0x3c778cda                      ; float 0.0151092652
	.long	0xc477662c                      ; float -989.596435
	.long	0x450908e3                      ; float 2192.55542
	.long	0xc4f10b7a                      ; float -1928.35864
	.long	0xbe23145e                      ; float -0.159257382
	.long	0x44f49ff4                      ; float 1956.99854
	.long	0xc5167406                      ; float -2407.25146
	.long	0x44abf3ae                      ; float 1375.61499
	.long	0x3aa95acb                      ; float 0.00129207352
	.long	0xc43c2607                      ; float -752.594177
	.long	0x4436edde                      ; float 731.716675
	.long	0xc3aaaf64                      ; float -341.370239
	.long	0xb727886c                      ; float -9.98573887E-6
	.long	0x43059029                      ; float 133.563126
	.long	0xc2e186a2                      ; float -112.762955
	.long	0x42393dd8                      ; float 46.3103943
	.long	0xb704f033                      ; float -7.92373885E-6
	.long	0xc1682bf0                      ; float -14.5107269
	.long	0x4131c9d1                      ; float 11.1117716
	.long	0xc085691e                      ; float -4.16908169
	.long	0x3b4b3729                      ; float 0.00310082198
	.long	0x3f8f9e02                      ; float 1.12200952
	.long	0xbf42b1b0                      ; float -0.760523796
	.long	0x3eb9a9a3                      ; float 0.36262235
	.long	0x3e6301dc                      ; float 0.22168678
	;; [unrolled: 1-line block ×3, first 2 shown]
	.size	__const._ZN12_GLOBAL__N_130_igam_helper_asymptotic_seriesIfEET_S1_S1_b.d, 2500

	.type	__const._ZN12_GLOBAL__N_123lanczos_sum_expg_scaledIfEET_S1_.lanczos_sum_expg_scaled_num,@object ; @__const._ZN12_GLOBAL__N_123lanczos_sum_expg_scaledIfEET_S1_.lanczos_sum_expg_scaled_num
	.p2align	4, 0x0
__const._ZN12_GLOBAL__N_123lanczos_sum_expg_scaledIfEET_S1_.lanczos_sum_expg_scaled_num:
	.long	0x3bc6a26b                      ; float 0.0060618422
	.long	0x3f0284fc                      ; float 0.509841681
	;; [unrolled: 1-line block ×8, first 2 shown]
	.long	0x4b5edd0a                      ; float 14605578
	.long	0x4c255322                      ; float 43338888
	;; [unrolled: 1-line block ×5, first 2 shown]
	.size	__const._ZN12_GLOBAL__N_123lanczos_sum_expg_scaledIfEET_S1_.lanczos_sum_expg_scaled_num, 52

	.type	__const._ZN12_GLOBAL__N_123lanczos_sum_expg_scaledIfEET_S1_.lanczos_sum_expg_scaled_denom,@object ; @__const._ZN12_GLOBAL__N_123lanczos_sum_expg_scaledIfEET_S1_.lanczos_sum_expg_scaled_denom
	.p2align	4, 0x0
__const._ZN12_GLOBAL__N_123lanczos_sum_expg_scaledIfEET_S1_.lanczos_sum_expg_scaled_denom:
	.long	0x3f800000                      ; float 1
	.long	0x42840000                      ; float 66
	;; [unrolled: 1-line block ×13, first 2 shown]
	.size	__const._ZN12_GLOBAL__N_123lanczos_sum_expg_scaledIfEET_S1_.lanczos_sum_expg_scaled_denom, 52

	.type	__hip_cuid_14d3ea56556fcc9d,@object ; @__hip_cuid_14d3ea56556fcc9d
	.section	.bss,"aw",@nobits
	.globl	__hip_cuid_14d3ea56556fcc9d
__hip_cuid_14d3ea56556fcc9d:
	.byte	0                               ; 0x0
	.size	__hip_cuid_14d3ea56556fcc9d, 1

	.ident	"AMD clang version 19.0.0git (https://github.com/RadeonOpenCompute/llvm-project roc-6.4.0 25133 c7fe45cf4b819c5991fe208aaa96edf142730f1d)"
	.section	".note.GNU-stack","",@progbits
	.addrsig
	.addrsig_sym __hip_cuid_14d3ea56556fcc9d
	.amdgpu_metadata
---
amdhsa.kernels:
  - .args:
      - .offset:         0
        .size:           4
        .value_kind:     by_value
      - .offset:         4
        .size:           1
        .value_kind:     by_value
      - .offset:         8
        .size:           24
        .value_kind:     by_value
    .group_segment_fixed_size: 0
    .kernarg_segment_align: 8
    .kernarg_segment_size: 32
    .language:       OpenCL C
    .language_version:
      - 2
      - 0
    .max_flat_workgroup_size: 256
    .name:           _ZN2at6native29vectorized_elementwise_kernelILi16EN12_GLOBAL__N_110CalcIgammaIdEESt5arrayIPcLm3EEEEviT0_T1_
    .private_segment_fixed_size: 240
    .sgpr_count:     58
    .sgpr_spill_count: 0
    .symbol:         _ZN2at6native29vectorized_elementwise_kernelILi16EN12_GLOBAL__N_110CalcIgammaIdEESt5arrayIPcLm3EEEEviT0_T1_.kd
    .uniform_work_group_size: 1
    .uses_dynamic_stack: false
    .vgpr_count:     104
    .vgpr_spill_count: 0
    .wavefront_size: 32
    .workgroup_processor_mode: 1
  - .args:
      - .offset:         0
        .size:           4
        .value_kind:     by_value
      - .offset:         4
        .size:           1
        .value_kind:     by_value
      - .offset:         8
        .size:           24
        .value_kind:     by_value
    .group_segment_fixed_size: 0
    .kernarg_segment_align: 8
    .kernarg_segment_size: 32
    .language:       OpenCL C
    .language_version:
      - 2
      - 0
    .max_flat_workgroup_size: 256
    .name:           _ZN2at6native29vectorized_elementwise_kernelILi8EN12_GLOBAL__N_110CalcIgammaIdEESt5arrayIPcLm3EEEEviT0_T1_
    .private_segment_fixed_size: 240
    .sgpr_count:     58
    .sgpr_spill_count: 0
    .symbol:         _ZN2at6native29vectorized_elementwise_kernelILi8EN12_GLOBAL__N_110CalcIgammaIdEESt5arrayIPcLm3EEEEviT0_T1_.kd
    .uniform_work_group_size: 1
    .uses_dynamic_stack: false
    .vgpr_count:     104
    .vgpr_spill_count: 0
    .wavefront_size: 32
    .workgroup_processor_mode: 1
  - .args:
      - .offset:         0
        .size:           4
        .value_kind:     by_value
      - .offset:         4
        .size:           1
        .value_kind:     by_value
      - .offset:         8
        .size:           24
        .value_kind:     by_value
    .group_segment_fixed_size: 0
    .kernarg_segment_align: 8
    .kernarg_segment_size: 32
    .language:       OpenCL C
    .language_version:
      - 2
      - 0
    .max_flat_workgroup_size: 256
    .name:           _ZN2at6native29vectorized_elementwise_kernelILi4EN12_GLOBAL__N_110CalcIgammaIdEESt5arrayIPcLm3EEEEviT0_T1_
    .private_segment_fixed_size: 240
    .sgpr_count:     58
    .sgpr_spill_count: 0
    .symbol:         _ZN2at6native29vectorized_elementwise_kernelILi4EN12_GLOBAL__N_110CalcIgammaIdEESt5arrayIPcLm3EEEEviT0_T1_.kd
    .uniform_work_group_size: 1
    .uses_dynamic_stack: false
    .vgpr_count:     104
    .vgpr_spill_count: 0
    .wavefront_size: 32
    .workgroup_processor_mode: 1
  - .args:
      - .offset:         0
        .size:           4
        .value_kind:     by_value
      - .offset:         4
        .size:           1
        .value_kind:     by_value
      - .offset:         8
        .size:           24
        .value_kind:     by_value
    .group_segment_fixed_size: 0
    .kernarg_segment_align: 8
    .kernarg_segment_size: 32
    .language:       OpenCL C
    .language_version:
      - 2
      - 0
    .max_flat_workgroup_size: 256
    .name:           _ZN2at6native29vectorized_elementwise_kernelILi2EN12_GLOBAL__N_110CalcIgammaIdEESt5arrayIPcLm3EEEEviT0_T1_
    .private_segment_fixed_size: 240
    .sgpr_count:     58
    .sgpr_spill_count: 0
    .symbol:         _ZN2at6native29vectorized_elementwise_kernelILi2EN12_GLOBAL__N_110CalcIgammaIdEESt5arrayIPcLm3EEEEviT0_T1_.kd
    .uniform_work_group_size: 1
    .uses_dynamic_stack: false
    .vgpr_count:     104
    .vgpr_spill_count: 0
    .wavefront_size: 32
    .workgroup_processor_mode: 1
  - .args:
      - .offset:         0
        .size:           4
        .value_kind:     by_value
      - .offset:         4
        .size:           1
        .value_kind:     by_value
      - .offset:         8
        .size:           24
        .value_kind:     by_value
      - .offset:         32
        .size:           1
        .value_kind:     by_value
      - .offset:         33
        .size:           1
        .value_kind:     by_value
      - .offset:         34
        .size:           1
        .value_kind:     by_value
      - .offset:         35
        .size:           1
        .value_kind:     by_value
    .group_segment_fixed_size: 0
    .kernarg_segment_align: 8
    .kernarg_segment_size: 36
    .language:       OpenCL C
    .language_version:
      - 2
      - 0
    .max_flat_workgroup_size: 256
    .name:           _ZN2at6native27unrolled_elementwise_kernelIN12_GLOBAL__N_110CalcIgammaIdEESt5arrayIPcLm3EELi4E23TrivialOffsetCalculatorILi2EjES8_ILi1EjENS0_6memory15LoadWithoutCastENSB_16StoreWithoutCastEEEviT_T0_T2_T3_T4_T5_
    .private_segment_fixed_size: 240
    .sgpr_count:     52
    .sgpr_spill_count: 0
    .symbol:         _ZN2at6native27unrolled_elementwise_kernelIN12_GLOBAL__N_110CalcIgammaIdEESt5arrayIPcLm3EELi4E23TrivialOffsetCalculatorILi2EjES8_ILi1EjENS0_6memory15LoadWithoutCastENSB_16StoreWithoutCastEEEviT_T0_T2_T3_T4_T5_.kd
    .uniform_work_group_size: 1
    .uses_dynamic_stack: false
    .vgpr_count:     104
    .vgpr_spill_count: 0
    .wavefront_size: 32
    .workgroup_processor_mode: 1
  - .args:
      - .offset:         0
        .size:           4
        .value_kind:     by_value
      - .offset:         8
        .size:           424
        .value_kind:     by_value
    .group_segment_fixed_size: 0
    .kernarg_segment_align: 8
    .kernarg_segment_size: 432
    .language:       OpenCL C
    .language_version:
      - 2
      - 0
    .max_flat_workgroup_size: 128
    .name:           _ZN2at6native32elementwise_kernel_manual_unrollILi128ELi4EZNS0_22gpu_kernel_impl_nocastIN12_GLOBAL__N_110CalcIgammaIdEEEEvRNS_18TensorIteratorBaseERKT_EUlibE_EEviT1_
    .private_segment_fixed_size: 240
    .sgpr_count:     75
    .sgpr_spill_count: 0
    .symbol:         _ZN2at6native32elementwise_kernel_manual_unrollILi128ELi4EZNS0_22gpu_kernel_impl_nocastIN12_GLOBAL__N_110CalcIgammaIdEEEEvRNS_18TensorIteratorBaseERKT_EUlibE_EEviT1_.kd
    .uniform_work_group_size: 1
    .uses_dynamic_stack: false
    .vgpr_count:     104
    .vgpr_spill_count: 0
    .wavefront_size: 32
    .workgroup_processor_mode: 1
  - .args:
      - .offset:         0
        .size:           4
        .value_kind:     by_value
      - .offset:         8
        .size:           40
        .value_kind:     by_value
    .group_segment_fixed_size: 0
    .kernarg_segment_align: 8
    .kernarg_segment_size: 48
    .language:       OpenCL C
    .language_version:
      - 2
      - 0
    .max_flat_workgroup_size: 128
    .name:           _ZN2at6native32elementwise_kernel_manual_unrollILi128ELi4EZNS0_15gpu_kernel_implIN12_GLOBAL__N_110CalcIgammaIdEEEEvRNS_18TensorIteratorBaseERKT_EUlibE_EEviT1_
    .private_segment_fixed_size: 240
    .sgpr_count:     73
    .sgpr_spill_count: 0
    .symbol:         _ZN2at6native32elementwise_kernel_manual_unrollILi128ELi4EZNS0_15gpu_kernel_implIN12_GLOBAL__N_110CalcIgammaIdEEEEvRNS_18TensorIteratorBaseERKT_EUlibE_EEviT1_.kd
    .uniform_work_group_size: 1
    .uses_dynamic_stack: false
    .vgpr_count:     104
    .vgpr_spill_count: 0
    .wavefront_size: 32
    .workgroup_processor_mode: 1
  - .args:
      - .offset:         0
        .size:           4
        .value_kind:     by_value
      - .offset:         8
        .size:           424
        .value_kind:     by_value
    .group_segment_fixed_size: 0
    .kernarg_segment_align: 8
    .kernarg_segment_size: 432
    .language:       OpenCL C
    .language_version:
      - 2
      - 0
    .max_flat_workgroup_size: 128
    .name:           _ZN2at6native32elementwise_kernel_manual_unrollILi128ELi4EZNS0_15gpu_kernel_implIN12_GLOBAL__N_110CalcIgammaIdEEEEvRNS_18TensorIteratorBaseERKT_EUlibE0_EEviT1_
    .private_segment_fixed_size: 240
    .sgpr_count:     91
    .sgpr_spill_count: 0
    .symbol:         _ZN2at6native32elementwise_kernel_manual_unrollILi128ELi4EZNS0_15gpu_kernel_implIN12_GLOBAL__N_110CalcIgammaIdEEEEvRNS_18TensorIteratorBaseERKT_EUlibE0_EEviT1_.kd
    .uniform_work_group_size: 1
    .uses_dynamic_stack: false
    .vgpr_count:     104
    .vgpr_spill_count: 0
    .wavefront_size: 32
    .workgroup_processor_mode: 1
  - .args:
      - .offset:         0
        .size:           4
        .value_kind:     by_value
      - .offset:         4
        .size:           1
        .value_kind:     by_value
      - .offset:         8
        .size:           24
        .value_kind:     by_value
    .group_segment_fixed_size: 0
    .kernarg_segment_align: 8
    .kernarg_segment_size: 32
    .language:       OpenCL C
    .language_version:
      - 2
      - 0
    .max_flat_workgroup_size: 256
    .name:           _ZN2at6native29vectorized_elementwise_kernelILi16EN12_GLOBAL__N_110CalcIgammaIfEESt5arrayIPcLm3EEEEviT0_T1_
    .private_segment_fixed_size: 144
    .sgpr_count:     50
    .sgpr_spill_count: 0
    .symbol:         _ZN2at6native29vectorized_elementwise_kernelILi16EN12_GLOBAL__N_110CalcIgammaIfEESt5arrayIPcLm3EEEEviT0_T1_.kd
    .uniform_work_group_size: 1
    .uses_dynamic_stack: false
    .vgpr_count:     67
    .vgpr_spill_count: 0
    .wavefront_size: 32
    .workgroup_processor_mode: 1
  - .args:
      - .offset:         0
        .size:           4
        .value_kind:     by_value
      - .offset:         4
        .size:           1
        .value_kind:     by_value
      - .offset:         8
        .size:           24
        .value_kind:     by_value
    .group_segment_fixed_size: 0
    .kernarg_segment_align: 8
    .kernarg_segment_size: 32
    .language:       OpenCL C
    .language_version:
      - 2
      - 0
    .max_flat_workgroup_size: 256
    .name:           _ZN2at6native29vectorized_elementwise_kernelILi8EN12_GLOBAL__N_110CalcIgammaIfEESt5arrayIPcLm3EEEEviT0_T1_
    .private_segment_fixed_size: 144
    .sgpr_count:     50
    .sgpr_spill_count: 0
    .symbol:         _ZN2at6native29vectorized_elementwise_kernelILi8EN12_GLOBAL__N_110CalcIgammaIfEESt5arrayIPcLm3EEEEviT0_T1_.kd
    .uniform_work_group_size: 1
    .uses_dynamic_stack: false
    .vgpr_count:     67
    .vgpr_spill_count: 0
    .wavefront_size: 32
    .workgroup_processor_mode: 1
  - .args:
      - .offset:         0
        .size:           4
        .value_kind:     by_value
      - .offset:         4
        .size:           1
        .value_kind:     by_value
      - .offset:         8
        .size:           24
        .value_kind:     by_value
    .group_segment_fixed_size: 0
    .kernarg_segment_align: 8
    .kernarg_segment_size: 32
    .language:       OpenCL C
    .language_version:
      - 2
      - 0
    .max_flat_workgroup_size: 256
    .name:           _ZN2at6native29vectorized_elementwise_kernelILi4EN12_GLOBAL__N_110CalcIgammaIfEESt5arrayIPcLm3EEEEviT0_T1_
    .private_segment_fixed_size: 144
    .sgpr_count:     50
    .sgpr_spill_count: 0
    .symbol:         _ZN2at6native29vectorized_elementwise_kernelILi4EN12_GLOBAL__N_110CalcIgammaIfEESt5arrayIPcLm3EEEEviT0_T1_.kd
    .uniform_work_group_size: 1
    .uses_dynamic_stack: false
    .vgpr_count:     67
    .vgpr_spill_count: 0
    .wavefront_size: 32
    .workgroup_processor_mode: 1
  - .args:
      - .offset:         0
        .size:           4
        .value_kind:     by_value
      - .offset:         4
        .size:           1
        .value_kind:     by_value
      - .offset:         8
        .size:           24
        .value_kind:     by_value
    .group_segment_fixed_size: 0
    .kernarg_segment_align: 8
    .kernarg_segment_size: 32
    .language:       OpenCL C
    .language_version:
      - 2
      - 0
    .max_flat_workgroup_size: 256
    .name:           _ZN2at6native29vectorized_elementwise_kernelILi2EN12_GLOBAL__N_110CalcIgammaIfEESt5arrayIPcLm3EEEEviT0_T1_
    .private_segment_fixed_size: 144
    .sgpr_count:     50
    .sgpr_spill_count: 0
    .symbol:         _ZN2at6native29vectorized_elementwise_kernelILi2EN12_GLOBAL__N_110CalcIgammaIfEESt5arrayIPcLm3EEEEviT0_T1_.kd
    .uniform_work_group_size: 1
    .uses_dynamic_stack: false
    .vgpr_count:     67
    .vgpr_spill_count: 0
    .wavefront_size: 32
    .workgroup_processor_mode: 1
  - .args:
      - .offset:         0
        .size:           4
        .value_kind:     by_value
      - .offset:         4
        .size:           1
        .value_kind:     by_value
      - .offset:         8
        .size:           24
        .value_kind:     by_value
      - .offset:         32
        .size:           1
        .value_kind:     by_value
      - .offset:         33
        .size:           1
        .value_kind:     by_value
      - .offset:         34
        .size:           1
        .value_kind:     by_value
      - .offset:         35
        .size:           1
        .value_kind:     by_value
    .group_segment_fixed_size: 0
    .kernarg_segment_align: 8
    .kernarg_segment_size: 36
    .language:       OpenCL C
    .language_version:
      - 2
      - 0
    .max_flat_workgroup_size: 256
    .name:           _ZN2at6native27unrolled_elementwise_kernelIN12_GLOBAL__N_110CalcIgammaIfEESt5arrayIPcLm3EELi4E23TrivialOffsetCalculatorILi2EjES8_ILi1EjENS0_6memory15LoadWithoutCastENSB_16StoreWithoutCastEEEviT_T0_T2_T3_T4_T5_
    .private_segment_fixed_size: 144
    .sgpr_count:     46
    .sgpr_spill_count: 0
    .symbol:         _ZN2at6native27unrolled_elementwise_kernelIN12_GLOBAL__N_110CalcIgammaIfEESt5arrayIPcLm3EELi4E23TrivialOffsetCalculatorILi2EjES8_ILi1EjENS0_6memory15LoadWithoutCastENSB_16StoreWithoutCastEEEviT_T0_T2_T3_T4_T5_.kd
    .uniform_work_group_size: 1
    .uses_dynamic_stack: false
    .vgpr_count:     67
    .vgpr_spill_count: 0
    .wavefront_size: 32
    .workgroup_processor_mode: 1
  - .args:
      - .offset:         0
        .size:           4
        .value_kind:     by_value
      - .offset:         8
        .size:           424
        .value_kind:     by_value
    .group_segment_fixed_size: 0
    .kernarg_segment_align: 8
    .kernarg_segment_size: 432
    .language:       OpenCL C
    .language_version:
      - 2
      - 0
    .max_flat_workgroup_size: 128
    .name:           _ZN2at6native32elementwise_kernel_manual_unrollILi128ELi4EZNS0_22gpu_kernel_impl_nocastIN12_GLOBAL__N_110CalcIgammaIfEEEEvRNS_18TensorIteratorBaseERKT_EUlibE_EEviT1_
    .private_segment_fixed_size: 144
    .sgpr_count:     68
    .sgpr_spill_count: 0
    .symbol:         _ZN2at6native32elementwise_kernel_manual_unrollILi128ELi4EZNS0_22gpu_kernel_impl_nocastIN12_GLOBAL__N_110CalcIgammaIfEEEEvRNS_18TensorIteratorBaseERKT_EUlibE_EEviT1_.kd
    .uniform_work_group_size: 1
    .uses_dynamic_stack: false
    .vgpr_count:     66
    .vgpr_spill_count: 0
    .wavefront_size: 32
    .workgroup_processor_mode: 1
  - .args:
      - .offset:         0
        .size:           4
        .value_kind:     by_value
      - .offset:         4
        .size:           1
        .value_kind:     by_value
      - .offset:         8
        .size:           24
        .value_kind:     by_value
      - .offset:         32
        .size:           1
        .value_kind:     by_value
      - .offset:         33
        .size:           1
        .value_kind:     by_value
      - .offset:         36
        .size:           12
        .value_kind:     by_value
      - .offset:         48
        .size:           8
        .value_kind:     by_value
      - .offset:         56
        .size:           4
        .value_kind:     hidden_block_count_x
      - .offset:         60
        .size:           4
        .value_kind:     hidden_block_count_y
      - .offset:         64
        .size:           4
        .value_kind:     hidden_block_count_z
      - .offset:         68
        .size:           2
        .value_kind:     hidden_group_size_x
      - .offset:         70
        .size:           2
        .value_kind:     hidden_group_size_y
      - .offset:         72
        .size:           2
        .value_kind:     hidden_group_size_z
      - .offset:         74
        .size:           2
        .value_kind:     hidden_remainder_x
      - .offset:         76
        .size:           2
        .value_kind:     hidden_remainder_y
      - .offset:         78
        .size:           2
        .value_kind:     hidden_remainder_z
      - .offset:         96
        .size:           8
        .value_kind:     hidden_global_offset_x
      - .offset:         104
        .size:           8
        .value_kind:     hidden_global_offset_y
      - .offset:         112
        .size:           8
        .value_kind:     hidden_global_offset_z
      - .offset:         120
        .size:           2
        .value_kind:     hidden_grid_dims
    .group_segment_fixed_size: 0
    .kernarg_segment_align: 8
    .kernarg_segment_size: 312
    .language:       OpenCL C
    .language_version:
      - 2
      - 0
    .max_flat_workgroup_size: 512
    .name:           _ZN2at6native39vectorized_templated_elementwise_kernelILi8EN12_GLOBAL__N_110CalcIgammaIfEESt5arrayIPcLm3EE23TrivialOffsetCalculatorILi2EjES8_ILi1EjENS0_6memory12LoadWithCastILi2EEENSB_13StoreWithCastILi1EEEfJfN3c108BFloat16EEEEviT0_T1_T2_T3_T4_T5_
    .private_segment_fixed_size: 448
    .sgpr_count:     79
    .sgpr_spill_count: 0
    .symbol:         _ZN2at6native39vectorized_templated_elementwise_kernelILi8EN12_GLOBAL__N_110CalcIgammaIfEESt5arrayIPcLm3EE23TrivialOffsetCalculatorILi2EjES8_ILi1EjENS0_6memory12LoadWithCastILi2EEENSB_13StoreWithCastILi1EEEfJfN3c108BFloat16EEEEviT0_T1_T2_T3_T4_T5_.kd
    .uniform_work_group_size: 1
    .uses_dynamic_stack: false
    .vgpr_count:     147
    .vgpr_spill_count: 0
    .wavefront_size: 32
    .workgroup_processor_mode: 1
  - .args:
      - .offset:         0
        .size:           4
        .value_kind:     by_value
      - .offset:         4
        .size:           1
        .value_kind:     by_value
      - .offset:         8
        .size:           24
        .value_kind:     by_value
      - .offset:         32
        .size:           1
        .value_kind:     by_value
      - .offset:         33
        .size:           1
        .value_kind:     by_value
      - .offset:         36
        .size:           12
        .value_kind:     by_value
      - .offset:         48
        .size:           8
        .value_kind:     by_value
      - .offset:         56
        .size:           4
        .value_kind:     hidden_block_count_x
      - .offset:         60
        .size:           4
        .value_kind:     hidden_block_count_y
      - .offset:         64
        .size:           4
        .value_kind:     hidden_block_count_z
      - .offset:         68
        .size:           2
        .value_kind:     hidden_group_size_x
      - .offset:         70
        .size:           2
        .value_kind:     hidden_group_size_y
      - .offset:         72
        .size:           2
        .value_kind:     hidden_group_size_z
      - .offset:         74
        .size:           2
        .value_kind:     hidden_remainder_x
      - .offset:         76
        .size:           2
        .value_kind:     hidden_remainder_y
      - .offset:         78
        .size:           2
        .value_kind:     hidden_remainder_z
      - .offset:         96
        .size:           8
        .value_kind:     hidden_global_offset_x
      - .offset:         104
        .size:           8
        .value_kind:     hidden_global_offset_y
      - .offset:         112
        .size:           8
        .value_kind:     hidden_global_offset_z
      - .offset:         120
        .size:           2
        .value_kind:     hidden_grid_dims
    .group_segment_fixed_size: 0
    .kernarg_segment_align: 8
    .kernarg_segment_size: 312
    .language:       OpenCL C
    .language_version:
      - 2
      - 0
    .max_flat_workgroup_size: 512
    .name:           _ZN2at6native39vectorized_templated_elementwise_kernelILi4EN12_GLOBAL__N_110CalcIgammaIfEESt5arrayIPcLm3EE23TrivialOffsetCalculatorILi2EjES8_ILi1EjENS0_6memory12LoadWithCastILi2EEENSB_13StoreWithCastILi1EEEfJfN3c108BFloat16EEEEviT0_T1_T2_T3_T4_T5_
    .private_segment_fixed_size: 448
    .sgpr_count:     79
    .sgpr_spill_count: 0
    .symbol:         _ZN2at6native39vectorized_templated_elementwise_kernelILi4EN12_GLOBAL__N_110CalcIgammaIfEESt5arrayIPcLm3EE23TrivialOffsetCalculatorILi2EjES8_ILi1EjENS0_6memory12LoadWithCastILi2EEENSB_13StoreWithCastILi1EEEfJfN3c108BFloat16EEEEviT0_T1_T2_T3_T4_T5_.kd
    .uniform_work_group_size: 1
    .uses_dynamic_stack: false
    .vgpr_count:     147
    .vgpr_spill_count: 0
    .wavefront_size: 32
    .workgroup_processor_mode: 1
  - .args:
      - .offset:         0
        .size:           4
        .value_kind:     by_value
      - .offset:         4
        .size:           1
        .value_kind:     by_value
      - .offset:         8
        .size:           24
        .value_kind:     by_value
      - .offset:         32
        .size:           1
        .value_kind:     by_value
      - .offset:         33
        .size:           1
        .value_kind:     by_value
      - .offset:         36
        .size:           12
        .value_kind:     by_value
      - .offset:         48
        .size:           8
        .value_kind:     by_value
      - .offset:         56
        .size:           4
        .value_kind:     hidden_block_count_x
      - .offset:         60
        .size:           4
        .value_kind:     hidden_block_count_y
      - .offset:         64
        .size:           4
        .value_kind:     hidden_block_count_z
      - .offset:         68
        .size:           2
        .value_kind:     hidden_group_size_x
      - .offset:         70
        .size:           2
        .value_kind:     hidden_group_size_y
      - .offset:         72
        .size:           2
        .value_kind:     hidden_group_size_z
      - .offset:         74
        .size:           2
        .value_kind:     hidden_remainder_x
      - .offset:         76
        .size:           2
        .value_kind:     hidden_remainder_y
      - .offset:         78
        .size:           2
        .value_kind:     hidden_remainder_z
      - .offset:         96
        .size:           8
        .value_kind:     hidden_global_offset_x
      - .offset:         104
        .size:           8
        .value_kind:     hidden_global_offset_y
      - .offset:         112
        .size:           8
        .value_kind:     hidden_global_offset_z
      - .offset:         120
        .size:           2
        .value_kind:     hidden_grid_dims
    .group_segment_fixed_size: 0
    .kernarg_segment_align: 8
    .kernarg_segment_size: 312
    .language:       OpenCL C
    .language_version:
      - 2
      - 0
    .max_flat_workgroup_size: 512
    .name:           _ZN2at6native39vectorized_templated_elementwise_kernelILi2EN12_GLOBAL__N_110CalcIgammaIfEESt5arrayIPcLm3EE23TrivialOffsetCalculatorILi2EjES8_ILi1EjENS0_6memory12LoadWithCastILi2EEENSB_13StoreWithCastILi1EEEfJfN3c108BFloat16EEEEviT0_T1_T2_T3_T4_T5_
    .private_segment_fixed_size: 448
    .sgpr_count:     79
    .sgpr_spill_count: 0
    .symbol:         _ZN2at6native39vectorized_templated_elementwise_kernelILi2EN12_GLOBAL__N_110CalcIgammaIfEESt5arrayIPcLm3EE23TrivialOffsetCalculatorILi2EjES8_ILi1EjENS0_6memory12LoadWithCastILi2EEENSB_13StoreWithCastILi1EEEfJfN3c108BFloat16EEEEviT0_T1_T2_T3_T4_T5_.kd
    .uniform_work_group_size: 1
    .uses_dynamic_stack: false
    .vgpr_count:     147
    .vgpr_spill_count: 0
    .wavefront_size: 32
    .workgroup_processor_mode: 1
  - .args:
      - .offset:         0
        .size:           4
        .value_kind:     by_value
      - .offset:         4
        .size:           1
        .value_kind:     by_value
      - .offset:         8
        .size:           24
        .value_kind:     by_value
      - .offset:         32
        .size:           1
        .value_kind:     by_value
      - .offset:         33
        .size:           1
        .value_kind:     by_value
      - .offset:         36
        .size:           12
        .value_kind:     by_value
      - .offset:         48
        .size:           8
        .value_kind:     by_value
      - .offset:         56
        .size:           4
        .value_kind:     hidden_block_count_x
      - .offset:         60
        .size:           4
        .value_kind:     hidden_block_count_y
      - .offset:         64
        .size:           4
        .value_kind:     hidden_block_count_z
      - .offset:         68
        .size:           2
        .value_kind:     hidden_group_size_x
      - .offset:         70
        .size:           2
        .value_kind:     hidden_group_size_y
      - .offset:         72
        .size:           2
        .value_kind:     hidden_group_size_z
      - .offset:         74
        .size:           2
        .value_kind:     hidden_remainder_x
      - .offset:         76
        .size:           2
        .value_kind:     hidden_remainder_y
      - .offset:         78
        .size:           2
        .value_kind:     hidden_remainder_z
      - .offset:         96
        .size:           8
        .value_kind:     hidden_global_offset_x
      - .offset:         104
        .size:           8
        .value_kind:     hidden_global_offset_y
      - .offset:         112
        .size:           8
        .value_kind:     hidden_global_offset_z
      - .offset:         120
        .size:           2
        .value_kind:     hidden_grid_dims
    .group_segment_fixed_size: 0
    .kernarg_segment_align: 8
    .kernarg_segment_size: 312
    .language:       OpenCL C
    .language_version:
      - 2
      - 0
    .max_flat_workgroup_size: 512
    .name:           _ZN2at6native39vectorized_templated_elementwise_kernelILi8EN12_GLOBAL__N_110CalcIgammaIfEESt5arrayIPcLm3EE23TrivialOffsetCalculatorILi2EjES8_ILi1EjENS0_6memory12LoadWithCastILi2EEENSB_13StoreWithCastILi1EEEfJN3c108BFloat16EfEEEviT0_T1_T2_T3_T4_T5_
    .private_segment_fixed_size: 448
    .sgpr_count:     79
    .sgpr_spill_count: 0
    .symbol:         _ZN2at6native39vectorized_templated_elementwise_kernelILi8EN12_GLOBAL__N_110CalcIgammaIfEESt5arrayIPcLm3EE23TrivialOffsetCalculatorILi2EjES8_ILi1EjENS0_6memory12LoadWithCastILi2EEENSB_13StoreWithCastILi1EEEfJN3c108BFloat16EfEEEviT0_T1_T2_T3_T4_T5_.kd
    .uniform_work_group_size: 1
    .uses_dynamic_stack: false
    .vgpr_count:     147
    .vgpr_spill_count: 0
    .wavefront_size: 32
    .workgroup_processor_mode: 1
  - .args:
      - .offset:         0
        .size:           4
        .value_kind:     by_value
      - .offset:         4
        .size:           1
        .value_kind:     by_value
      - .offset:         8
        .size:           24
        .value_kind:     by_value
      - .offset:         32
        .size:           1
        .value_kind:     by_value
      - .offset:         33
        .size:           1
        .value_kind:     by_value
      - .offset:         36
        .size:           12
        .value_kind:     by_value
      - .offset:         48
        .size:           8
        .value_kind:     by_value
      - .offset:         56
        .size:           4
        .value_kind:     hidden_block_count_x
      - .offset:         60
        .size:           4
        .value_kind:     hidden_block_count_y
      - .offset:         64
        .size:           4
        .value_kind:     hidden_block_count_z
      - .offset:         68
        .size:           2
        .value_kind:     hidden_group_size_x
      - .offset:         70
        .size:           2
        .value_kind:     hidden_group_size_y
      - .offset:         72
        .size:           2
        .value_kind:     hidden_group_size_z
      - .offset:         74
        .size:           2
        .value_kind:     hidden_remainder_x
      - .offset:         76
        .size:           2
        .value_kind:     hidden_remainder_y
      - .offset:         78
        .size:           2
        .value_kind:     hidden_remainder_z
      - .offset:         96
        .size:           8
        .value_kind:     hidden_global_offset_x
      - .offset:         104
        .size:           8
        .value_kind:     hidden_global_offset_y
      - .offset:         112
        .size:           8
        .value_kind:     hidden_global_offset_z
      - .offset:         120
        .size:           2
        .value_kind:     hidden_grid_dims
    .group_segment_fixed_size: 0
    .kernarg_segment_align: 8
    .kernarg_segment_size: 312
    .language:       OpenCL C
    .language_version:
      - 2
      - 0
    .max_flat_workgroup_size: 512
    .name:           _ZN2at6native39vectorized_templated_elementwise_kernelILi4EN12_GLOBAL__N_110CalcIgammaIfEESt5arrayIPcLm3EE23TrivialOffsetCalculatorILi2EjES8_ILi1EjENS0_6memory12LoadWithCastILi2EEENSB_13StoreWithCastILi1EEEfJN3c108BFloat16EfEEEviT0_T1_T2_T3_T4_T5_
    .private_segment_fixed_size: 448
    .sgpr_count:     79
    .sgpr_spill_count: 0
    .symbol:         _ZN2at6native39vectorized_templated_elementwise_kernelILi4EN12_GLOBAL__N_110CalcIgammaIfEESt5arrayIPcLm3EE23TrivialOffsetCalculatorILi2EjES8_ILi1EjENS0_6memory12LoadWithCastILi2EEENSB_13StoreWithCastILi1EEEfJN3c108BFloat16EfEEEviT0_T1_T2_T3_T4_T5_.kd
    .uniform_work_group_size: 1
    .uses_dynamic_stack: false
    .vgpr_count:     147
    .vgpr_spill_count: 0
    .wavefront_size: 32
    .workgroup_processor_mode: 1
  - .args:
      - .offset:         0
        .size:           4
        .value_kind:     by_value
      - .offset:         4
        .size:           1
        .value_kind:     by_value
      - .offset:         8
        .size:           24
        .value_kind:     by_value
      - .offset:         32
        .size:           1
        .value_kind:     by_value
      - .offset:         33
        .size:           1
        .value_kind:     by_value
      - .offset:         36
        .size:           12
        .value_kind:     by_value
      - .offset:         48
        .size:           8
        .value_kind:     by_value
      - .offset:         56
        .size:           4
        .value_kind:     hidden_block_count_x
      - .offset:         60
        .size:           4
        .value_kind:     hidden_block_count_y
      - .offset:         64
        .size:           4
        .value_kind:     hidden_block_count_z
      - .offset:         68
        .size:           2
        .value_kind:     hidden_group_size_x
      - .offset:         70
        .size:           2
        .value_kind:     hidden_group_size_y
      - .offset:         72
        .size:           2
        .value_kind:     hidden_group_size_z
      - .offset:         74
        .size:           2
        .value_kind:     hidden_remainder_x
      - .offset:         76
        .size:           2
        .value_kind:     hidden_remainder_y
      - .offset:         78
        .size:           2
        .value_kind:     hidden_remainder_z
      - .offset:         96
        .size:           8
        .value_kind:     hidden_global_offset_x
      - .offset:         104
        .size:           8
        .value_kind:     hidden_global_offset_y
      - .offset:         112
        .size:           8
        .value_kind:     hidden_global_offset_z
      - .offset:         120
        .size:           2
        .value_kind:     hidden_grid_dims
    .group_segment_fixed_size: 0
    .kernarg_segment_align: 8
    .kernarg_segment_size: 312
    .language:       OpenCL C
    .language_version:
      - 2
      - 0
    .max_flat_workgroup_size: 512
    .name:           _ZN2at6native39vectorized_templated_elementwise_kernelILi2EN12_GLOBAL__N_110CalcIgammaIfEESt5arrayIPcLm3EE23TrivialOffsetCalculatorILi2EjES8_ILi1EjENS0_6memory12LoadWithCastILi2EEENSB_13StoreWithCastILi1EEEfJN3c108BFloat16EfEEEviT0_T1_T2_T3_T4_T5_
    .private_segment_fixed_size: 448
    .sgpr_count:     79
    .sgpr_spill_count: 0
    .symbol:         _ZN2at6native39vectorized_templated_elementwise_kernelILi2EN12_GLOBAL__N_110CalcIgammaIfEESt5arrayIPcLm3EE23TrivialOffsetCalculatorILi2EjES8_ILi1EjENS0_6memory12LoadWithCastILi2EEENSB_13StoreWithCastILi1EEEfJN3c108BFloat16EfEEEviT0_T1_T2_T3_T4_T5_.kd
    .uniform_work_group_size: 1
    .uses_dynamic_stack: false
    .vgpr_count:     147
    .vgpr_spill_count: 0
    .wavefront_size: 32
    .workgroup_processor_mode: 1
  - .args:
      - .offset:         0
        .size:           4
        .value_kind:     by_value
      - .offset:         4
        .size:           1
        .value_kind:     by_value
      - .offset:         8
        .size:           24
        .value_kind:     by_value
      - .offset:         32
        .size:           1
        .value_kind:     by_value
      - .offset:         33
        .size:           1
        .value_kind:     by_value
      - .offset:         36
        .size:           12
        .value_kind:     by_value
      - .offset:         48
        .size:           8
        .value_kind:     by_value
      - .offset:         56
        .size:           4
        .value_kind:     hidden_block_count_x
      - .offset:         60
        .size:           4
        .value_kind:     hidden_block_count_y
      - .offset:         64
        .size:           4
        .value_kind:     hidden_block_count_z
      - .offset:         68
        .size:           2
        .value_kind:     hidden_group_size_x
      - .offset:         70
        .size:           2
        .value_kind:     hidden_group_size_y
      - .offset:         72
        .size:           2
        .value_kind:     hidden_group_size_z
      - .offset:         74
        .size:           2
        .value_kind:     hidden_remainder_x
      - .offset:         76
        .size:           2
        .value_kind:     hidden_remainder_y
      - .offset:         78
        .size:           2
        .value_kind:     hidden_remainder_z
      - .offset:         96
        .size:           8
        .value_kind:     hidden_global_offset_x
      - .offset:         104
        .size:           8
        .value_kind:     hidden_global_offset_y
      - .offset:         112
        .size:           8
        .value_kind:     hidden_global_offset_z
      - .offset:         120
        .size:           2
        .value_kind:     hidden_grid_dims
    .group_segment_fixed_size: 0
    .kernarg_segment_align: 8
    .kernarg_segment_size: 312
    .language:       OpenCL C
    .language_version:
      - 2
      - 0
    .max_flat_workgroup_size: 512
    .name:           _ZN2at6native39vectorized_templated_elementwise_kernelILi8EN12_GLOBAL__N_110CalcIgammaIfEESt5arrayIPcLm3EE23TrivialOffsetCalculatorILi2EjES8_ILi1EjENS0_6memory12LoadWithCastILi2EEENSB_13StoreWithCastILi1EEEN3c108BFloat16EJSH_fEEEviT0_T1_T2_T3_T4_T5_
    .private_segment_fixed_size: 448
    .sgpr_count:     79
    .sgpr_spill_count: 0
    .symbol:         _ZN2at6native39vectorized_templated_elementwise_kernelILi8EN12_GLOBAL__N_110CalcIgammaIfEESt5arrayIPcLm3EE23TrivialOffsetCalculatorILi2EjES8_ILi1EjENS0_6memory12LoadWithCastILi2EEENSB_13StoreWithCastILi1EEEN3c108BFloat16EJSH_fEEEviT0_T1_T2_T3_T4_T5_.kd
    .uniform_work_group_size: 1
    .uses_dynamic_stack: false
    .vgpr_count:     147
    .vgpr_spill_count: 0
    .wavefront_size: 32
    .workgroup_processor_mode: 1
  - .args:
      - .offset:         0
        .size:           4
        .value_kind:     by_value
      - .offset:         4
        .size:           1
        .value_kind:     by_value
      - .offset:         8
        .size:           24
        .value_kind:     by_value
      - .offset:         32
        .size:           1
        .value_kind:     by_value
      - .offset:         33
        .size:           1
        .value_kind:     by_value
      - .offset:         36
        .size:           12
        .value_kind:     by_value
      - .offset:         48
        .size:           8
        .value_kind:     by_value
      - .offset:         56
        .size:           4
        .value_kind:     hidden_block_count_x
      - .offset:         60
        .size:           4
        .value_kind:     hidden_block_count_y
      - .offset:         64
        .size:           4
        .value_kind:     hidden_block_count_z
      - .offset:         68
        .size:           2
        .value_kind:     hidden_group_size_x
      - .offset:         70
        .size:           2
        .value_kind:     hidden_group_size_y
      - .offset:         72
        .size:           2
        .value_kind:     hidden_group_size_z
      - .offset:         74
        .size:           2
        .value_kind:     hidden_remainder_x
      - .offset:         76
        .size:           2
        .value_kind:     hidden_remainder_y
      - .offset:         78
        .size:           2
        .value_kind:     hidden_remainder_z
      - .offset:         96
        .size:           8
        .value_kind:     hidden_global_offset_x
      - .offset:         104
        .size:           8
        .value_kind:     hidden_global_offset_y
      - .offset:         112
        .size:           8
        .value_kind:     hidden_global_offset_z
      - .offset:         120
        .size:           2
        .value_kind:     hidden_grid_dims
    .group_segment_fixed_size: 0
    .kernarg_segment_align: 8
    .kernarg_segment_size: 312
    .language:       OpenCL C
    .language_version:
      - 2
      - 0
    .max_flat_workgroup_size: 512
    .name:           _ZN2at6native39vectorized_templated_elementwise_kernelILi4EN12_GLOBAL__N_110CalcIgammaIfEESt5arrayIPcLm3EE23TrivialOffsetCalculatorILi2EjES8_ILi1EjENS0_6memory12LoadWithCastILi2EEENSB_13StoreWithCastILi1EEEN3c108BFloat16EJSH_fEEEviT0_T1_T2_T3_T4_T5_
    .private_segment_fixed_size: 448
    .sgpr_count:     79
    .sgpr_spill_count: 0
    .symbol:         _ZN2at6native39vectorized_templated_elementwise_kernelILi4EN12_GLOBAL__N_110CalcIgammaIfEESt5arrayIPcLm3EE23TrivialOffsetCalculatorILi2EjES8_ILi1EjENS0_6memory12LoadWithCastILi2EEENSB_13StoreWithCastILi1EEEN3c108BFloat16EJSH_fEEEviT0_T1_T2_T3_T4_T5_.kd
    .uniform_work_group_size: 1
    .uses_dynamic_stack: false
    .vgpr_count:     147
    .vgpr_spill_count: 0
    .wavefront_size: 32
    .workgroup_processor_mode: 1
  - .args:
      - .offset:         0
        .size:           4
        .value_kind:     by_value
      - .offset:         4
        .size:           1
        .value_kind:     by_value
      - .offset:         8
        .size:           24
        .value_kind:     by_value
      - .offset:         32
        .size:           1
        .value_kind:     by_value
      - .offset:         33
        .size:           1
        .value_kind:     by_value
      - .offset:         36
        .size:           12
        .value_kind:     by_value
      - .offset:         48
        .size:           8
        .value_kind:     by_value
      - .offset:         56
        .size:           4
        .value_kind:     hidden_block_count_x
      - .offset:         60
        .size:           4
        .value_kind:     hidden_block_count_y
      - .offset:         64
        .size:           4
        .value_kind:     hidden_block_count_z
      - .offset:         68
        .size:           2
        .value_kind:     hidden_group_size_x
      - .offset:         70
        .size:           2
        .value_kind:     hidden_group_size_y
      - .offset:         72
        .size:           2
        .value_kind:     hidden_group_size_z
      - .offset:         74
        .size:           2
        .value_kind:     hidden_remainder_x
      - .offset:         76
        .size:           2
        .value_kind:     hidden_remainder_y
      - .offset:         78
        .size:           2
        .value_kind:     hidden_remainder_z
      - .offset:         96
        .size:           8
        .value_kind:     hidden_global_offset_x
      - .offset:         104
        .size:           8
        .value_kind:     hidden_global_offset_y
      - .offset:         112
        .size:           8
        .value_kind:     hidden_global_offset_z
      - .offset:         120
        .size:           2
        .value_kind:     hidden_grid_dims
    .group_segment_fixed_size: 0
    .kernarg_segment_align: 8
    .kernarg_segment_size: 312
    .language:       OpenCL C
    .language_version:
      - 2
      - 0
    .max_flat_workgroup_size: 512
    .name:           _ZN2at6native39vectorized_templated_elementwise_kernelILi2EN12_GLOBAL__N_110CalcIgammaIfEESt5arrayIPcLm3EE23TrivialOffsetCalculatorILi2EjES8_ILi1EjENS0_6memory12LoadWithCastILi2EEENSB_13StoreWithCastILi1EEEN3c108BFloat16EJSH_fEEEviT0_T1_T2_T3_T4_T5_
    .private_segment_fixed_size: 448
    .sgpr_count:     79
    .sgpr_spill_count: 0
    .symbol:         _ZN2at6native39vectorized_templated_elementwise_kernelILi2EN12_GLOBAL__N_110CalcIgammaIfEESt5arrayIPcLm3EE23TrivialOffsetCalculatorILi2EjES8_ILi1EjENS0_6memory12LoadWithCastILi2EEENSB_13StoreWithCastILi1EEEN3c108BFloat16EJSH_fEEEviT0_T1_T2_T3_T4_T5_.kd
    .uniform_work_group_size: 1
    .uses_dynamic_stack: false
    .vgpr_count:     147
    .vgpr_spill_count: 0
    .wavefront_size: 32
    .workgroup_processor_mode: 1
  - .args:
      - .offset:         0
        .size:           4
        .value_kind:     by_value
      - .offset:         4
        .size:           1
        .value_kind:     by_value
      - .offset:         8
        .size:           24
        .value_kind:     by_value
      - .offset:         32
        .size:           1
        .value_kind:     by_value
      - .offset:         33
        .size:           1
        .value_kind:     by_value
      - .offset:         36
        .size:           12
        .value_kind:     by_value
      - .offset:         48
        .size:           8
        .value_kind:     by_value
      - .offset:         56
        .size:           4
        .value_kind:     hidden_block_count_x
      - .offset:         60
        .size:           4
        .value_kind:     hidden_block_count_y
      - .offset:         64
        .size:           4
        .value_kind:     hidden_block_count_z
      - .offset:         68
        .size:           2
        .value_kind:     hidden_group_size_x
      - .offset:         70
        .size:           2
        .value_kind:     hidden_group_size_y
      - .offset:         72
        .size:           2
        .value_kind:     hidden_group_size_z
      - .offset:         74
        .size:           2
        .value_kind:     hidden_remainder_x
      - .offset:         76
        .size:           2
        .value_kind:     hidden_remainder_y
      - .offset:         78
        .size:           2
        .value_kind:     hidden_remainder_z
      - .offset:         96
        .size:           8
        .value_kind:     hidden_global_offset_x
      - .offset:         104
        .size:           8
        .value_kind:     hidden_global_offset_y
      - .offset:         112
        .size:           8
        .value_kind:     hidden_global_offset_z
      - .offset:         120
        .size:           2
        .value_kind:     hidden_grid_dims
    .group_segment_fixed_size: 0
    .kernarg_segment_align: 8
    .kernarg_segment_size: 312
    .language:       OpenCL C
    .language_version:
      - 2
      - 0
    .max_flat_workgroup_size: 512
    .name:           _ZN2at6native39vectorized_templated_elementwise_kernelILi8EN12_GLOBAL__N_110CalcIgammaIfEESt5arrayIPcLm3EE23TrivialOffsetCalculatorILi2EjES8_ILi1EjENS0_6memory12LoadWithCastILi2EEENSB_13StoreWithCastILi1EEEfJfN3c104HalfEEEEviT0_T1_T2_T3_T4_T5_
    .private_segment_fixed_size: 448
    .sgpr_count:     79
    .sgpr_spill_count: 0
    .symbol:         _ZN2at6native39vectorized_templated_elementwise_kernelILi8EN12_GLOBAL__N_110CalcIgammaIfEESt5arrayIPcLm3EE23TrivialOffsetCalculatorILi2EjES8_ILi1EjENS0_6memory12LoadWithCastILi2EEENSB_13StoreWithCastILi1EEEfJfN3c104HalfEEEEviT0_T1_T2_T3_T4_T5_.kd
    .uniform_work_group_size: 1
    .uses_dynamic_stack: false
    .vgpr_count:     147
    .vgpr_spill_count: 0
    .wavefront_size: 32
    .workgroup_processor_mode: 1
  - .args:
      - .offset:         0
        .size:           4
        .value_kind:     by_value
      - .offset:         4
        .size:           1
        .value_kind:     by_value
      - .offset:         8
        .size:           24
        .value_kind:     by_value
      - .offset:         32
        .size:           1
        .value_kind:     by_value
      - .offset:         33
        .size:           1
        .value_kind:     by_value
      - .offset:         36
        .size:           12
        .value_kind:     by_value
      - .offset:         48
        .size:           8
        .value_kind:     by_value
      - .offset:         56
        .size:           4
        .value_kind:     hidden_block_count_x
      - .offset:         60
        .size:           4
        .value_kind:     hidden_block_count_y
      - .offset:         64
        .size:           4
        .value_kind:     hidden_block_count_z
      - .offset:         68
        .size:           2
        .value_kind:     hidden_group_size_x
      - .offset:         70
        .size:           2
        .value_kind:     hidden_group_size_y
      - .offset:         72
        .size:           2
        .value_kind:     hidden_group_size_z
      - .offset:         74
        .size:           2
        .value_kind:     hidden_remainder_x
      - .offset:         76
        .size:           2
        .value_kind:     hidden_remainder_y
      - .offset:         78
        .size:           2
        .value_kind:     hidden_remainder_z
      - .offset:         96
        .size:           8
        .value_kind:     hidden_global_offset_x
      - .offset:         104
        .size:           8
        .value_kind:     hidden_global_offset_y
      - .offset:         112
        .size:           8
        .value_kind:     hidden_global_offset_z
      - .offset:         120
        .size:           2
        .value_kind:     hidden_grid_dims
    .group_segment_fixed_size: 0
    .kernarg_segment_align: 8
    .kernarg_segment_size: 312
    .language:       OpenCL C
    .language_version:
      - 2
      - 0
    .max_flat_workgroup_size: 512
    .name:           _ZN2at6native39vectorized_templated_elementwise_kernelILi4EN12_GLOBAL__N_110CalcIgammaIfEESt5arrayIPcLm3EE23TrivialOffsetCalculatorILi2EjES8_ILi1EjENS0_6memory12LoadWithCastILi2EEENSB_13StoreWithCastILi1EEEfJfN3c104HalfEEEEviT0_T1_T2_T3_T4_T5_
    .private_segment_fixed_size: 448
    .sgpr_count:     79
    .sgpr_spill_count: 0
    .symbol:         _ZN2at6native39vectorized_templated_elementwise_kernelILi4EN12_GLOBAL__N_110CalcIgammaIfEESt5arrayIPcLm3EE23TrivialOffsetCalculatorILi2EjES8_ILi1EjENS0_6memory12LoadWithCastILi2EEENSB_13StoreWithCastILi1EEEfJfN3c104HalfEEEEviT0_T1_T2_T3_T4_T5_.kd
    .uniform_work_group_size: 1
    .uses_dynamic_stack: false
    .vgpr_count:     147
    .vgpr_spill_count: 0
    .wavefront_size: 32
    .workgroup_processor_mode: 1
  - .args:
      - .offset:         0
        .size:           4
        .value_kind:     by_value
      - .offset:         4
        .size:           1
        .value_kind:     by_value
      - .offset:         8
        .size:           24
        .value_kind:     by_value
      - .offset:         32
        .size:           1
        .value_kind:     by_value
      - .offset:         33
        .size:           1
        .value_kind:     by_value
      - .offset:         36
        .size:           12
        .value_kind:     by_value
      - .offset:         48
        .size:           8
        .value_kind:     by_value
      - .offset:         56
        .size:           4
        .value_kind:     hidden_block_count_x
      - .offset:         60
        .size:           4
        .value_kind:     hidden_block_count_y
      - .offset:         64
        .size:           4
        .value_kind:     hidden_block_count_z
      - .offset:         68
        .size:           2
        .value_kind:     hidden_group_size_x
      - .offset:         70
        .size:           2
        .value_kind:     hidden_group_size_y
      - .offset:         72
        .size:           2
        .value_kind:     hidden_group_size_z
      - .offset:         74
        .size:           2
        .value_kind:     hidden_remainder_x
      - .offset:         76
        .size:           2
        .value_kind:     hidden_remainder_y
      - .offset:         78
        .size:           2
        .value_kind:     hidden_remainder_z
      - .offset:         96
        .size:           8
        .value_kind:     hidden_global_offset_x
      - .offset:         104
        .size:           8
        .value_kind:     hidden_global_offset_y
      - .offset:         112
        .size:           8
        .value_kind:     hidden_global_offset_z
      - .offset:         120
        .size:           2
        .value_kind:     hidden_grid_dims
    .group_segment_fixed_size: 0
    .kernarg_segment_align: 8
    .kernarg_segment_size: 312
    .language:       OpenCL C
    .language_version:
      - 2
      - 0
    .max_flat_workgroup_size: 512
    .name:           _ZN2at6native39vectorized_templated_elementwise_kernelILi2EN12_GLOBAL__N_110CalcIgammaIfEESt5arrayIPcLm3EE23TrivialOffsetCalculatorILi2EjES8_ILi1EjENS0_6memory12LoadWithCastILi2EEENSB_13StoreWithCastILi1EEEfJfN3c104HalfEEEEviT0_T1_T2_T3_T4_T5_
    .private_segment_fixed_size: 448
    .sgpr_count:     79
    .sgpr_spill_count: 0
    .symbol:         _ZN2at6native39vectorized_templated_elementwise_kernelILi2EN12_GLOBAL__N_110CalcIgammaIfEESt5arrayIPcLm3EE23TrivialOffsetCalculatorILi2EjES8_ILi1EjENS0_6memory12LoadWithCastILi2EEENSB_13StoreWithCastILi1EEEfJfN3c104HalfEEEEviT0_T1_T2_T3_T4_T5_.kd
    .uniform_work_group_size: 1
    .uses_dynamic_stack: false
    .vgpr_count:     147
    .vgpr_spill_count: 0
    .wavefront_size: 32
    .workgroup_processor_mode: 1
  - .args:
      - .offset:         0
        .size:           4
        .value_kind:     by_value
      - .offset:         4
        .size:           1
        .value_kind:     by_value
      - .offset:         8
        .size:           24
        .value_kind:     by_value
      - .offset:         32
        .size:           1
        .value_kind:     by_value
      - .offset:         33
        .size:           1
        .value_kind:     by_value
      - .offset:         36
        .size:           12
        .value_kind:     by_value
      - .offset:         48
        .size:           8
        .value_kind:     by_value
      - .offset:         56
        .size:           4
        .value_kind:     hidden_block_count_x
      - .offset:         60
        .size:           4
        .value_kind:     hidden_block_count_y
      - .offset:         64
        .size:           4
        .value_kind:     hidden_block_count_z
      - .offset:         68
        .size:           2
        .value_kind:     hidden_group_size_x
      - .offset:         70
        .size:           2
        .value_kind:     hidden_group_size_y
      - .offset:         72
        .size:           2
        .value_kind:     hidden_group_size_z
      - .offset:         74
        .size:           2
        .value_kind:     hidden_remainder_x
      - .offset:         76
        .size:           2
        .value_kind:     hidden_remainder_y
      - .offset:         78
        .size:           2
        .value_kind:     hidden_remainder_z
      - .offset:         96
        .size:           8
        .value_kind:     hidden_global_offset_x
      - .offset:         104
        .size:           8
        .value_kind:     hidden_global_offset_y
      - .offset:         112
        .size:           8
        .value_kind:     hidden_global_offset_z
      - .offset:         120
        .size:           2
        .value_kind:     hidden_grid_dims
    .group_segment_fixed_size: 0
    .kernarg_segment_align: 8
    .kernarg_segment_size: 312
    .language:       OpenCL C
    .language_version:
      - 2
      - 0
    .max_flat_workgroup_size: 512
    .name:           _ZN2at6native39vectorized_templated_elementwise_kernelILi8EN12_GLOBAL__N_110CalcIgammaIfEESt5arrayIPcLm3EE23TrivialOffsetCalculatorILi2EjES8_ILi1EjENS0_6memory12LoadWithCastILi2EEENSB_13StoreWithCastILi1EEEfJN3c104HalfEfEEEviT0_T1_T2_T3_T4_T5_
    .private_segment_fixed_size: 448
    .sgpr_count:     79
    .sgpr_spill_count: 0
    .symbol:         _ZN2at6native39vectorized_templated_elementwise_kernelILi8EN12_GLOBAL__N_110CalcIgammaIfEESt5arrayIPcLm3EE23TrivialOffsetCalculatorILi2EjES8_ILi1EjENS0_6memory12LoadWithCastILi2EEENSB_13StoreWithCastILi1EEEfJN3c104HalfEfEEEviT0_T1_T2_T3_T4_T5_.kd
    .uniform_work_group_size: 1
    .uses_dynamic_stack: false
    .vgpr_count:     147
    .vgpr_spill_count: 0
    .wavefront_size: 32
    .workgroup_processor_mode: 1
  - .args:
      - .offset:         0
        .size:           4
        .value_kind:     by_value
      - .offset:         4
        .size:           1
        .value_kind:     by_value
      - .offset:         8
        .size:           24
        .value_kind:     by_value
      - .offset:         32
        .size:           1
        .value_kind:     by_value
      - .offset:         33
        .size:           1
        .value_kind:     by_value
      - .offset:         36
        .size:           12
        .value_kind:     by_value
      - .offset:         48
        .size:           8
        .value_kind:     by_value
      - .offset:         56
        .size:           4
        .value_kind:     hidden_block_count_x
      - .offset:         60
        .size:           4
        .value_kind:     hidden_block_count_y
      - .offset:         64
        .size:           4
        .value_kind:     hidden_block_count_z
      - .offset:         68
        .size:           2
        .value_kind:     hidden_group_size_x
      - .offset:         70
        .size:           2
        .value_kind:     hidden_group_size_y
      - .offset:         72
        .size:           2
        .value_kind:     hidden_group_size_z
      - .offset:         74
        .size:           2
        .value_kind:     hidden_remainder_x
      - .offset:         76
        .size:           2
        .value_kind:     hidden_remainder_y
      - .offset:         78
        .size:           2
        .value_kind:     hidden_remainder_z
      - .offset:         96
        .size:           8
        .value_kind:     hidden_global_offset_x
      - .offset:         104
        .size:           8
        .value_kind:     hidden_global_offset_y
      - .offset:         112
        .size:           8
        .value_kind:     hidden_global_offset_z
      - .offset:         120
        .size:           2
        .value_kind:     hidden_grid_dims
    .group_segment_fixed_size: 0
    .kernarg_segment_align: 8
    .kernarg_segment_size: 312
    .language:       OpenCL C
    .language_version:
      - 2
      - 0
    .max_flat_workgroup_size: 512
    .name:           _ZN2at6native39vectorized_templated_elementwise_kernelILi4EN12_GLOBAL__N_110CalcIgammaIfEESt5arrayIPcLm3EE23TrivialOffsetCalculatorILi2EjES8_ILi1EjENS0_6memory12LoadWithCastILi2EEENSB_13StoreWithCastILi1EEEfJN3c104HalfEfEEEviT0_T1_T2_T3_T4_T5_
    .private_segment_fixed_size: 448
    .sgpr_count:     79
    .sgpr_spill_count: 0
    .symbol:         _ZN2at6native39vectorized_templated_elementwise_kernelILi4EN12_GLOBAL__N_110CalcIgammaIfEESt5arrayIPcLm3EE23TrivialOffsetCalculatorILi2EjES8_ILi1EjENS0_6memory12LoadWithCastILi2EEENSB_13StoreWithCastILi1EEEfJN3c104HalfEfEEEviT0_T1_T2_T3_T4_T5_.kd
    .uniform_work_group_size: 1
    .uses_dynamic_stack: false
    .vgpr_count:     147
    .vgpr_spill_count: 0
    .wavefront_size: 32
    .workgroup_processor_mode: 1
  - .args:
      - .offset:         0
        .size:           4
        .value_kind:     by_value
      - .offset:         4
        .size:           1
        .value_kind:     by_value
      - .offset:         8
        .size:           24
        .value_kind:     by_value
      - .offset:         32
        .size:           1
        .value_kind:     by_value
      - .offset:         33
        .size:           1
        .value_kind:     by_value
      - .offset:         36
        .size:           12
        .value_kind:     by_value
      - .offset:         48
        .size:           8
        .value_kind:     by_value
      - .offset:         56
        .size:           4
        .value_kind:     hidden_block_count_x
      - .offset:         60
        .size:           4
        .value_kind:     hidden_block_count_y
      - .offset:         64
        .size:           4
        .value_kind:     hidden_block_count_z
      - .offset:         68
        .size:           2
        .value_kind:     hidden_group_size_x
      - .offset:         70
        .size:           2
        .value_kind:     hidden_group_size_y
      - .offset:         72
        .size:           2
        .value_kind:     hidden_group_size_z
      - .offset:         74
        .size:           2
        .value_kind:     hidden_remainder_x
      - .offset:         76
        .size:           2
        .value_kind:     hidden_remainder_y
      - .offset:         78
        .size:           2
        .value_kind:     hidden_remainder_z
      - .offset:         96
        .size:           8
        .value_kind:     hidden_global_offset_x
      - .offset:         104
        .size:           8
        .value_kind:     hidden_global_offset_y
      - .offset:         112
        .size:           8
        .value_kind:     hidden_global_offset_z
      - .offset:         120
        .size:           2
        .value_kind:     hidden_grid_dims
    .group_segment_fixed_size: 0
    .kernarg_segment_align: 8
    .kernarg_segment_size: 312
    .language:       OpenCL C
    .language_version:
      - 2
      - 0
    .max_flat_workgroup_size: 512
    .name:           _ZN2at6native39vectorized_templated_elementwise_kernelILi2EN12_GLOBAL__N_110CalcIgammaIfEESt5arrayIPcLm3EE23TrivialOffsetCalculatorILi2EjES8_ILi1EjENS0_6memory12LoadWithCastILi2EEENSB_13StoreWithCastILi1EEEfJN3c104HalfEfEEEviT0_T1_T2_T3_T4_T5_
    .private_segment_fixed_size: 448
    .sgpr_count:     79
    .sgpr_spill_count: 0
    .symbol:         _ZN2at6native39vectorized_templated_elementwise_kernelILi2EN12_GLOBAL__N_110CalcIgammaIfEESt5arrayIPcLm3EE23TrivialOffsetCalculatorILi2EjES8_ILi1EjENS0_6memory12LoadWithCastILi2EEENSB_13StoreWithCastILi1EEEfJN3c104HalfEfEEEviT0_T1_T2_T3_T4_T5_.kd
    .uniform_work_group_size: 1
    .uses_dynamic_stack: false
    .vgpr_count:     147
    .vgpr_spill_count: 0
    .wavefront_size: 32
    .workgroup_processor_mode: 1
  - .args:
      - .offset:         0
        .size:           4
        .value_kind:     by_value
      - .offset:         4
        .size:           1
        .value_kind:     by_value
      - .offset:         8
        .size:           24
        .value_kind:     by_value
      - .offset:         32
        .size:           1
        .value_kind:     by_value
      - .offset:         33
        .size:           1
        .value_kind:     by_value
      - .offset:         36
        .size:           12
        .value_kind:     by_value
      - .offset:         48
        .size:           8
        .value_kind:     by_value
      - .offset:         56
        .size:           4
        .value_kind:     hidden_block_count_x
      - .offset:         60
        .size:           4
        .value_kind:     hidden_block_count_y
      - .offset:         64
        .size:           4
        .value_kind:     hidden_block_count_z
      - .offset:         68
        .size:           2
        .value_kind:     hidden_group_size_x
      - .offset:         70
        .size:           2
        .value_kind:     hidden_group_size_y
      - .offset:         72
        .size:           2
        .value_kind:     hidden_group_size_z
      - .offset:         74
        .size:           2
        .value_kind:     hidden_remainder_x
      - .offset:         76
        .size:           2
        .value_kind:     hidden_remainder_y
      - .offset:         78
        .size:           2
        .value_kind:     hidden_remainder_z
      - .offset:         96
        .size:           8
        .value_kind:     hidden_global_offset_x
      - .offset:         104
        .size:           8
        .value_kind:     hidden_global_offset_y
      - .offset:         112
        .size:           8
        .value_kind:     hidden_global_offset_z
      - .offset:         120
        .size:           2
        .value_kind:     hidden_grid_dims
    .group_segment_fixed_size: 0
    .kernarg_segment_align: 8
    .kernarg_segment_size: 312
    .language:       OpenCL C
    .language_version:
      - 2
      - 0
    .max_flat_workgroup_size: 512
    .name:           _ZN2at6native39vectorized_templated_elementwise_kernelILi8EN12_GLOBAL__N_110CalcIgammaIfEESt5arrayIPcLm3EE23TrivialOffsetCalculatorILi2EjES8_ILi1EjENS0_6memory12LoadWithCastILi2EEENSB_13StoreWithCastILi1EEEN3c104HalfEJSH_fEEEviT0_T1_T2_T3_T4_T5_
    .private_segment_fixed_size: 448
    .sgpr_count:     79
    .sgpr_spill_count: 0
    .symbol:         _ZN2at6native39vectorized_templated_elementwise_kernelILi8EN12_GLOBAL__N_110CalcIgammaIfEESt5arrayIPcLm3EE23TrivialOffsetCalculatorILi2EjES8_ILi1EjENS0_6memory12LoadWithCastILi2EEENSB_13StoreWithCastILi1EEEN3c104HalfEJSH_fEEEviT0_T1_T2_T3_T4_T5_.kd
    .uniform_work_group_size: 1
    .uses_dynamic_stack: false
    .vgpr_count:     147
    .vgpr_spill_count: 0
    .wavefront_size: 32
    .workgroup_processor_mode: 1
  - .args:
      - .offset:         0
        .size:           4
        .value_kind:     by_value
      - .offset:         4
        .size:           1
        .value_kind:     by_value
      - .offset:         8
        .size:           24
        .value_kind:     by_value
      - .offset:         32
        .size:           1
        .value_kind:     by_value
      - .offset:         33
        .size:           1
        .value_kind:     by_value
      - .offset:         36
        .size:           12
        .value_kind:     by_value
      - .offset:         48
        .size:           8
        .value_kind:     by_value
      - .offset:         56
        .size:           4
        .value_kind:     hidden_block_count_x
      - .offset:         60
        .size:           4
        .value_kind:     hidden_block_count_y
      - .offset:         64
        .size:           4
        .value_kind:     hidden_block_count_z
      - .offset:         68
        .size:           2
        .value_kind:     hidden_group_size_x
      - .offset:         70
        .size:           2
        .value_kind:     hidden_group_size_y
      - .offset:         72
        .size:           2
        .value_kind:     hidden_group_size_z
      - .offset:         74
        .size:           2
        .value_kind:     hidden_remainder_x
      - .offset:         76
        .size:           2
        .value_kind:     hidden_remainder_y
      - .offset:         78
        .size:           2
        .value_kind:     hidden_remainder_z
      - .offset:         96
        .size:           8
        .value_kind:     hidden_global_offset_x
      - .offset:         104
        .size:           8
        .value_kind:     hidden_global_offset_y
      - .offset:         112
        .size:           8
        .value_kind:     hidden_global_offset_z
      - .offset:         120
        .size:           2
        .value_kind:     hidden_grid_dims
    .group_segment_fixed_size: 0
    .kernarg_segment_align: 8
    .kernarg_segment_size: 312
    .language:       OpenCL C
    .language_version:
      - 2
      - 0
    .max_flat_workgroup_size: 512
    .name:           _ZN2at6native39vectorized_templated_elementwise_kernelILi4EN12_GLOBAL__N_110CalcIgammaIfEESt5arrayIPcLm3EE23TrivialOffsetCalculatorILi2EjES8_ILi1EjENS0_6memory12LoadWithCastILi2EEENSB_13StoreWithCastILi1EEEN3c104HalfEJSH_fEEEviT0_T1_T2_T3_T4_T5_
    .private_segment_fixed_size: 448
    .sgpr_count:     79
    .sgpr_spill_count: 0
    .symbol:         _ZN2at6native39vectorized_templated_elementwise_kernelILi4EN12_GLOBAL__N_110CalcIgammaIfEESt5arrayIPcLm3EE23TrivialOffsetCalculatorILi2EjES8_ILi1EjENS0_6memory12LoadWithCastILi2EEENSB_13StoreWithCastILi1EEEN3c104HalfEJSH_fEEEviT0_T1_T2_T3_T4_T5_.kd
    .uniform_work_group_size: 1
    .uses_dynamic_stack: false
    .vgpr_count:     147
    .vgpr_spill_count: 0
    .wavefront_size: 32
    .workgroup_processor_mode: 1
  - .args:
      - .offset:         0
        .size:           4
        .value_kind:     by_value
      - .offset:         4
        .size:           1
        .value_kind:     by_value
      - .offset:         8
        .size:           24
        .value_kind:     by_value
      - .offset:         32
        .size:           1
        .value_kind:     by_value
      - .offset:         33
        .size:           1
        .value_kind:     by_value
      - .offset:         36
        .size:           12
        .value_kind:     by_value
      - .offset:         48
        .size:           8
        .value_kind:     by_value
      - .offset:         56
        .size:           4
        .value_kind:     hidden_block_count_x
      - .offset:         60
        .size:           4
        .value_kind:     hidden_block_count_y
      - .offset:         64
        .size:           4
        .value_kind:     hidden_block_count_z
      - .offset:         68
        .size:           2
        .value_kind:     hidden_group_size_x
      - .offset:         70
        .size:           2
        .value_kind:     hidden_group_size_y
      - .offset:         72
        .size:           2
        .value_kind:     hidden_group_size_z
      - .offset:         74
        .size:           2
        .value_kind:     hidden_remainder_x
      - .offset:         76
        .size:           2
        .value_kind:     hidden_remainder_y
      - .offset:         78
        .size:           2
        .value_kind:     hidden_remainder_z
      - .offset:         96
        .size:           8
        .value_kind:     hidden_global_offset_x
      - .offset:         104
        .size:           8
        .value_kind:     hidden_global_offset_y
      - .offset:         112
        .size:           8
        .value_kind:     hidden_global_offset_z
      - .offset:         120
        .size:           2
        .value_kind:     hidden_grid_dims
    .group_segment_fixed_size: 0
    .kernarg_segment_align: 8
    .kernarg_segment_size: 312
    .language:       OpenCL C
    .language_version:
      - 2
      - 0
    .max_flat_workgroup_size: 512
    .name:           _ZN2at6native39vectorized_templated_elementwise_kernelILi2EN12_GLOBAL__N_110CalcIgammaIfEESt5arrayIPcLm3EE23TrivialOffsetCalculatorILi2EjES8_ILi1EjENS0_6memory12LoadWithCastILi2EEENSB_13StoreWithCastILi1EEEN3c104HalfEJSH_fEEEviT0_T1_T2_T3_T4_T5_
    .private_segment_fixed_size: 448
    .sgpr_count:     79
    .sgpr_spill_count: 0
    .symbol:         _ZN2at6native39vectorized_templated_elementwise_kernelILi2EN12_GLOBAL__N_110CalcIgammaIfEESt5arrayIPcLm3EE23TrivialOffsetCalculatorILi2EjES8_ILi1EjENS0_6memory12LoadWithCastILi2EEENSB_13StoreWithCastILi1EEEN3c104HalfEJSH_fEEEviT0_T1_T2_T3_T4_T5_.kd
    .uniform_work_group_size: 1
    .uses_dynamic_stack: false
    .vgpr_count:     147
    .vgpr_spill_count: 0
    .wavefront_size: 32
    .workgroup_processor_mode: 1
  - .args:
      - .offset:         0
        .size:           4
        .value_kind:     by_value
      - .offset:         8
        .size:           40
        .value_kind:     by_value
    .group_segment_fixed_size: 0
    .kernarg_segment_align: 8
    .kernarg_segment_size: 48
    .language:       OpenCL C
    .language_version:
      - 2
      - 0
    .max_flat_workgroup_size: 128
    .name:           _ZN2at6native32elementwise_kernel_manual_unrollILi128ELi4EZNS0_15gpu_kernel_implIN12_GLOBAL__N_110CalcIgammaIfEEEEvRNS_18TensorIteratorBaseERKT_EUlibE_EEviT1_
    .private_segment_fixed_size: 144
    .sgpr_count:     66
    .sgpr_spill_count: 0
    .symbol:         _ZN2at6native32elementwise_kernel_manual_unrollILi128ELi4EZNS0_15gpu_kernel_implIN12_GLOBAL__N_110CalcIgammaIfEEEEvRNS_18TensorIteratorBaseERKT_EUlibE_EEviT1_.kd
    .uniform_work_group_size: 1
    .uses_dynamic_stack: false
    .vgpr_count:     66
    .vgpr_spill_count: 0
    .wavefront_size: 32
    .workgroup_processor_mode: 1
  - .args:
      - .offset:         0
        .size:           4
        .value_kind:     by_value
      - .offset:         8
        .size:           424
        .value_kind:     by_value
    .group_segment_fixed_size: 0
    .kernarg_segment_align: 8
    .kernarg_segment_size: 432
    .language:       OpenCL C
    .language_version:
      - 2
      - 0
    .max_flat_workgroup_size: 128
    .name:           _ZN2at6native32elementwise_kernel_manual_unrollILi128ELi4EZNS0_12_GLOBAL__N_142type_specialized_broadcast_kernel_launcherILi0EE5applyIN12_GLOBAL__N_110CalcIgammaIfEESt5arrayIPcLm3EES9_IN3c1010ScalarTypeELm3EE16OffsetCalculatorILi3EjLb0EEEEvlT_T0_T1_T2_EUlibE_EEviSJ_
    .private_segment_fixed_size: 144
    .sgpr_count:     68
    .sgpr_spill_count: 0
    .symbol:         _ZN2at6native32elementwise_kernel_manual_unrollILi128ELi4EZNS0_12_GLOBAL__N_142type_specialized_broadcast_kernel_launcherILi0EE5applyIN12_GLOBAL__N_110CalcIgammaIfEESt5arrayIPcLm3EES9_IN3c1010ScalarTypeELm3EE16OffsetCalculatorILi3EjLb0EEEEvlT_T0_T1_T2_EUlibE_EEviSJ_.kd
    .uniform_work_group_size: 1
    .uses_dynamic_stack: false
    .vgpr_count:     66
    .vgpr_spill_count: 0
    .wavefront_size: 32
    .workgroup_processor_mode: 1
  - .args:
      - .offset:         0
        .size:           4
        .value_kind:     by_value
      - .offset:         8
        .size:           424
        .value_kind:     by_value
    .group_segment_fixed_size: 0
    .kernarg_segment_align: 8
    .kernarg_segment_size: 432
    .language:       OpenCL C
    .language_version:
      - 2
      - 0
    .max_flat_workgroup_size: 128
    .name:           _ZN2at6native32elementwise_kernel_manual_unrollILi128ELi4EZNS0_12_GLOBAL__N_142type_specialized_broadcast_kernel_launcherILi1EE5applyIN12_GLOBAL__N_110CalcIgammaIfEESt5arrayIPcLm3EES9_IN3c1010ScalarTypeELm3EE16OffsetCalculatorILi3EjLb0EEEEvlT_T0_T1_T2_EUlibE_EEviSJ_
    .private_segment_fixed_size: 144
    .sgpr_count:     68
    .sgpr_spill_count: 0
    .symbol:         _ZN2at6native32elementwise_kernel_manual_unrollILi128ELi4EZNS0_12_GLOBAL__N_142type_specialized_broadcast_kernel_launcherILi1EE5applyIN12_GLOBAL__N_110CalcIgammaIfEESt5arrayIPcLm3EES9_IN3c1010ScalarTypeELm3EE16OffsetCalculatorILi3EjLb0EEEEvlT_T0_T1_T2_EUlibE_EEviSJ_.kd
    .uniform_work_group_size: 1
    .uses_dynamic_stack: false
    .vgpr_count:     66
    .vgpr_spill_count: 0
    .wavefront_size: 32
    .workgroup_processor_mode: 1
  - .args:
      - .offset:         0
        .size:           4
        .value_kind:     by_value
      - .offset:         8
        .size:           424
        .value_kind:     by_value
    .group_segment_fixed_size: 0
    .kernarg_segment_align: 8
    .kernarg_segment_size: 432
    .language:       OpenCL C
    .language_version:
      - 2
      - 0
    .max_flat_workgroup_size: 128
    .name:           _ZN2at6native32elementwise_kernel_manual_unrollILi128ELi4EZNS0_12_GLOBAL__N_142type_specialized_broadcast_kernel_launcherILi2EE5applyIN12_GLOBAL__N_110CalcIgammaIfEESt5arrayIPcLm3EES9_IN3c1010ScalarTypeELm3EE16OffsetCalculatorILi3EjLb0EEEEvlT_T0_T1_T2_EUlibE_EEviSJ_
    .private_segment_fixed_size: 144
    .sgpr_count:     68
    .sgpr_spill_count: 0
    .symbol:         _ZN2at6native32elementwise_kernel_manual_unrollILi128ELi4EZNS0_12_GLOBAL__N_142type_specialized_broadcast_kernel_launcherILi2EE5applyIN12_GLOBAL__N_110CalcIgammaIfEESt5arrayIPcLm3EES9_IN3c1010ScalarTypeELm3EE16OffsetCalculatorILi3EjLb0EEEEvlT_T0_T1_T2_EUlibE_EEviSJ_.kd
    .uniform_work_group_size: 1
    .uses_dynamic_stack: false
    .vgpr_count:     66
    .vgpr_spill_count: 0
    .wavefront_size: 32
    .workgroup_processor_mode: 1
  - .args:
      - .offset:         0
        .size:           4
        .value_kind:     by_value
      - .offset:         8
        .size:           424
        .value_kind:     by_value
    .group_segment_fixed_size: 0
    .kernarg_segment_align: 8
    .kernarg_segment_size: 432
    .language:       OpenCL C
    .language_version:
      - 2
      - 0
    .max_flat_workgroup_size: 128
    .name:           _ZN2at6native32elementwise_kernel_manual_unrollILi128ELi4EZNS0_12_GLOBAL__N_142type_specialized_broadcast_kernel_launcherILi3EE5applyIN12_GLOBAL__N_110CalcIgammaIfEESt5arrayIPcLm3EES9_IN3c1010ScalarTypeELm3EE16OffsetCalculatorILi3EjLb0EEEEvlT_T0_T1_T2_EUlibE_EEviSJ_
    .private_segment_fixed_size: 144
    .sgpr_count:     68
    .sgpr_spill_count: 0
    .symbol:         _ZN2at6native32elementwise_kernel_manual_unrollILi128ELi4EZNS0_12_GLOBAL__N_142type_specialized_broadcast_kernel_launcherILi3EE5applyIN12_GLOBAL__N_110CalcIgammaIfEESt5arrayIPcLm3EES9_IN3c1010ScalarTypeELm3EE16OffsetCalculatorILi3EjLb0EEEEvlT_T0_T1_T2_EUlibE_EEviSJ_.kd
    .uniform_work_group_size: 1
    .uses_dynamic_stack: false
    .vgpr_count:     66
    .vgpr_spill_count: 0
    .wavefront_size: 32
    .workgroup_processor_mode: 1
  - .args:
      - .offset:         0
        .size:           4
        .value_kind:     by_value
      - .offset:         8
        .size:           424
        .value_kind:     by_value
    .group_segment_fixed_size: 0
    .kernarg_segment_align: 8
    .kernarg_segment_size: 432
    .language:       OpenCL C
    .language_version:
      - 2
      - 0
    .max_flat_workgroup_size: 128
    .name:           _ZN2at6native32elementwise_kernel_manual_unrollILi128ELi4EZNS0_12_GLOBAL__N_142type_specialized_broadcast_kernel_launcherILi4EE5applyIN12_GLOBAL__N_110CalcIgammaIfEESt5arrayIPcLm3EES9_IN3c1010ScalarTypeELm3EE16OffsetCalculatorILi3EjLb0EEEEvlT_T0_T1_T2_EUlibE_EEviSJ_
    .private_segment_fixed_size: 144
    .sgpr_count:     68
    .sgpr_spill_count: 0
    .symbol:         _ZN2at6native32elementwise_kernel_manual_unrollILi128ELi4EZNS0_12_GLOBAL__N_142type_specialized_broadcast_kernel_launcherILi4EE5applyIN12_GLOBAL__N_110CalcIgammaIfEESt5arrayIPcLm3EES9_IN3c1010ScalarTypeELm3EE16OffsetCalculatorILi3EjLb0EEEEvlT_T0_T1_T2_EUlibE_EEviSJ_.kd
    .uniform_work_group_size: 1
    .uses_dynamic_stack: false
    .vgpr_count:     66
    .vgpr_spill_count: 0
    .wavefront_size: 32
    .workgroup_processor_mode: 1
  - .args:
      - .offset:         0
        .size:           4
        .value_kind:     by_value
      - .offset:         8
        .size:           424
        .value_kind:     by_value
    .group_segment_fixed_size: 0
    .kernarg_segment_align: 8
    .kernarg_segment_size: 432
    .language:       OpenCL C
    .language_version:
      - 2
      - 0
    .max_flat_workgroup_size: 128
    .name:           _ZN2at6native32elementwise_kernel_manual_unrollILi128ELi4EZNS0_12_GLOBAL__N_142type_specialized_broadcast_kernel_launcherILi5EE5applyIN12_GLOBAL__N_110CalcIgammaIfEESt5arrayIPcLm3EES9_IN3c1010ScalarTypeELm3EE16OffsetCalculatorILi3EjLb0EEEEvlT_T0_T1_T2_EUlibE_EEviSJ_
    .private_segment_fixed_size: 144
    .sgpr_count:     68
    .sgpr_spill_count: 0
    .symbol:         _ZN2at6native32elementwise_kernel_manual_unrollILi128ELi4EZNS0_12_GLOBAL__N_142type_specialized_broadcast_kernel_launcherILi5EE5applyIN12_GLOBAL__N_110CalcIgammaIfEESt5arrayIPcLm3EES9_IN3c1010ScalarTypeELm3EE16OffsetCalculatorILi3EjLb0EEEEvlT_T0_T1_T2_EUlibE_EEviSJ_.kd
    .uniform_work_group_size: 1
    .uses_dynamic_stack: false
    .vgpr_count:     66
    .vgpr_spill_count: 0
    .wavefront_size: 32
    .workgroup_processor_mode: 1
  - .args:
      - .offset:         0
        .size:           4
        .value_kind:     by_value
      - .offset:         8
        .size:           424
        .value_kind:     by_value
    .group_segment_fixed_size: 0
    .kernarg_segment_align: 8
    .kernarg_segment_size: 432
    .language:       OpenCL C
    .language_version:
      - 2
      - 0
    .max_flat_workgroup_size: 128
    .name:           _ZN2at6native32elementwise_kernel_manual_unrollILi128ELi4EZNS0_15gpu_kernel_implIN12_GLOBAL__N_110CalcIgammaIfEEEEvRNS_18TensorIteratorBaseERKT_EUlibE0_EEviT1_
    .private_segment_fixed_size: 144
    .sgpr_count:     84
    .sgpr_spill_count: 0
    .symbol:         _ZN2at6native32elementwise_kernel_manual_unrollILi128ELi4EZNS0_15gpu_kernel_implIN12_GLOBAL__N_110CalcIgammaIfEEEEvRNS_18TensorIteratorBaseERKT_EUlibE0_EEviT1_.kd
    .uniform_work_group_size: 1
    .uses_dynamic_stack: false
    .vgpr_count:     66
    .vgpr_spill_count: 0
    .wavefront_size: 32
    .workgroup_processor_mode: 1
amdhsa.target:   amdgcn-amd-amdhsa--gfx1100
amdhsa.version:
  - 1
  - 2
...

	.end_amdgpu_metadata
